;; amdgpu-corpus repo=pytorch/pytorch kind=compiled arch=gfx1201 opt=O3
	.amdgcn_target "amdgcn-amd-amdhsa--gfx1201"
	.amdhsa_code_object_version 6
	.section	.text._ZN2at6native16triu_tril_kernelIhiLb0ELi4ELb1EEEvNS_4cuda6detail10TensorInfoIT_T0_EENS4_IKS5_S6_EEllS6_,"axG",@progbits,_ZN2at6native16triu_tril_kernelIhiLb0ELi4ELb1EEEvNS_4cuda6detail10TensorInfoIT_T0_EENS4_IKS5_S6_EEllS6_,comdat
	.protected	_ZN2at6native16triu_tril_kernelIhiLb0ELi4ELb1EEEvNS_4cuda6detail10TensorInfoIT_T0_EENS4_IKS5_S6_EEllS6_ ; -- Begin function _ZN2at6native16triu_tril_kernelIhiLb0ELi4ELb1EEEvNS_4cuda6detail10TensorInfoIT_T0_EENS4_IKS5_S6_EEllS6_
	.globl	_ZN2at6native16triu_tril_kernelIhiLb0ELi4ELb1EEEvNS_4cuda6detail10TensorInfoIT_T0_EENS4_IKS5_S6_EEllS6_
	.p2align	8
	.type	_ZN2at6native16triu_tril_kernelIhiLb0ELi4ELb1EEEvNS_4cuda6detail10TensorInfoIT_T0_EENS4_IKS5_S6_EEllS6_,@function
_ZN2at6native16triu_tril_kernelIhiLb0ELi4ELb1EEEvNS_4cuda6detail10TensorInfoIT_T0_EENS4_IKS5_S6_EEllS6_: ; @_ZN2at6native16triu_tril_kernelIhiLb0ELi4ELb1EEEvNS_4cuda6detail10TensorInfoIT_T0_EENS4_IKS5_S6_EEllS6_
; %bb.0:
	s_clause 0x1
	s_load_b32 s2, s[0:1], 0x1d4
	s_load_b128 s[4:7], s[0:1], 0x1b0
	v_mov_b32_e32 v2, 0
	s_mov_b32 s3, exec_lo
	s_delay_alu instid0(VALU_DEP_1)
	v_mov_b32_e32 v1, v2
	s_wait_kmcnt 0x0
	s_and_b32 s2, s2, 0xffff
	s_delay_alu instid0(VALU_DEP_1) | instid1(SALU_CYCLE_1)
	v_mad_co_u64_u32 v[0:1], null, s2, ttmp9, v[0:1]
	s_delay_alu instid0(VALU_DEP_1) | instskip(NEXT) | instid1(VALU_DEP_1)
	v_lshlrev_b64_e32 v[0:1], 2, v[0:1]
	v_cmpx_gt_i64_e64 s[6:7], v[0:1]
	s_cbranch_execz .LBB0_68
; %bb.1:
	s_clause 0x1
	s_load_b32 s20, s[0:1], 0x1a8
	s_load_b32 s8, s[0:1], 0x1c0
	s_add_nc_u64 s[12:13], s[0:1], 0x1c8
	s_add_nc_u64 s[10:11], s[0:1], 0xd8
	s_load_b32 s3, s[12:13], 0x0
	s_mov_b32 s19, 0
	s_mov_b32 s57, 0
	s_wait_kmcnt 0x0
	s_ashr_i32 s21, s20, 31
	v_cvt_f32_u32_e32 v3, s8
	s_lshl_b64 s[22:23], s[20:21], 2
	s_add_co_i32 s9, s20, 6
	s_add_nc_u64 s[12:13], s[10:11], s[22:23]
	s_mul_i32 s3, s3, s2
	s_clause 0x1
	s_load_b32 s14, s[12:13], 0x0
	s_load_b64 s[16:17], s[0:1], 0x0
	v_rcp_iflag_f32_e32 v3, v3
	s_and_b32 s18, s20, 7
	s_add_co_i32 s33, s20, -3
	s_and_b32 s52, s9, 7
	s_lshl_b32 s53, s3, 2
	s_ashr_i32 s9, s8, 31
	v_cmp_gt_i64_e64 s56, s[20:21], 2
	s_add_nc_u64 s[20:21], s[0:1], s[22:23]
	s_wait_kmcnt 0x0
	v_cvt_f32_u32_e32 v4, s14
	s_ashr_i32 s15, s14, 31
	s_cmp_lg_u32 s18, 2
	s_cselect_b32 s54, -1, 0
	s_delay_alu instid0(VALU_DEP_1)
	v_rcp_iflag_f32_e32 v4, v4
	v_mul_f32_e32 v3, 0x4f7ffffe, v3
	s_cmp_gt_u32 s33, 6
	s_cselect_b32 s55, -1, 0
	s_sub_co_i32 s2, 0, s8
	s_wait_alu 0xfffe
	s_ashr_i32 s22, s9, 31
	s_ashr_i32 s24, s15, 31
	s_delay_alu instid0(TRANS32_DEP_1) | instskip(SKIP_1) | instid1(VALU_DEP_2)
	v_mul_f32_e32 v4, 0x4f7ffffe, v4
	v_cvt_u32_f32_e32 v3, v3
	v_cvt_u32_f32_e32 v25, v4
	s_delay_alu instid0(VALU_DEP_2) | instskip(NEXT) | instid1(VALU_DEP_1)
	v_mul_lo_u32 v5, s2, v3
	v_mul_hi_u32 v5, v3, v5
	s_delay_alu instid0(VALU_DEP_1)
	v_add_nc_u32_e32 v26, v3, v5
	s_branch .LBB0_3
.LBB0_2:                                ;   in Loop: Header=BB0_3 Depth=1
	s_wait_alu 0xfffe
	s_or_b32 exec_lo, exec_lo, s23
	v_add_co_u32 v0, vcc_lo, v0, s53
	s_wait_alu 0xfffd
	v_add_co_ci_u32_e64 v1, null, 0, v1, vcc_lo
	s_delay_alu instid0(VALU_DEP_1) | instskip(SKIP_1) | instid1(SALU_CYCLE_1)
	v_cmp_le_i64_e32 vcc_lo, s[6:7], v[0:1]
	s_or_b32 s57, vcc_lo, s57
	s_and_not1_b32 exec_lo, exec_lo, s57
	s_cbranch_execz .LBB0_68
.LBB0_3:                                ; =>This Loop Header: Depth=1
                                        ;     Child Loop BB0_16 Depth 2
                                        ;     Child Loop BB0_22 Depth 2
	v_or_b32_e32 v3, s9, v1
                                        ; implicit-def: $vgpr4_vgpr5
	s_mov_b32 s2, exec_lo
	s_delay_alu instid0(VALU_DEP_1)
	v_cmpx_ne_u64_e32 0, v[2:3]
	s_wait_alu 0xfffe
	s_xor_b32 s3, exec_lo, s2
	s_cbranch_execz .LBB0_5
; %bb.4:                                ;   in Loop: Header=BB0_3 Depth=1
	s_mov_b32 s23, s22
	v_ashrrev_i32_e32 v9, 31, v1
	s_wait_alu 0xfffe
	s_add_nc_u64 s[26:27], s[8:9], s[22:23]
	s_wait_alu 0xfffe
	s_xor_b64 s[26:27], s[26:27], s[22:23]
	v_add_co_u32 v3, vcc_lo, v0, v9
	s_wait_alu 0xfffe
	s_cvt_f32_u32 s2, s26
	s_cvt_f32_u32 s18, s27
	s_sub_nc_u64 s[30:31], 0, s[26:27]
	s_wait_alu 0xfffd
	v_add_co_ci_u32_e64 v4, null, v1, v9, vcc_lo
	s_wait_alu 0xfffe
	s_fmamk_f32 s2, s18, 0x4f800000, s2
	v_xor_b32_e32 v10, v3, v9
	s_delay_alu instid0(VALU_DEP_2) | instskip(SKIP_2) | instid1(TRANS32_DEP_1)
	v_xor_b32_e32 v11, v4, v9
	s_wait_alu 0xfffe
	v_s_rcp_f32 s2, s2
	s_mul_f32 s2, s2, 0x5f7ffffc
	s_wait_alu 0xfffe
	s_delay_alu instid0(SALU_CYCLE_2) | instskip(SKIP_1) | instid1(SALU_CYCLE_2)
	s_mul_f32 s18, s2, 0x2f800000
	s_wait_alu 0xfffe
	s_trunc_f32 s18, s18
	s_wait_alu 0xfffe
	s_delay_alu instid0(SALU_CYCLE_2) | instskip(SKIP_2) | instid1(SALU_CYCLE_1)
	s_fmamk_f32 s2, s18, 0xcf800000, s2
	s_cvt_u32_f32 s29, s18
	s_wait_alu 0xfffe
	s_cvt_u32_f32 s28, s2
	s_wait_alu 0xfffe
	s_delay_alu instid0(SALU_CYCLE_2)
	s_mul_u64 s[34:35], s[30:31], s[28:29]
	s_wait_alu 0xfffe
	s_mul_hi_u32 s37, s28, s35
	s_mul_i32 s36, s28, s35
	s_mul_hi_u32 s18, s28, s34
	s_mul_i32 s23, s29, s34
	s_wait_alu 0xfffe
	s_add_nc_u64 s[36:37], s[18:19], s[36:37]
	s_mul_hi_u32 s2, s29, s34
	s_mul_hi_u32 s25, s29, s35
	s_wait_alu 0xfffe
	s_add_co_u32 s18, s36, s23
	s_add_co_ci_u32 s18, s37, s2
	s_mul_i32 s34, s29, s35
	s_add_co_ci_u32 s35, s25, 0
	s_wait_alu 0xfffe
	s_add_nc_u64 s[34:35], s[18:19], s[34:35]
	s_wait_alu 0xfffe
	s_add_co_u32 s28, s28, s34
	s_cselect_b32 s2, -1, 0
	s_wait_alu 0xfffe
	s_cmp_lg_u32 s2, 0
	s_add_co_ci_u32 s29, s29, s35
	s_wait_alu 0xfffe
	s_mul_u64 s[30:31], s[30:31], s[28:29]
	s_wait_alu 0xfffe
	s_mul_hi_u32 s35, s28, s31
	s_mul_i32 s34, s28, s31
	s_mul_hi_u32 s18, s28, s30
	s_mul_i32 s23, s29, s30
	s_wait_alu 0xfffe
	s_add_nc_u64 s[34:35], s[18:19], s[34:35]
	s_mul_hi_u32 s2, s29, s30
	s_mul_hi_u32 s25, s29, s31
	s_wait_alu 0xfffe
	s_add_co_u32 s18, s34, s23
	s_add_co_ci_u32 s18, s35, s2
	s_mul_i32 s30, s29, s31
	s_add_co_ci_u32 s31, s25, 0
	s_wait_alu 0xfffe
	s_add_nc_u64 s[30:31], s[18:19], s[30:31]
	s_wait_alu 0xfffe
	s_add_co_u32 s2, s28, s30
	s_cselect_b32 s18, -1, 0
	s_wait_alu 0xfffe
	v_mul_hi_u32 v12, v10, s2
	s_cmp_lg_u32 s18, 0
	v_mad_co_u64_u32 v[5:6], null, v11, s2, 0
	s_add_co_ci_u32 s18, s29, s31
	s_wait_alu 0xfffe
	v_mad_co_u64_u32 v[3:4], null, v10, s18, 0
	v_mad_co_u64_u32 v[7:8], null, v11, s18, 0
	s_delay_alu instid0(VALU_DEP_2) | instskip(SKIP_1) | instid1(VALU_DEP_3)
	v_add_co_u32 v3, vcc_lo, v12, v3
	s_wait_alu 0xfffd
	v_add_co_ci_u32_e64 v4, null, 0, v4, vcc_lo
	s_delay_alu instid0(VALU_DEP_2) | instskip(SKIP_1) | instid1(VALU_DEP_2)
	v_add_co_u32 v3, vcc_lo, v3, v5
	s_wait_alu 0xfffd
	v_add_co_ci_u32_e32 v3, vcc_lo, v4, v6, vcc_lo
	s_wait_alu 0xfffd
	v_add_co_ci_u32_e32 v4, vcc_lo, 0, v8, vcc_lo
	s_delay_alu instid0(VALU_DEP_2) | instskip(SKIP_1) | instid1(VALU_DEP_2)
	v_add_co_u32 v5, vcc_lo, v3, v7
	s_wait_alu 0xfffd
	v_add_co_ci_u32_e64 v6, null, 0, v4, vcc_lo
	s_delay_alu instid0(VALU_DEP_2) | instskip(SKIP_1) | instid1(VALU_DEP_3)
	v_mul_lo_u32 v7, s27, v5
	v_mad_co_u64_u32 v[3:4], null, s26, v5, 0
	v_mul_lo_u32 v8, s26, v6
	s_delay_alu instid0(VALU_DEP_2) | instskip(NEXT) | instid1(VALU_DEP_2)
	v_sub_co_u32 v3, vcc_lo, v10, v3
	v_add3_u32 v4, v4, v8, v7
	v_add_co_u32 v8, s2, v5, 2
	s_wait_alu 0xf1ff
	v_add_co_ci_u32_e64 v10, null, 0, v6, s2
	s_delay_alu instid0(VALU_DEP_3) | instskip(SKIP_3) | instid1(VALU_DEP_3)
	v_sub_nc_u32_e32 v7, v11, v4
	v_sub_co_u32 v12, s2, v3, s26
	s_wait_alu 0xfffd
	v_sub_co_ci_u32_e64 v4, null, v11, v4, vcc_lo
	v_subrev_co_ci_u32_e64 v7, null, s27, v7, vcc_lo
	s_delay_alu instid0(VALU_DEP_3) | instskip(SKIP_1) | instid1(VALU_DEP_2)
	v_cmp_le_u32_e32 vcc_lo, s26, v12
	s_wait_alu 0xf1ff
	v_subrev_co_ci_u32_e64 v7, null, 0, v7, s2
	s_wait_alu 0xfffd
	v_cndmask_b32_e64 v11, 0, -1, vcc_lo
	s_delay_alu instid0(VALU_DEP_2)
	v_cmp_le_u32_e32 vcc_lo, s27, v7
	s_wait_alu 0xfffd
	v_cndmask_b32_e64 v12, 0, -1, vcc_lo
	v_cmp_le_u32_e32 vcc_lo, s26, v3
	s_wait_alu 0xfffd
	v_cndmask_b32_e64 v3, 0, -1, vcc_lo
	;; [unrolled: 3-line block ×3, first 2 shown]
	v_cmp_eq_u32_e32 vcc_lo, s27, v7
	s_wait_alu 0xfffd
	v_cndmask_b32_e32 v7, v12, v11, vcc_lo
	v_add_co_u32 v11, vcc_lo, v5, 1
	s_wait_alu 0xfffd
	v_add_co_ci_u32_e64 v12, null, 0, v6, vcc_lo
	v_cmp_eq_u32_e32 vcc_lo, s27, v4
	s_wait_alu 0xfffd
	v_cndmask_b32_e32 v3, v13, v3, vcc_lo
	v_cmp_ne_u32_e32 vcc_lo, 0, v7
	v_xor_b32_e32 v7, s22, v9
	s_wait_alu 0xfffd
	v_cndmask_b32_e32 v4, v12, v10, vcc_lo
	v_cmp_ne_u32_e64 s2, 0, v3
	v_cndmask_b32_e32 v3, v11, v8, vcc_lo
	s_wait_alu 0xf1ff
	s_delay_alu instid0(VALU_DEP_2) | instskip(NEXT) | instid1(VALU_DEP_2)
	v_cndmask_b32_e64 v4, v6, v4, s2
	v_cndmask_b32_e64 v3, v5, v3, s2
	s_delay_alu instid0(VALU_DEP_2) | instskip(NEXT) | instid1(VALU_DEP_2)
	v_xor_b32_e32 v5, v4, v7
	v_xor_b32_e32 v3, v3, v7
	s_delay_alu instid0(VALU_DEP_1) | instskip(SKIP_1) | instid1(VALU_DEP_3)
	v_sub_co_u32 v4, vcc_lo, v3, v7
	s_wait_alu 0xfffd
	v_sub_co_ci_u32_e64 v5, null, v5, v7, vcc_lo
.LBB0_5:                                ;   in Loop: Header=BB0_3 Depth=1
	s_wait_alu 0xfffe
	s_and_not1_saveexec_b32 s2, s3
	s_cbranch_execz .LBB0_7
; %bb.6:                                ;   in Loop: Header=BB0_3 Depth=1
	v_mul_hi_u32 v3, v0, v26
	s_delay_alu instid0(VALU_DEP_1) | instskip(NEXT) | instid1(VALU_DEP_1)
	v_mul_lo_u32 v4, v3, s8
	v_sub_nc_u32_e32 v4, v0, v4
	s_delay_alu instid0(VALU_DEP_1) | instskip(SKIP_2) | instid1(VALU_DEP_2)
	v_subrev_nc_u32_e32 v6, s8, v4
	v_cmp_le_u32_e32 vcc_lo, s8, v4
	s_wait_alu 0xfffd
	v_dual_cndmask_b32 v4, v4, v6 :: v_dual_add_nc_u32 v5, 1, v3
	s_delay_alu instid0(VALU_DEP_1) | instskip(NEXT) | instid1(VALU_DEP_2)
	v_cndmask_b32_e32 v3, v3, v5, vcc_lo
	v_cmp_le_u32_e32 vcc_lo, s8, v4
	s_delay_alu instid0(VALU_DEP_2) | instskip(SKIP_1) | instid1(VALU_DEP_1)
	v_add_nc_u32_e32 v5, 1, v3
	s_wait_alu 0xfffd
	v_dual_cndmask_b32 v4, v3, v5 :: v_dual_mov_b32 v5, v2
.LBB0_7:                                ;   in Loop: Header=BB0_3 Depth=1
	s_wait_alu 0xfffe
	s_or_b32 exec_lo, exec_lo, s2
	s_delay_alu instid0(VALU_DEP_1) | instskip(SKIP_1) | instid1(VALU_DEP_1)
	v_or_b32_e32 v3, s15, v5
                                        ; implicit-def: $vgpr7_vgpr8
	s_mov_b32 s2, exec_lo
	v_cmpx_ne_u64_e32 0, v[2:3]
	s_wait_alu 0xfffe
	s_xor_b32 s3, exec_lo, s2
	s_cbranch_execz .LBB0_9
; %bb.8:                                ;   in Loop: Header=BB0_3 Depth=1
	s_mov_b32 s25, s24
	v_ashrrev_i32_e32 v3, 31, v5
	s_wait_alu 0xfffe
	s_add_nc_u64 s[26:27], s[14:15], s[24:25]
	s_wait_alu 0xfffe
	s_xor_b64 s[26:27], s[26:27], s[24:25]
	v_add_co_u32 v6, vcc_lo, v4, v3
	s_wait_alu 0xfffe
	s_cvt_f32_u32 s2, s26
	s_cvt_f32_u32 s18, s27
	s_sub_nc_u64 s[30:31], 0, s[26:27]
	s_wait_alu 0xfffd
	v_add_co_ci_u32_e64 v5, null, v5, v3, vcc_lo
	s_wait_alu 0xfffe
	s_fmamk_f32 s2, s18, 0x4f800000, s2
	v_xor_b32_e32 v11, v6, v3
	s_delay_alu instid0(VALU_DEP_2) | instskip(SKIP_3) | instid1(TRANS32_DEP_1)
	v_xor_b32_e32 v12, v5, v3
	s_wait_alu 0xfffe
	v_s_rcp_f32 s2, s2
	v_xor_b32_e32 v3, s24, v3
	s_mul_f32 s2, s2, 0x5f7ffffc
	s_wait_alu 0xfffe
	s_delay_alu instid0(SALU_CYCLE_2) | instskip(SKIP_1) | instid1(SALU_CYCLE_2)
	s_mul_f32 s18, s2, 0x2f800000
	s_wait_alu 0xfffe
	s_trunc_f32 s18, s18
	s_wait_alu 0xfffe
	s_delay_alu instid0(SALU_CYCLE_2) | instskip(SKIP_2) | instid1(SALU_CYCLE_1)
	s_fmamk_f32 s2, s18, 0xcf800000, s2
	s_cvt_u32_f32 s29, s18
	s_wait_alu 0xfffe
	s_cvt_u32_f32 s28, s2
	s_wait_alu 0xfffe
	s_delay_alu instid0(SALU_CYCLE_2)
	s_mul_u64 s[34:35], s[30:31], s[28:29]
	s_wait_alu 0xfffe
	s_mul_hi_u32 s37, s28, s35
	s_mul_i32 s36, s28, s35
	s_mul_hi_u32 s18, s28, s34
	s_mul_i32 s23, s29, s34
	s_wait_alu 0xfffe
	s_add_nc_u64 s[36:37], s[18:19], s[36:37]
	s_mul_hi_u32 s2, s29, s34
	s_mul_hi_u32 s25, s29, s35
	s_wait_alu 0xfffe
	s_add_co_u32 s18, s36, s23
	s_add_co_ci_u32 s18, s37, s2
	s_mul_i32 s34, s29, s35
	s_add_co_ci_u32 s35, s25, 0
	s_wait_alu 0xfffe
	s_add_nc_u64 s[34:35], s[18:19], s[34:35]
	s_wait_alu 0xfffe
	s_add_co_u32 s28, s28, s34
	s_cselect_b32 s2, -1, 0
	s_wait_alu 0xfffe
	s_cmp_lg_u32 s2, 0
	s_add_co_ci_u32 s29, s29, s35
	s_wait_alu 0xfffe
	s_mul_u64 s[30:31], s[30:31], s[28:29]
	s_wait_alu 0xfffe
	s_mul_hi_u32 s35, s28, s31
	s_mul_i32 s34, s28, s31
	s_mul_hi_u32 s18, s28, s30
	s_mul_i32 s23, s29, s30
	s_wait_alu 0xfffe
	s_add_nc_u64 s[34:35], s[18:19], s[34:35]
	s_mul_hi_u32 s2, s29, s30
	s_mul_hi_u32 s25, s29, s31
	s_wait_alu 0xfffe
	s_add_co_u32 s18, s34, s23
	s_add_co_ci_u32 s18, s35, s2
	s_mul_i32 s30, s29, s31
	s_add_co_ci_u32 s31, s25, 0
	s_wait_alu 0xfffe
	s_add_nc_u64 s[30:31], s[18:19], s[30:31]
	s_wait_alu 0xfffe
	s_add_co_u32 s2, s28, s30
	s_cselect_b32 s18, -1, 0
	s_wait_alu 0xfffe
	v_mul_hi_u32 v13, v11, s2
	s_cmp_lg_u32 s18, 0
	v_mad_co_u64_u32 v[7:8], null, v12, s2, 0
	s_add_co_ci_u32 s18, s29, s31
	s_wait_alu 0xfffe
	v_mad_co_u64_u32 v[5:6], null, v11, s18, 0
	v_mad_co_u64_u32 v[9:10], null, v12, s18, 0
	s_delay_alu instid0(VALU_DEP_2) | instskip(SKIP_1) | instid1(VALU_DEP_3)
	v_add_co_u32 v5, vcc_lo, v13, v5
	s_wait_alu 0xfffd
	v_add_co_ci_u32_e64 v6, null, 0, v6, vcc_lo
	s_delay_alu instid0(VALU_DEP_2) | instskip(SKIP_1) | instid1(VALU_DEP_2)
	v_add_co_u32 v5, vcc_lo, v5, v7
	s_wait_alu 0xfffd
	v_add_co_ci_u32_e32 v5, vcc_lo, v6, v8, vcc_lo
	s_wait_alu 0xfffd
	v_add_co_ci_u32_e32 v6, vcc_lo, 0, v10, vcc_lo
	s_delay_alu instid0(VALU_DEP_2) | instskip(SKIP_1) | instid1(VALU_DEP_2)
	v_add_co_u32 v7, vcc_lo, v5, v9
	s_wait_alu 0xfffd
	v_add_co_ci_u32_e64 v8, null, 0, v6, vcc_lo
	s_delay_alu instid0(VALU_DEP_2) | instskip(SKIP_1) | instid1(VALU_DEP_3)
	v_mul_lo_u32 v9, s27, v7
	v_mad_co_u64_u32 v[5:6], null, s26, v7, 0
	v_mul_lo_u32 v10, s26, v8
	s_delay_alu instid0(VALU_DEP_2) | instskip(NEXT) | instid1(VALU_DEP_2)
	v_sub_co_u32 v5, vcc_lo, v11, v5
	v_add3_u32 v6, v6, v10, v9
	v_add_co_u32 v10, s2, v7, 2
	s_wait_alu 0xf1ff
	v_add_co_ci_u32_e64 v11, null, 0, v8, s2
	s_delay_alu instid0(VALU_DEP_3) | instskip(SKIP_3) | instid1(VALU_DEP_3)
	v_sub_nc_u32_e32 v9, v12, v6
	v_sub_co_u32 v13, s2, v5, s26
	s_wait_alu 0xfffd
	v_sub_co_ci_u32_e64 v6, null, v12, v6, vcc_lo
	v_subrev_co_ci_u32_e64 v9, null, s27, v9, vcc_lo
	s_delay_alu instid0(VALU_DEP_3) | instskip(SKIP_1) | instid1(VALU_DEP_2)
	v_cmp_le_u32_e32 vcc_lo, s26, v13
	s_wait_alu 0xf1ff
	v_subrev_co_ci_u32_e64 v9, null, 0, v9, s2
	s_wait_alu 0xfffd
	v_cndmask_b32_e64 v12, 0, -1, vcc_lo
	s_delay_alu instid0(VALU_DEP_2)
	v_cmp_le_u32_e32 vcc_lo, s27, v9
	s_wait_alu 0xfffd
	v_cndmask_b32_e64 v13, 0, -1, vcc_lo
	v_cmp_le_u32_e32 vcc_lo, s26, v5
	s_wait_alu 0xfffd
	v_cndmask_b32_e64 v5, 0, -1, vcc_lo
	v_cmp_le_u32_e32 vcc_lo, s27, v6
	s_wait_alu 0xfffd
	v_cndmask_b32_e64 v14, 0, -1, vcc_lo
	v_cmp_eq_u32_e32 vcc_lo, s27, v9
	s_wait_alu 0xfffd
	v_cndmask_b32_e32 v9, v13, v12, vcc_lo
	v_add_co_u32 v12, vcc_lo, v7, 1
	s_wait_alu 0xfffd
	v_add_co_ci_u32_e64 v13, null, 0, v8, vcc_lo
	v_cmp_eq_u32_e32 vcc_lo, s27, v6
	s_wait_alu 0xfffd
	v_cndmask_b32_e32 v5, v14, v5, vcc_lo
	v_cmp_ne_u32_e32 vcc_lo, 0, v9
	s_wait_alu 0xfffd
	v_cndmask_b32_e32 v6, v13, v11, vcc_lo
	s_delay_alu instid0(VALU_DEP_3) | instskip(SKIP_2) | instid1(VALU_DEP_2)
	v_cmp_ne_u32_e64 s2, 0, v5
	v_cndmask_b32_e32 v5, v12, v10, vcc_lo
	s_wait_alu 0xf1ff
	v_cndmask_b32_e64 v6, v8, v6, s2
	s_delay_alu instid0(VALU_DEP_2) | instskip(NEXT) | instid1(VALU_DEP_2)
	v_cndmask_b32_e64 v5, v7, v5, s2
	v_xor_b32_e32 v6, v6, v3
	s_delay_alu instid0(VALU_DEP_2) | instskip(NEXT) | instid1(VALU_DEP_1)
	v_xor_b32_e32 v5, v5, v3
	v_sub_co_u32 v7, vcc_lo, v5, v3
	s_wait_alu 0xfffd
	s_delay_alu instid0(VALU_DEP_3)
	v_sub_co_ci_u32_e64 v8, null, v6, v3, vcc_lo
.LBB0_9:                                ;   in Loop: Header=BB0_3 Depth=1
	s_wait_alu 0xfffe
	s_and_not1_saveexec_b32 s2, s3
	s_cbranch_execz .LBB0_11
; %bb.10:                               ;   in Loop: Header=BB0_3 Depth=1
	s_sub_co_i32 s3, 0, s14
	v_mov_b32_e32 v8, v2
	s_wait_alu 0xfffe
	v_mul_lo_u32 v3, s3, v25
	s_delay_alu instid0(VALU_DEP_1) | instskip(NEXT) | instid1(VALU_DEP_1)
	v_mul_hi_u32 v3, v25, v3
	v_add_nc_u32_e32 v3, v25, v3
	s_delay_alu instid0(VALU_DEP_1) | instskip(NEXT) | instid1(VALU_DEP_1)
	v_mul_hi_u32 v3, v4, v3
	v_mul_lo_u32 v5, v3, s14
	v_add_nc_u32_e32 v6, 1, v3
	s_delay_alu instid0(VALU_DEP_2) | instskip(NEXT) | instid1(VALU_DEP_1)
	v_sub_nc_u32_e32 v5, v4, v5
	v_subrev_nc_u32_e32 v7, s14, v5
	v_cmp_le_u32_e32 vcc_lo, s14, v5
	s_wait_alu 0xfffd
	s_delay_alu instid0(VALU_DEP_2) | instskip(SKIP_1) | instid1(VALU_DEP_2)
	v_cndmask_b32_e32 v5, v5, v7, vcc_lo
	v_cndmask_b32_e32 v3, v3, v6, vcc_lo
	v_cmp_le_u32_e32 vcc_lo, s14, v5
	s_delay_alu instid0(VALU_DEP_2) | instskip(SKIP_1) | instid1(VALU_DEP_1)
	v_add_nc_u32_e32 v6, 1, v3
	s_wait_alu 0xfffd
	v_cndmask_b32_e32 v7, v3, v6, vcc_lo
.LBB0_11:                               ;   in Loop: Header=BB0_3 Depth=1
	s_wait_alu 0xfffe
	s_or_b32 exec_lo, exec_lo, s2
	v_mad_co_u64_u32 v[5:6], null, v4, s8, 0
	s_delay_alu instid0(VALU_DEP_2) | instskip(SKIP_3) | instid1(VALU_DEP_1)
	v_mad_co_u64_u32 v[9:10], null, v7, s14, 0
	s_mov_b32 s23, exec_lo
	v_sub_co_u32 v28, null, v0, v5
	v_sub_co_u32 v27, null, v4, v9
	v_sub_nc_u32_e32 v6, v28, v27
	s_delay_alu instid0(VALU_DEP_1) | instskip(NEXT) | instid1(VALU_DEP_1)
	v_add_nc_u32_e32 v3, 4, v6
	v_ashrrev_i32_e32 v4, 31, v3
	s_delay_alu instid0(VALU_DEP_1)
	v_cmpx_lt_i64_e64 s[4:5], v[3:4]
	s_cbranch_execz .LBB0_2
; %bb.12:                               ;   in Loop: Header=BB0_3 Depth=1
	s_load_b64 s[2:3], s[20:21], 0x64
	s_and_not1_b32 vcc_lo, exec_lo, s56
	s_wait_kmcnt 0x0
	v_mul_lo_u32 v3, s3, v28
	s_delay_alu instid0(VALU_DEP_1)
	v_mad_co_u64_u32 v[4:5], null, s2, v27, v[3:4]
	s_wait_alu 0xfffe
	s_cbranch_vccnz .LBB0_56
; %bb.13:                               ;   in Loop: Header=BB0_3 Depth=1
	s_mov_b32 s25, s52
	s_and_not1_b32 vcc_lo, exec_lo, s54
	s_mov_b32 s18, s33
	s_mov_b32 s2, s33
	s_wait_alu 0xfffe
	s_cbranch_vccz .LBB0_16
; %bb.14:                               ;   in Loop: Header=BB0_3 Depth=1
	s_and_not1_b32 vcc_lo, exec_lo, s55
	s_wait_alu 0xfffe
	s_cbranch_vccz .LBB0_21
	s_branch .LBB0_56
.LBB0_15:                               ;   in Loop: Header=BB0_16 Depth=2
	s_wait_alu 0xfffe
	s_or_b32 exec_lo, exec_lo, s2
	s_add_nc_u64 s[26:27], s[0:1], s[26:27]
	v_mul_lo_u32 v3, v9, s28
	s_load_b32 s2, s[26:27], 0x6c
	s_add_co_i32 s25, s25, -1
	s_add_co_i32 s18, s18, -1
	s_wait_alu 0xfffe
	s_cmp_lg_u32 s25, 0
	s_delay_alu instid0(VALU_DEP_1) | instskip(SKIP_2) | instid1(VALU_DEP_2)
	v_sub_nc_u32_e32 v3, v7, v3
	v_dual_mov_b32 v7, v9 :: v_dual_mov_b32 v8, v10
	s_wait_kmcnt 0x0
	v_mad_co_u64_u32 v[4:5], null, s2, v3, v[4:5]
	s_cbranch_scc0 .LBB0_20
.LBB0_16:                               ;   Parent Loop BB0_3 Depth=1
                                        ; =>  This Inner Loop Header: Depth=2
	s_lshl_b64 s[26:27], s[18:19], 2
                                        ; implicit-def: $vgpr9_vgpr10
	s_mov_b32 s2, exec_lo
	s_wait_alu 0xfffe
	s_add_nc_u64 s[28:29], s[10:11], s[26:27]
	s_load_b32 s28, s[28:29], 0x8
	s_wait_kmcnt 0x0
	s_ashr_i32 s29, s28, 31
	s_wait_alu 0xfffe
	v_or_b32_e32 v3, s29, v8
	s_delay_alu instid0(VALU_DEP_1)
	v_cmpx_ne_u64_e32 0, v[2:3]
	s_xor_b32 s36, exec_lo, s2
	s_cbranch_execz .LBB0_18
; %bb.17:                               ;   in Loop: Header=BB0_16 Depth=2
	s_ashr_i32 s30, s29, 31
	s_mov_b32 s43, s19
	s_wait_alu 0xfffe
	s_mov_b32 s31, s30
	s_mov_b32 s47, s19
	s_wait_alu 0xfffe
	s_add_nc_u64 s[34:35], s[28:29], s[30:31]
	v_ashrrev_i32_e32 v3, 31, v8
	s_wait_alu 0xfffe
	s_xor_b64 s[34:35], s[34:35], s[30:31]
	s_wait_alu 0xfffe
	s_cvt_f32_u32 s2, s34
	s_cvt_f32_u32 s29, s35
	s_sub_nc_u64 s[40:41], 0, s[34:35]
	v_add_co_u32 v5, vcc_lo, v7, v3
	s_wait_alu 0xfffe
	s_fmamk_f32 s2, s29, 0x4f800000, s2
	s_wait_alu 0xfffd
	v_add_co_ci_u32_e64 v8, null, v8, v3, vcc_lo
	v_xor_b32_e32 v5, v5, v3
	s_wait_alu 0xfffe
	v_s_rcp_f32 s2, s2
	s_delay_alu instid0(VALU_DEP_2) | instskip(SKIP_1) | instid1(TRANS32_DEP_1)
	v_xor_b32_e32 v14, v8, v3
	v_xor_b32_e32 v3, s30, v3
	s_mul_f32 s2, s2, 0x5f7ffffc
	s_wait_alu 0xfffe
	s_delay_alu instid0(SALU_CYCLE_2) | instskip(SKIP_1) | instid1(SALU_CYCLE_2)
	s_mul_f32 s29, s2, 0x2f800000
	s_wait_alu 0xfffe
	s_trunc_f32 s29, s29
	s_wait_alu 0xfffe
	s_delay_alu instid0(SALU_CYCLE_2) | instskip(SKIP_2) | instid1(SALU_CYCLE_1)
	s_fmamk_f32 s2, s29, 0xcf800000, s2
	s_cvt_u32_f32 s39, s29
	s_wait_alu 0xfffe
	s_cvt_u32_f32 s38, s2
	s_wait_alu 0xfffe
	s_delay_alu instid0(SALU_CYCLE_2)
	s_mul_u64 s[44:45], s[40:41], s[38:39]
	s_wait_alu 0xfffe
	s_mul_hi_u32 s49, s38, s45
	s_mul_i32 s48, s38, s45
	s_mul_hi_u32 s42, s38, s44
	s_mul_i32 s29, s39, s44
	s_wait_alu 0xfffe
	s_add_nc_u64 s[42:43], s[42:43], s[48:49]
	s_mul_hi_u32 s2, s39, s44
	s_mul_hi_u32 s31, s39, s45
	s_wait_alu 0xfffe
	s_add_co_u32 s29, s42, s29
	s_add_co_ci_u32 s46, s43, s2
	s_mul_i32 s44, s39, s45
	s_add_co_ci_u32 s45, s31, 0
	s_wait_alu 0xfffe
	s_add_nc_u64 s[42:43], s[46:47], s[44:45]
	s_mov_b32 s45, s19
	s_wait_alu 0xfffe
	s_add_co_u32 s38, s38, s42
	s_cselect_b32 s2, -1, 0
	s_wait_alu 0xfffe
	s_cmp_lg_u32 s2, 0
	s_add_co_ci_u32 s39, s39, s43
	s_mov_b32 s43, s19
	s_wait_alu 0xfffe
	s_mul_u64 s[40:41], s[40:41], s[38:39]
	s_wait_alu 0xfffe
	s_mul_hi_u32 s47, s38, s41
	s_mul_i32 s46, s38, s41
	s_mul_hi_u32 s44, s38, s40
	s_mul_i32 s29, s39, s40
	s_wait_alu 0xfffe
	s_add_nc_u64 s[44:45], s[44:45], s[46:47]
	s_mul_hi_u32 s2, s39, s40
	s_mul_hi_u32 s31, s39, s41
	s_wait_alu 0xfffe
	s_add_co_u32 s29, s44, s29
	s_add_co_ci_u32 s42, s45, s2
	s_mul_i32 s40, s39, s41
	s_add_co_ci_u32 s41, s31, 0
	s_wait_alu 0xfffe
	s_add_nc_u64 s[40:41], s[42:43], s[40:41]
	s_wait_alu 0xfffe
	s_add_co_u32 s2, s38, s40
	s_cselect_b32 s29, -1, 0
	s_wait_alu 0xfffe
	v_mul_hi_u32 v15, v5, s2
	s_cmp_lg_u32 s29, 0
	v_mad_co_u64_u32 v[10:11], null, v14, s2, 0
	s_add_co_ci_u32 s29, s39, s41
	s_wait_alu 0xfffe
	v_mad_co_u64_u32 v[8:9], null, v5, s29, 0
	v_mad_co_u64_u32 v[12:13], null, v14, s29, 0
	s_delay_alu instid0(VALU_DEP_2) | instskip(SKIP_1) | instid1(VALU_DEP_3)
	v_add_co_u32 v8, vcc_lo, v15, v8
	s_wait_alu 0xfffd
	v_add_co_ci_u32_e64 v9, null, 0, v9, vcc_lo
	s_delay_alu instid0(VALU_DEP_2) | instskip(SKIP_1) | instid1(VALU_DEP_2)
	v_add_co_u32 v8, vcc_lo, v8, v10
	s_wait_alu 0xfffd
	v_add_co_ci_u32_e32 v8, vcc_lo, v9, v11, vcc_lo
	s_wait_alu 0xfffd
	v_add_co_ci_u32_e32 v9, vcc_lo, 0, v13, vcc_lo
	s_delay_alu instid0(VALU_DEP_2) | instskip(SKIP_1) | instid1(VALU_DEP_2)
	v_add_co_u32 v10, vcc_lo, v8, v12
	s_wait_alu 0xfffd
	v_add_co_ci_u32_e64 v11, null, 0, v9, vcc_lo
	s_delay_alu instid0(VALU_DEP_2) | instskip(SKIP_1) | instid1(VALU_DEP_3)
	v_mul_lo_u32 v12, s35, v10
	v_mad_co_u64_u32 v[8:9], null, s34, v10, 0
	v_mul_lo_u32 v13, s34, v11
	s_delay_alu instid0(VALU_DEP_2) | instskip(NEXT) | instid1(VALU_DEP_2)
	v_sub_co_u32 v5, vcc_lo, v5, v8
	v_add3_u32 v9, v9, v13, v12
	s_delay_alu instid0(VALU_DEP_1) | instskip(SKIP_2) | instid1(VALU_DEP_2)
	v_sub_nc_u32_e32 v12, v14, v9
	s_wait_alu 0xfffd
	v_sub_co_ci_u32_e64 v9, null, v14, v9, vcc_lo
	v_subrev_co_ci_u32_e64 v8, null, s35, v12, vcc_lo
	v_add_co_u32 v12, s2, v10, 2
	s_wait_alu 0xf1ff
	v_add_co_ci_u32_e64 v13, null, 0, v11, s2
	v_sub_co_u32 v15, s2, v5, s34
	s_wait_alu 0xf1ff
	v_subrev_co_ci_u32_e64 v8, null, 0, v8, s2
	s_delay_alu instid0(VALU_DEP_2) | instskip(SKIP_2) | instid1(VALU_DEP_3)
	v_cmp_le_u32_e32 vcc_lo, s34, v15
	s_wait_alu 0xfffd
	v_cndmask_b32_e64 v14, 0, -1, vcc_lo
	v_cmp_le_u32_e32 vcc_lo, s35, v8
	s_wait_alu 0xfffd
	v_cndmask_b32_e64 v15, 0, -1, vcc_lo
	;; [unrolled: 3-line block ×4, first 2 shown]
	v_cmp_eq_u32_e32 vcc_lo, s35, v8
	s_wait_alu 0xfffd
	v_cndmask_b32_e32 v8, v15, v14, vcc_lo
	v_add_co_u32 v14, vcc_lo, v10, 1
	s_wait_alu 0xfffd
	v_add_co_ci_u32_e64 v15, null, 0, v11, vcc_lo
	v_cmp_eq_u32_e32 vcc_lo, s35, v9
	s_wait_alu 0xfffd
	v_cndmask_b32_e32 v5, v16, v5, vcc_lo
	v_cmp_ne_u32_e32 vcc_lo, 0, v8
	s_delay_alu instid0(VALU_DEP_2) | instskip(SKIP_3) | instid1(VALU_DEP_1)
	v_cmp_ne_u32_e64 s2, 0, v5
	s_wait_alu 0xfffd
	v_dual_cndmask_b32 v8, v15, v13 :: v_dual_cndmask_b32 v5, v14, v12
	s_wait_alu 0xf1ff
	v_cndmask_b32_e64 v8, v11, v8, s2
	s_delay_alu instid0(VALU_DEP_2) | instskip(NEXT) | instid1(VALU_DEP_2)
	v_cndmask_b32_e64 v5, v10, v5, s2
	v_xor_b32_e32 v8, v8, v3
	s_delay_alu instid0(VALU_DEP_2) | instskip(NEXT) | instid1(VALU_DEP_1)
	v_xor_b32_e32 v5, v5, v3
	v_sub_co_u32 v9, vcc_lo, v5, v3
	s_wait_alu 0xfffd
	s_delay_alu instid0(VALU_DEP_3)
	v_sub_co_ci_u32_e64 v10, null, v8, v3, vcc_lo
.LBB0_18:                               ;   in Loop: Header=BB0_16 Depth=2
	s_wait_alu 0xfffe
	s_and_not1_saveexec_b32 s2, s36
	s_cbranch_execz .LBB0_15
; %bb.19:                               ;   in Loop: Header=BB0_16 Depth=2
	v_cvt_f32_u32_e32 v3, s28
	s_sub_co_i32 s29, 0, s28
	v_mov_b32_e32 v10, v2
	s_delay_alu instid0(VALU_DEP_2) | instskip(NEXT) | instid1(TRANS32_DEP_1)
	v_rcp_iflag_f32_e32 v3, v3
	v_mul_f32_e32 v3, 0x4f7ffffe, v3
	s_delay_alu instid0(VALU_DEP_1) | instskip(SKIP_1) | instid1(VALU_DEP_1)
	v_cvt_u32_f32_e32 v3, v3
	s_wait_alu 0xfffe
	v_mul_lo_u32 v5, s29, v3
	s_delay_alu instid0(VALU_DEP_1) | instskip(NEXT) | instid1(VALU_DEP_1)
	v_mul_hi_u32 v5, v3, v5
	v_add_nc_u32_e32 v3, v3, v5
	s_delay_alu instid0(VALU_DEP_1) | instskip(NEXT) | instid1(VALU_DEP_1)
	v_mul_hi_u32 v3, v7, v3
	v_mul_lo_u32 v5, v3, s28
	s_delay_alu instid0(VALU_DEP_1) | instskip(NEXT) | instid1(VALU_DEP_1)
	v_sub_nc_u32_e32 v5, v7, v5
	v_subrev_nc_u32_e32 v9, s28, v5
	v_cmp_le_u32_e32 vcc_lo, s28, v5
	s_wait_alu 0xfffd
	s_delay_alu instid0(VALU_DEP_2) | instskip(NEXT) | instid1(VALU_DEP_1)
	v_dual_cndmask_b32 v5, v5, v9 :: v_dual_add_nc_u32 v8, 1, v3
	v_cndmask_b32_e32 v3, v3, v8, vcc_lo
	s_delay_alu instid0(VALU_DEP_2) | instskip(NEXT) | instid1(VALU_DEP_2)
	v_cmp_le_u32_e32 vcc_lo, s28, v5
	v_add_nc_u32_e32 v8, 1, v3
	s_wait_alu 0xfffd
	s_delay_alu instid0(VALU_DEP_1)
	v_cndmask_b32_e32 v9, v3, v8, vcc_lo
	s_branch .LBB0_15
.LBB0_20:                               ;   in Loop: Header=BB0_3 Depth=1
	s_mov_b32 s2, s18
	s_and_not1_b32 vcc_lo, exec_lo, s55
	s_wait_alu 0xfffe
	s_cbranch_vccnz .LBB0_56
.LBB0_21:                               ;   in Loop: Header=BB0_3 Depth=1
	s_add_co_i32 s26, s2, -7
.LBB0_22:                               ;   Parent Loop BB0_3 Depth=1
                                        ; =>  This Inner Loop Header: Depth=2
	s_wait_alu 0xfffe
	s_add_co_i32 s18, s26, 7
                                        ; implicit-def: $vgpr9_vgpr10
	s_mov_b32 s2, exec_lo
	s_wait_alu 0xfffe
	s_lshl_b64 s[34:35], s[18:19], 2
	s_wait_alu 0xfffe
	s_add_nc_u64 s[28:29], s[10:11], s[34:35]
	s_load_b32 s28, s[28:29], 0x8
	s_wait_kmcnt 0x0
	s_ashr_i32 s29, s28, 31
	s_wait_alu 0xfffe
	v_or_b32_e32 v3, s29, v8
	s_delay_alu instid0(VALU_DEP_1)
	v_cmpx_ne_u64_e32 0, v[2:3]
	s_xor_b32 s25, exec_lo, s2
	s_cbranch_execz .LBB0_24
; %bb.23:                               ;   in Loop: Header=BB0_22 Depth=2
	s_ashr_i32 s30, s29, 31
	v_ashrrev_i32_e32 v3, 31, v8
	s_wait_alu 0xfffe
	s_mov_b32 s31, s30
	s_wait_alu 0xfffe
	s_add_nc_u64 s[36:37], s[28:29], s[30:31]
	v_add_co_u32 v5, vcc_lo, v7, v3
	s_wait_alu 0xfffe
	s_xor_b64 s[36:37], s[36:37], s[30:31]
	s_wait_alu 0xfffd
	v_add_co_ci_u32_e64 v8, null, v8, v3, vcc_lo
	s_wait_alu 0xfffe
	s_cvt_f32_u32 s2, s36
	s_cvt_f32_u32 s18, s37
	s_sub_nc_u64 s[40:41], 0, s[36:37]
	v_xor_b32_e32 v5, v5, v3
	v_xor_b32_e32 v14, v8, v3
	s_wait_alu 0xfffe
	s_fmamk_f32 s2, s18, 0x4f800000, s2
	v_xor_b32_e32 v3, s30, v3
	s_wait_alu 0xfffe
	s_delay_alu instid0(SALU_CYCLE_1) | instskip(NEXT) | instid1(TRANS32_DEP_1)
	v_s_rcp_f32 s2, s2
	s_mul_f32 s2, s2, 0x5f7ffffc
	s_wait_alu 0xfffe
	s_delay_alu instid0(SALU_CYCLE_2) | instskip(SKIP_1) | instid1(SALU_CYCLE_2)
	s_mul_f32 s18, s2, 0x2f800000
	s_wait_alu 0xfffe
	s_trunc_f32 s18, s18
	s_wait_alu 0xfffe
	s_delay_alu instid0(SALU_CYCLE_2) | instskip(SKIP_2) | instid1(SALU_CYCLE_1)
	s_fmamk_f32 s2, s18, 0xcf800000, s2
	s_cvt_u32_f32 s39, s18
	s_wait_alu 0xfffe
	s_cvt_u32_f32 s38, s2
	s_wait_alu 0xfffe
	s_delay_alu instid0(SALU_CYCLE_2)
	s_mul_u64 s[42:43], s[40:41], s[38:39]
	s_wait_alu 0xfffe
	s_mul_hi_u32 s45, s38, s43
	s_mul_i32 s44, s38, s43
	s_mul_hi_u32 s18, s38, s42
	s_mul_i32 s27, s39, s42
	s_wait_alu 0xfffe
	s_add_nc_u64 s[44:45], s[18:19], s[44:45]
	s_mul_hi_u32 s2, s39, s42
	s_mul_hi_u32 s29, s39, s43
	s_wait_alu 0xfffe
	s_add_co_u32 s18, s44, s27
	s_add_co_ci_u32 s18, s45, s2
	s_mul_i32 s42, s39, s43
	s_add_co_ci_u32 s43, s29, 0
	s_wait_alu 0xfffe
	s_add_nc_u64 s[42:43], s[18:19], s[42:43]
	s_wait_alu 0xfffe
	s_add_co_u32 s38, s38, s42
	s_cselect_b32 s2, -1, 0
	s_wait_alu 0xfffe
	s_cmp_lg_u32 s2, 0
	s_add_co_ci_u32 s39, s39, s43
	s_wait_alu 0xfffe
	s_mul_u64 s[40:41], s[40:41], s[38:39]
	s_wait_alu 0xfffe
	s_mul_hi_u32 s43, s38, s41
	s_mul_i32 s42, s38, s41
	s_mul_hi_u32 s18, s38, s40
	s_mul_i32 s27, s39, s40
	s_wait_alu 0xfffe
	s_add_nc_u64 s[42:43], s[18:19], s[42:43]
	s_mul_hi_u32 s2, s39, s40
	s_mul_hi_u32 s29, s39, s41
	s_wait_alu 0xfffe
	s_add_co_u32 s18, s42, s27
	s_add_co_ci_u32 s18, s43, s2
	s_mul_i32 s40, s39, s41
	s_add_co_ci_u32 s41, s29, 0
	s_wait_alu 0xfffe
	s_add_nc_u64 s[40:41], s[18:19], s[40:41]
	s_wait_alu 0xfffe
	s_add_co_u32 s2, s38, s40
	s_cselect_b32 s18, -1, 0
	s_wait_alu 0xfffe
	v_mul_hi_u32 v15, v5, s2
	s_cmp_lg_u32 s18, 0
	v_mad_co_u64_u32 v[10:11], null, v14, s2, 0
	s_add_co_ci_u32 s18, s39, s41
	s_wait_alu 0xfffe
	v_mad_co_u64_u32 v[8:9], null, v5, s18, 0
	v_mad_co_u64_u32 v[12:13], null, v14, s18, 0
	s_delay_alu instid0(VALU_DEP_2) | instskip(SKIP_1) | instid1(VALU_DEP_3)
	v_add_co_u32 v8, vcc_lo, v15, v8
	s_wait_alu 0xfffd
	v_add_co_ci_u32_e64 v9, null, 0, v9, vcc_lo
	s_delay_alu instid0(VALU_DEP_2) | instskip(SKIP_1) | instid1(VALU_DEP_2)
	v_add_co_u32 v8, vcc_lo, v8, v10
	s_wait_alu 0xfffd
	v_add_co_ci_u32_e32 v8, vcc_lo, v9, v11, vcc_lo
	s_wait_alu 0xfffd
	v_add_co_ci_u32_e32 v9, vcc_lo, 0, v13, vcc_lo
	s_delay_alu instid0(VALU_DEP_2) | instskip(SKIP_1) | instid1(VALU_DEP_2)
	v_add_co_u32 v10, vcc_lo, v8, v12
	s_wait_alu 0xfffd
	v_add_co_ci_u32_e64 v11, null, 0, v9, vcc_lo
	s_delay_alu instid0(VALU_DEP_2) | instskip(SKIP_1) | instid1(VALU_DEP_3)
	v_mul_lo_u32 v12, s37, v10
	v_mad_co_u64_u32 v[8:9], null, s36, v10, 0
	v_mul_lo_u32 v13, s36, v11
	s_delay_alu instid0(VALU_DEP_2) | instskip(NEXT) | instid1(VALU_DEP_2)
	v_sub_co_u32 v5, vcc_lo, v5, v8
	v_add3_u32 v9, v9, v13, v12
	s_delay_alu instid0(VALU_DEP_1) | instskip(SKIP_2) | instid1(VALU_DEP_2)
	v_sub_nc_u32_e32 v12, v14, v9
	s_wait_alu 0xfffd
	v_sub_co_ci_u32_e64 v9, null, v14, v9, vcc_lo
	v_subrev_co_ci_u32_e64 v8, null, s37, v12, vcc_lo
	v_add_co_u32 v12, s2, v10, 2
	s_wait_alu 0xf1ff
	v_add_co_ci_u32_e64 v13, null, 0, v11, s2
	v_sub_co_u32 v15, s2, v5, s36
	s_wait_alu 0xf1ff
	v_subrev_co_ci_u32_e64 v8, null, 0, v8, s2
	s_delay_alu instid0(VALU_DEP_2) | instskip(SKIP_2) | instid1(VALU_DEP_3)
	v_cmp_le_u32_e32 vcc_lo, s36, v15
	s_wait_alu 0xfffd
	v_cndmask_b32_e64 v14, 0, -1, vcc_lo
	v_cmp_le_u32_e32 vcc_lo, s37, v8
	s_wait_alu 0xfffd
	v_cndmask_b32_e64 v15, 0, -1, vcc_lo
	;; [unrolled: 3-line block ×4, first 2 shown]
	v_cmp_eq_u32_e32 vcc_lo, s37, v8
	s_wait_alu 0xfffd
	v_cndmask_b32_e32 v8, v15, v14, vcc_lo
	v_add_co_u32 v14, vcc_lo, v10, 1
	s_wait_alu 0xfffd
	v_add_co_ci_u32_e64 v15, null, 0, v11, vcc_lo
	v_cmp_eq_u32_e32 vcc_lo, s37, v9
	s_wait_alu 0xfffd
	v_cndmask_b32_e32 v5, v16, v5, vcc_lo
	v_cmp_ne_u32_e32 vcc_lo, 0, v8
	s_delay_alu instid0(VALU_DEP_2) | instskip(SKIP_3) | instid1(VALU_DEP_1)
	v_cmp_ne_u32_e64 s2, 0, v5
	s_wait_alu 0xfffd
	v_dual_cndmask_b32 v8, v15, v13 :: v_dual_cndmask_b32 v5, v14, v12
	s_wait_alu 0xf1ff
	v_cndmask_b32_e64 v8, v11, v8, s2
	s_delay_alu instid0(VALU_DEP_2) | instskip(NEXT) | instid1(VALU_DEP_2)
	v_cndmask_b32_e64 v5, v10, v5, s2
	v_xor_b32_e32 v8, v8, v3
	s_delay_alu instid0(VALU_DEP_2) | instskip(NEXT) | instid1(VALU_DEP_1)
	v_xor_b32_e32 v5, v5, v3
	v_sub_co_u32 v9, vcc_lo, v5, v3
	s_wait_alu 0xfffd
	s_delay_alu instid0(VALU_DEP_3)
	v_sub_co_ci_u32_e64 v10, null, v8, v3, vcc_lo
.LBB0_24:                               ;   in Loop: Header=BB0_22 Depth=2
	s_wait_alu 0xfffe
	s_and_not1_saveexec_b32 s2, s25
	s_cbranch_execz .LBB0_26
; %bb.25:                               ;   in Loop: Header=BB0_22 Depth=2
	v_cvt_f32_u32_e32 v3, s28
	s_sub_co_i32 s18, 0, s28
	v_mov_b32_e32 v10, v2
	s_delay_alu instid0(VALU_DEP_2) | instskip(NEXT) | instid1(TRANS32_DEP_1)
	v_rcp_iflag_f32_e32 v3, v3
	v_mul_f32_e32 v3, 0x4f7ffffe, v3
	s_delay_alu instid0(VALU_DEP_1) | instskip(SKIP_1) | instid1(VALU_DEP_1)
	v_cvt_u32_f32_e32 v3, v3
	s_wait_alu 0xfffe
	v_mul_lo_u32 v5, s18, v3
	s_delay_alu instid0(VALU_DEP_1) | instskip(NEXT) | instid1(VALU_DEP_1)
	v_mul_hi_u32 v5, v3, v5
	v_add_nc_u32_e32 v3, v3, v5
	s_delay_alu instid0(VALU_DEP_1) | instskip(NEXT) | instid1(VALU_DEP_1)
	v_mul_hi_u32 v3, v7, v3
	v_mul_lo_u32 v5, v3, s28
	s_delay_alu instid0(VALU_DEP_1) | instskip(NEXT) | instid1(VALU_DEP_1)
	v_sub_nc_u32_e32 v5, v7, v5
	v_subrev_nc_u32_e32 v9, s28, v5
	v_cmp_le_u32_e32 vcc_lo, s28, v5
	s_wait_alu 0xfffd
	s_delay_alu instid0(VALU_DEP_2) | instskip(NEXT) | instid1(VALU_DEP_1)
	v_dual_cndmask_b32 v5, v5, v9 :: v_dual_add_nc_u32 v8, 1, v3
	v_cndmask_b32_e32 v3, v3, v8, vcc_lo
	s_delay_alu instid0(VALU_DEP_2) | instskip(NEXT) | instid1(VALU_DEP_2)
	v_cmp_le_u32_e32 vcc_lo, s28, v5
	v_add_nc_u32_e32 v8, 1, v3
	s_wait_alu 0xfffd
	s_delay_alu instid0(VALU_DEP_1)
	v_cndmask_b32_e32 v9, v3, v8, vcc_lo
.LBB0_26:                               ;   in Loop: Header=BB0_22 Depth=2
	s_wait_alu 0xfffe
	s_or_b32 exec_lo, exec_lo, s2
	s_add_co_i32 s18, s26, 6
	s_add_nc_u64 s[34:35], s[0:1], s[34:35]
	s_wait_alu 0xfffe
	s_lshl_b64 s[36:37], s[18:19], 2
                                        ; implicit-def: $vgpr11_vgpr12
	s_mov_b32 s2, exec_lo
	s_wait_alu 0xfffe
	s_add_nc_u64 s[30:31], s[10:11], s[36:37]
	s_clause 0x1
	s_load_b32 s25, s[34:35], 0x6c
	s_load_b32 s30, s[30:31], 0x8
	s_wait_kmcnt 0x0
	s_ashr_i32 s31, s30, 31
	s_wait_alu 0xfffe
	v_or_b32_e32 v3, s31, v10
	s_delay_alu instid0(VALU_DEP_1)
	v_cmpx_ne_u64_e32 0, v[2:3]
	s_xor_b32 s27, exec_lo, s2
	s_cbranch_execz .LBB0_28
; %bb.27:                               ;   in Loop: Header=BB0_22 Depth=2
	s_ashr_i32 s34, s31, 31
	v_ashrrev_i32_e32 v3, 31, v10
	s_wait_alu 0xfffe
	s_mov_b32 s35, s34
	s_wait_alu 0xfffe
	s_add_nc_u64 s[38:39], s[30:31], s[34:35]
	v_add_co_u32 v5, vcc_lo, v9, v3
	s_wait_alu 0xfffe
	s_xor_b64 s[38:39], s[38:39], s[34:35]
	s_wait_alu 0xfffd
	v_add_co_ci_u32_e64 v8, null, v10, v3, vcc_lo
	s_wait_alu 0xfffe
	s_cvt_f32_u32 s2, s38
	s_cvt_f32_u32 s18, s39
	s_sub_nc_u64 s[42:43], 0, s[38:39]
	v_xor_b32_e32 v5, v5, v3
	v_xor_b32_e32 v8, v8, v3
	s_wait_alu 0xfffe
	s_fmamk_f32 s2, s18, 0x4f800000, s2
	v_xor_b32_e32 v3, s34, v3
	s_wait_alu 0xfffe
	s_delay_alu instid0(SALU_CYCLE_1) | instskip(NEXT) | instid1(TRANS32_DEP_1)
	v_s_rcp_f32 s2, s2
	s_mul_f32 s2, s2, 0x5f7ffffc
	s_wait_alu 0xfffe
	s_delay_alu instid0(SALU_CYCLE_2) | instskip(SKIP_1) | instid1(SALU_CYCLE_2)
	s_mul_f32 s18, s2, 0x2f800000
	s_wait_alu 0xfffe
	s_trunc_f32 s18, s18
	s_wait_alu 0xfffe
	s_delay_alu instid0(SALU_CYCLE_2) | instskip(SKIP_2) | instid1(SALU_CYCLE_1)
	s_fmamk_f32 s2, s18, 0xcf800000, s2
	s_cvt_u32_f32 s41, s18
	s_wait_alu 0xfffe
	s_cvt_u32_f32 s40, s2
	s_wait_alu 0xfffe
	s_delay_alu instid0(SALU_CYCLE_2)
	s_mul_u64 s[44:45], s[42:43], s[40:41]
	s_wait_alu 0xfffe
	s_mul_hi_u32 s47, s40, s45
	s_mul_i32 s46, s40, s45
	s_mul_hi_u32 s18, s40, s44
	s_mul_i32 s29, s41, s44
	s_wait_alu 0xfffe
	s_add_nc_u64 s[46:47], s[18:19], s[46:47]
	s_mul_hi_u32 s2, s41, s44
	s_mul_hi_u32 s31, s41, s45
	s_wait_alu 0xfffe
	s_add_co_u32 s18, s46, s29
	s_add_co_ci_u32 s18, s47, s2
	s_mul_i32 s44, s41, s45
	s_add_co_ci_u32 s45, s31, 0
	s_wait_alu 0xfffe
	s_add_nc_u64 s[44:45], s[18:19], s[44:45]
	s_wait_alu 0xfffe
	s_add_co_u32 s40, s40, s44
	s_cselect_b32 s2, -1, 0
	s_wait_alu 0xfffe
	s_cmp_lg_u32 s2, 0
	s_add_co_ci_u32 s41, s41, s45
	s_wait_alu 0xfffe
	s_mul_u64 s[42:43], s[42:43], s[40:41]
	s_wait_alu 0xfffe
	s_mul_hi_u32 s45, s40, s43
	s_mul_i32 s44, s40, s43
	s_mul_hi_u32 s18, s40, s42
	s_mul_i32 s29, s41, s42
	s_wait_alu 0xfffe
	s_add_nc_u64 s[44:45], s[18:19], s[44:45]
	s_mul_hi_u32 s2, s41, s42
	s_mul_hi_u32 s31, s41, s43
	s_wait_alu 0xfffe
	s_add_co_u32 s18, s44, s29
	s_add_co_ci_u32 s18, s45, s2
	s_mul_i32 s42, s41, s43
	s_add_co_ci_u32 s43, s31, 0
	s_wait_alu 0xfffe
	s_add_nc_u64 s[42:43], s[18:19], s[42:43]
	s_wait_alu 0xfffe
	s_add_co_u32 s2, s40, s42
	s_cselect_b32 s18, -1, 0
	s_wait_alu 0xfffe
	v_mul_hi_u32 v16, v5, s2
	s_cmp_lg_u32 s18, 0
	v_mad_co_u64_u32 v[12:13], null, v8, s2, 0
	s_add_co_ci_u32 s18, s41, s43
	s_wait_alu 0xfffe
	v_mad_co_u64_u32 v[10:11], null, v5, s18, 0
	v_mad_co_u64_u32 v[14:15], null, v8, s18, 0
	s_delay_alu instid0(VALU_DEP_2) | instskip(SKIP_1) | instid1(VALU_DEP_3)
	v_add_co_u32 v10, vcc_lo, v16, v10
	s_wait_alu 0xfffd
	v_add_co_ci_u32_e64 v11, null, 0, v11, vcc_lo
	s_delay_alu instid0(VALU_DEP_2) | instskip(SKIP_1) | instid1(VALU_DEP_2)
	v_add_co_u32 v10, vcc_lo, v10, v12
	s_wait_alu 0xfffd
	v_add_co_ci_u32_e32 v10, vcc_lo, v11, v13, vcc_lo
	s_wait_alu 0xfffd
	v_add_co_ci_u32_e32 v11, vcc_lo, 0, v15, vcc_lo
	s_delay_alu instid0(VALU_DEP_2) | instskip(SKIP_1) | instid1(VALU_DEP_2)
	v_add_co_u32 v12, vcc_lo, v10, v14
	s_wait_alu 0xfffd
	v_add_co_ci_u32_e64 v13, null, 0, v11, vcc_lo
	s_delay_alu instid0(VALU_DEP_2) | instskip(SKIP_1) | instid1(VALU_DEP_3)
	v_mul_lo_u32 v14, s39, v12
	v_mad_co_u64_u32 v[10:11], null, s38, v12, 0
	v_mul_lo_u32 v15, s38, v13
	s_delay_alu instid0(VALU_DEP_2) | instskip(NEXT) | instid1(VALU_DEP_2)
	v_sub_co_u32 v5, vcc_lo, v5, v10
	v_add3_u32 v11, v11, v15, v14
	s_delay_alu instid0(VALU_DEP_1) | instskip(SKIP_2) | instid1(VALU_DEP_2)
	v_sub_nc_u32_e32 v14, v8, v11
	s_wait_alu 0xfffd
	v_sub_co_ci_u32_e64 v8, null, v8, v11, vcc_lo
	v_subrev_co_ci_u32_e64 v10, null, s39, v14, vcc_lo
	v_add_co_u32 v14, s2, v12, 2
	s_wait_alu 0xf1ff
	v_add_co_ci_u32_e64 v15, null, 0, v13, s2
	v_sub_co_u32 v16, s2, v5, s38
	s_wait_alu 0xf1ff
	v_subrev_co_ci_u32_e64 v10, null, 0, v10, s2
	s_delay_alu instid0(VALU_DEP_2) | instskip(SKIP_2) | instid1(VALU_DEP_3)
	v_cmp_le_u32_e32 vcc_lo, s38, v16
	s_wait_alu 0xfffd
	v_cndmask_b32_e64 v11, 0, -1, vcc_lo
	v_cmp_le_u32_e32 vcc_lo, s39, v10
	s_wait_alu 0xfffd
	v_cndmask_b32_e64 v16, 0, -1, vcc_lo
	;; [unrolled: 3-line block ×4, first 2 shown]
	v_cmp_eq_u32_e32 vcc_lo, s39, v10
	s_wait_alu 0xfffd
	v_cndmask_b32_e32 v10, v16, v11, vcc_lo
	v_add_co_u32 v11, vcc_lo, v12, 1
	s_wait_alu 0xfffd
	v_add_co_ci_u32_e64 v16, null, 0, v13, vcc_lo
	v_cmp_eq_u32_e32 vcc_lo, s39, v8
	s_wait_alu 0xfffd
	v_cndmask_b32_e32 v5, v17, v5, vcc_lo
	v_cmp_ne_u32_e32 vcc_lo, 0, v10
	s_delay_alu instid0(VALU_DEP_2) | instskip(SKIP_3) | instid1(VALU_DEP_1)
	v_cmp_ne_u32_e64 s2, 0, v5
	s_wait_alu 0xfffd
	v_dual_cndmask_b32 v8, v16, v15 :: v_dual_cndmask_b32 v5, v11, v14
	s_wait_alu 0xf1ff
	v_cndmask_b32_e64 v8, v13, v8, s2
	s_delay_alu instid0(VALU_DEP_2) | instskip(NEXT) | instid1(VALU_DEP_2)
	v_cndmask_b32_e64 v5, v12, v5, s2
	v_xor_b32_e32 v8, v8, v3
	s_delay_alu instid0(VALU_DEP_2) | instskip(NEXT) | instid1(VALU_DEP_1)
	v_xor_b32_e32 v5, v5, v3
	v_sub_co_u32 v11, vcc_lo, v5, v3
	s_wait_alu 0xfffd
	s_delay_alu instid0(VALU_DEP_3)
	v_sub_co_ci_u32_e64 v12, null, v8, v3, vcc_lo
.LBB0_28:                               ;   in Loop: Header=BB0_22 Depth=2
	s_wait_alu 0xfffe
	s_and_not1_saveexec_b32 s2, s27
	s_cbranch_execz .LBB0_30
; %bb.29:                               ;   in Loop: Header=BB0_22 Depth=2
	v_cvt_f32_u32_e32 v3, s30
	s_sub_co_i32 s18, 0, s30
	v_mov_b32_e32 v12, v2
	s_delay_alu instid0(VALU_DEP_2) | instskip(NEXT) | instid1(TRANS32_DEP_1)
	v_rcp_iflag_f32_e32 v3, v3
	v_mul_f32_e32 v3, 0x4f7ffffe, v3
	s_delay_alu instid0(VALU_DEP_1) | instskip(SKIP_1) | instid1(VALU_DEP_1)
	v_cvt_u32_f32_e32 v3, v3
	s_wait_alu 0xfffe
	v_mul_lo_u32 v5, s18, v3
	s_delay_alu instid0(VALU_DEP_1) | instskip(NEXT) | instid1(VALU_DEP_1)
	v_mul_hi_u32 v5, v3, v5
	v_add_nc_u32_e32 v3, v3, v5
	s_delay_alu instid0(VALU_DEP_1) | instskip(NEXT) | instid1(VALU_DEP_1)
	v_mul_hi_u32 v3, v9, v3
	v_mul_lo_u32 v5, v3, s30
	s_delay_alu instid0(VALU_DEP_1) | instskip(NEXT) | instid1(VALU_DEP_1)
	v_sub_nc_u32_e32 v5, v9, v5
	v_subrev_nc_u32_e32 v10, s30, v5
	v_cmp_le_u32_e32 vcc_lo, s30, v5
	s_wait_alu 0xfffd
	s_delay_alu instid0(VALU_DEP_2) | instskip(NEXT) | instid1(VALU_DEP_1)
	v_dual_cndmask_b32 v5, v5, v10 :: v_dual_add_nc_u32 v8, 1, v3
	v_cndmask_b32_e32 v3, v3, v8, vcc_lo
	s_delay_alu instid0(VALU_DEP_2) | instskip(NEXT) | instid1(VALU_DEP_2)
	v_cmp_le_u32_e32 vcc_lo, s30, v5
	v_add_nc_u32_e32 v8, 1, v3
	s_wait_alu 0xfffd
	s_delay_alu instid0(VALU_DEP_1)
	v_cndmask_b32_e32 v11, v3, v8, vcc_lo
.LBB0_30:                               ;   in Loop: Header=BB0_22 Depth=2
	s_wait_alu 0xfffe
	s_or_b32 exec_lo, exec_lo, s2
	s_add_co_i32 s18, s26, 5
	s_add_nc_u64 s[36:37], s[0:1], s[36:37]
	s_wait_alu 0xfffe
	s_lshl_b64 s[38:39], s[18:19], 2
                                        ; implicit-def: $vgpr13_vgpr14
	s_mov_b32 s2, exec_lo
	s_wait_alu 0xfffe
	s_add_nc_u64 s[34:35], s[10:11], s[38:39]
	s_clause 0x1
	s_load_b32 s29, s[36:37], 0x6c
	s_load_b32 s34, s[34:35], 0x8
	s_wait_kmcnt 0x0
	s_ashr_i32 s35, s34, 31
	s_wait_alu 0xfffe
	v_or_b32_e32 v3, s35, v12
	s_delay_alu instid0(VALU_DEP_1)
	v_cmpx_ne_u64_e32 0, v[2:3]
	s_xor_b32 s27, exec_lo, s2
	s_cbranch_execz .LBB0_32
; %bb.31:                               ;   in Loop: Header=BB0_22 Depth=2
	s_ashr_i32 s36, s35, 31
	v_ashrrev_i32_e32 v3, 31, v12
	s_wait_alu 0xfffe
	s_mov_b32 s37, s36
	s_wait_alu 0xfffe
	s_add_nc_u64 s[40:41], s[34:35], s[36:37]
	v_add_co_u32 v5, vcc_lo, v11, v3
	s_wait_alu 0xfffe
	s_xor_b64 s[40:41], s[40:41], s[36:37]
	s_wait_alu 0xfffd
	v_add_co_ci_u32_e64 v8, null, v12, v3, vcc_lo
	s_wait_alu 0xfffe
	s_cvt_f32_u32 s2, s40
	s_cvt_f32_u32 s18, s41
	s_sub_nc_u64 s[44:45], 0, s[40:41]
	v_xor_b32_e32 v5, v5, v3
	v_xor_b32_e32 v8, v8, v3
	s_wait_alu 0xfffe
	s_fmamk_f32 s2, s18, 0x4f800000, s2
	v_xor_b32_e32 v3, s36, v3
	s_wait_alu 0xfffe
	s_delay_alu instid0(SALU_CYCLE_1) | instskip(NEXT) | instid1(TRANS32_DEP_1)
	v_s_rcp_f32 s2, s2
	s_mul_f32 s2, s2, 0x5f7ffffc
	s_wait_alu 0xfffe
	s_delay_alu instid0(SALU_CYCLE_2) | instskip(SKIP_1) | instid1(SALU_CYCLE_2)
	s_mul_f32 s18, s2, 0x2f800000
	s_wait_alu 0xfffe
	s_trunc_f32 s18, s18
	s_wait_alu 0xfffe
	s_delay_alu instid0(SALU_CYCLE_2) | instskip(SKIP_2) | instid1(SALU_CYCLE_1)
	s_fmamk_f32 s2, s18, 0xcf800000, s2
	s_cvt_u32_f32 s43, s18
	s_wait_alu 0xfffe
	s_cvt_u32_f32 s42, s2
	s_wait_alu 0xfffe
	s_delay_alu instid0(SALU_CYCLE_2)
	s_mul_u64 s[46:47], s[44:45], s[42:43]
	s_wait_alu 0xfffe
	s_mul_hi_u32 s49, s42, s47
	s_mul_i32 s48, s42, s47
	s_mul_hi_u32 s18, s42, s46
	s_mul_i32 s31, s43, s46
	s_wait_alu 0xfffe
	s_add_nc_u64 s[48:49], s[18:19], s[48:49]
	s_mul_hi_u32 s2, s43, s46
	s_mul_hi_u32 s35, s43, s47
	s_wait_alu 0xfffe
	s_add_co_u32 s18, s48, s31
	s_add_co_ci_u32 s18, s49, s2
	s_mul_i32 s46, s43, s47
	s_add_co_ci_u32 s47, s35, 0
	s_wait_alu 0xfffe
	s_add_nc_u64 s[46:47], s[18:19], s[46:47]
	s_wait_alu 0xfffe
	s_add_co_u32 s42, s42, s46
	s_cselect_b32 s2, -1, 0
	s_wait_alu 0xfffe
	s_cmp_lg_u32 s2, 0
	s_add_co_ci_u32 s43, s43, s47
	s_wait_alu 0xfffe
	s_mul_u64 s[44:45], s[44:45], s[42:43]
	s_wait_alu 0xfffe
	s_mul_hi_u32 s47, s42, s45
	s_mul_i32 s46, s42, s45
	s_mul_hi_u32 s18, s42, s44
	s_mul_i32 s31, s43, s44
	s_wait_alu 0xfffe
	s_add_nc_u64 s[46:47], s[18:19], s[46:47]
	s_mul_hi_u32 s2, s43, s44
	s_mul_hi_u32 s35, s43, s45
	s_wait_alu 0xfffe
	s_add_co_u32 s18, s46, s31
	s_add_co_ci_u32 s18, s47, s2
	s_mul_i32 s44, s43, s45
	s_add_co_ci_u32 s45, s35, 0
	s_wait_alu 0xfffe
	s_add_nc_u64 s[44:45], s[18:19], s[44:45]
	s_wait_alu 0xfffe
	s_add_co_u32 s2, s42, s44
	s_cselect_b32 s18, -1, 0
	s_wait_alu 0xfffe
	v_mul_hi_u32 v10, v5, s2
	s_cmp_lg_u32 s18, 0
	v_mad_co_u64_u32 v[14:15], null, v8, s2, 0
	s_add_co_ci_u32 s18, s43, s45
	s_wait_alu 0xfffe
	v_mad_co_u64_u32 v[12:13], null, v5, s18, 0
	v_mad_co_u64_u32 v[16:17], null, v8, s18, 0
	s_delay_alu instid0(VALU_DEP_2) | instskip(SKIP_1) | instid1(VALU_DEP_3)
	v_add_co_u32 v10, vcc_lo, v10, v12
	s_wait_alu 0xfffd
	v_add_co_ci_u32_e64 v12, null, 0, v13, vcc_lo
	s_delay_alu instid0(VALU_DEP_2) | instskip(SKIP_1) | instid1(VALU_DEP_2)
	v_add_co_u32 v10, vcc_lo, v10, v14
	s_wait_alu 0xfffd
	v_add_co_ci_u32_e32 v10, vcc_lo, v12, v15, vcc_lo
	s_wait_alu 0xfffd
	v_add_co_ci_u32_e32 v12, vcc_lo, 0, v17, vcc_lo
	s_delay_alu instid0(VALU_DEP_2) | instskip(SKIP_1) | instid1(VALU_DEP_2)
	v_add_co_u32 v10, vcc_lo, v10, v16
	s_wait_alu 0xfffd
	v_add_co_ci_u32_e64 v14, null, 0, v12, vcc_lo
	s_delay_alu instid0(VALU_DEP_2) | instskip(SKIP_1) | instid1(VALU_DEP_3)
	v_mul_lo_u32 v15, s41, v10
	v_mad_co_u64_u32 v[12:13], null, s40, v10, 0
	v_mul_lo_u32 v16, s40, v14
	s_delay_alu instid0(VALU_DEP_2) | instskip(NEXT) | instid1(VALU_DEP_2)
	v_sub_co_u32 v5, vcc_lo, v5, v12
	v_add3_u32 v13, v13, v16, v15
	s_delay_alu instid0(VALU_DEP_1) | instskip(SKIP_2) | instid1(VALU_DEP_2)
	v_sub_nc_u32_e32 v15, v8, v13
	s_wait_alu 0xfffd
	v_sub_co_ci_u32_e64 v8, null, v8, v13, vcc_lo
	v_subrev_co_ci_u32_e64 v12, null, s41, v15, vcc_lo
	v_add_co_u32 v15, s2, v10, 2
	s_wait_alu 0xf1ff
	v_add_co_ci_u32_e64 v16, null, 0, v14, s2
	v_sub_co_u32 v17, s2, v5, s40
	s_wait_alu 0xf1ff
	v_subrev_co_ci_u32_e64 v12, null, 0, v12, s2
	s_delay_alu instid0(VALU_DEP_2) | instskip(SKIP_2) | instid1(VALU_DEP_3)
	v_cmp_le_u32_e32 vcc_lo, s40, v17
	s_wait_alu 0xfffd
	v_cndmask_b32_e64 v13, 0, -1, vcc_lo
	v_cmp_le_u32_e32 vcc_lo, s41, v12
	s_wait_alu 0xfffd
	v_cndmask_b32_e64 v17, 0, -1, vcc_lo
	;; [unrolled: 3-line block ×4, first 2 shown]
	v_cmp_eq_u32_e32 vcc_lo, s41, v12
	s_wait_alu 0xfffd
	v_cndmask_b32_e32 v12, v17, v13, vcc_lo
	v_add_co_u32 v13, vcc_lo, v10, 1
	s_wait_alu 0xfffd
	v_add_co_ci_u32_e64 v17, null, 0, v14, vcc_lo
	v_cmp_eq_u32_e32 vcc_lo, s41, v8
	s_wait_alu 0xfffd
	v_cndmask_b32_e32 v5, v18, v5, vcc_lo
	v_cmp_ne_u32_e32 vcc_lo, 0, v12
	s_wait_alu 0xfffd
	v_cndmask_b32_e32 v8, v17, v16, vcc_lo
	s_delay_alu instid0(VALU_DEP_3) | instskip(SKIP_2) | instid1(VALU_DEP_2)
	v_cmp_ne_u32_e64 s2, 0, v5
	v_cndmask_b32_e32 v5, v13, v15, vcc_lo
	s_wait_alu 0xf1ff
	v_cndmask_b32_e64 v8, v14, v8, s2
	s_delay_alu instid0(VALU_DEP_2) | instskip(NEXT) | instid1(VALU_DEP_2)
	v_cndmask_b32_e64 v5, v10, v5, s2
	v_xor_b32_e32 v8, v8, v3
	s_delay_alu instid0(VALU_DEP_2) | instskip(NEXT) | instid1(VALU_DEP_1)
	v_xor_b32_e32 v5, v5, v3
	v_sub_co_u32 v13, vcc_lo, v5, v3
	s_wait_alu 0xfffd
	s_delay_alu instid0(VALU_DEP_3)
	v_sub_co_ci_u32_e64 v14, null, v8, v3, vcc_lo
.LBB0_32:                               ;   in Loop: Header=BB0_22 Depth=2
	s_wait_alu 0xfffe
	s_and_not1_saveexec_b32 s2, s27
	s_cbranch_execz .LBB0_34
; %bb.33:                               ;   in Loop: Header=BB0_22 Depth=2
	v_cvt_f32_u32_e32 v3, s34
	s_sub_co_i32 s18, 0, s34
	v_mov_b32_e32 v14, v2
	s_delay_alu instid0(VALU_DEP_2) | instskip(NEXT) | instid1(TRANS32_DEP_1)
	v_rcp_iflag_f32_e32 v3, v3
	v_mul_f32_e32 v3, 0x4f7ffffe, v3
	s_delay_alu instid0(VALU_DEP_1) | instskip(SKIP_1) | instid1(VALU_DEP_1)
	v_cvt_u32_f32_e32 v3, v3
	s_wait_alu 0xfffe
	v_mul_lo_u32 v5, s18, v3
	s_delay_alu instid0(VALU_DEP_1) | instskip(NEXT) | instid1(VALU_DEP_1)
	v_mul_hi_u32 v5, v3, v5
	v_add_nc_u32_e32 v3, v3, v5
	s_delay_alu instid0(VALU_DEP_1) | instskip(NEXT) | instid1(VALU_DEP_1)
	v_mul_hi_u32 v3, v11, v3
	v_mul_lo_u32 v5, v3, s34
	s_delay_alu instid0(VALU_DEP_1) | instskip(NEXT) | instid1(VALU_DEP_1)
	v_sub_nc_u32_e32 v5, v11, v5
	v_subrev_nc_u32_e32 v10, s34, v5
	v_cmp_le_u32_e32 vcc_lo, s34, v5
	s_wait_alu 0xfffd
	s_delay_alu instid0(VALU_DEP_2) | instskip(NEXT) | instid1(VALU_DEP_1)
	v_dual_cndmask_b32 v5, v5, v10 :: v_dual_add_nc_u32 v8, 1, v3
	v_cndmask_b32_e32 v3, v3, v8, vcc_lo
	s_delay_alu instid0(VALU_DEP_2) | instskip(NEXT) | instid1(VALU_DEP_2)
	v_cmp_le_u32_e32 vcc_lo, s34, v5
	v_add_nc_u32_e32 v8, 1, v3
	s_wait_alu 0xfffd
	s_delay_alu instid0(VALU_DEP_1)
	v_cndmask_b32_e32 v13, v3, v8, vcc_lo
.LBB0_34:                               ;   in Loop: Header=BB0_22 Depth=2
	s_wait_alu 0xfffe
	s_or_b32 exec_lo, exec_lo, s2
	s_add_co_i32 s18, s26, 4
	s_add_nc_u64 s[38:39], s[0:1], s[38:39]
	s_wait_alu 0xfffe
	s_lshl_b64 s[40:41], s[18:19], 2
                                        ; implicit-def: $vgpr15_vgpr16
	s_mov_b32 s2, exec_lo
	s_wait_alu 0xfffe
	s_add_nc_u64 s[36:37], s[10:11], s[40:41]
	s_clause 0x1
	s_load_b32 s31, s[38:39], 0x6c
	s_load_b32 s36, s[36:37], 0x8
	s_wait_kmcnt 0x0
	s_ashr_i32 s37, s36, 31
	s_wait_alu 0xfffe
	v_or_b32_e32 v3, s37, v14
	s_delay_alu instid0(VALU_DEP_1)
	v_cmpx_ne_u64_e32 0, v[2:3]
	s_xor_b32 s27, exec_lo, s2
	s_cbranch_execz .LBB0_36
; %bb.35:                               ;   in Loop: Header=BB0_22 Depth=2
	s_ashr_i32 s38, s37, 31
	v_ashrrev_i32_e32 v3, 31, v14
	s_wait_alu 0xfffe
	s_mov_b32 s39, s38
	s_wait_alu 0xfffe
	s_add_nc_u64 s[42:43], s[36:37], s[38:39]
	v_add_co_u32 v5, vcc_lo, v13, v3
	s_wait_alu 0xfffe
	s_xor_b64 s[42:43], s[42:43], s[38:39]
	s_wait_alu 0xfffd
	v_add_co_ci_u32_e64 v8, null, v14, v3, vcc_lo
	s_wait_alu 0xfffe
	s_cvt_f32_u32 s2, s42
	s_cvt_f32_u32 s18, s43
	s_sub_nc_u64 s[46:47], 0, s[42:43]
	v_xor_b32_e32 v5, v5, v3
	v_xor_b32_e32 v8, v8, v3
	s_wait_alu 0xfffe
	s_fmamk_f32 s2, s18, 0x4f800000, s2
	v_xor_b32_e32 v3, s38, v3
	s_wait_alu 0xfffe
	s_delay_alu instid0(SALU_CYCLE_1) | instskip(NEXT) | instid1(TRANS32_DEP_1)
	v_s_rcp_f32 s2, s2
	s_mul_f32 s2, s2, 0x5f7ffffc
	s_wait_alu 0xfffe
	s_delay_alu instid0(SALU_CYCLE_2) | instskip(SKIP_1) | instid1(SALU_CYCLE_2)
	s_mul_f32 s18, s2, 0x2f800000
	s_wait_alu 0xfffe
	s_trunc_f32 s18, s18
	s_wait_alu 0xfffe
	s_delay_alu instid0(SALU_CYCLE_2) | instskip(SKIP_2) | instid1(SALU_CYCLE_1)
	s_fmamk_f32 s2, s18, 0xcf800000, s2
	s_cvt_u32_f32 s45, s18
	s_wait_alu 0xfffe
	s_cvt_u32_f32 s44, s2
	s_wait_alu 0xfffe
	s_delay_alu instid0(SALU_CYCLE_2)
	s_mul_u64 s[48:49], s[46:47], s[44:45]
	s_wait_alu 0xfffe
	s_mul_hi_u32 s51, s44, s49
	s_mul_i32 s50, s44, s49
	s_mul_hi_u32 s18, s44, s48
	s_mul_i32 s35, s45, s48
	s_wait_alu 0xfffe
	s_add_nc_u64 s[50:51], s[18:19], s[50:51]
	s_mul_hi_u32 s2, s45, s48
	s_mul_hi_u32 s37, s45, s49
	s_wait_alu 0xfffe
	s_add_co_u32 s18, s50, s35
	s_add_co_ci_u32 s18, s51, s2
	s_mul_i32 s48, s45, s49
	s_add_co_ci_u32 s49, s37, 0
	s_wait_alu 0xfffe
	s_add_nc_u64 s[48:49], s[18:19], s[48:49]
	s_wait_alu 0xfffe
	s_add_co_u32 s44, s44, s48
	s_cselect_b32 s2, -1, 0
	s_wait_alu 0xfffe
	s_cmp_lg_u32 s2, 0
	s_add_co_ci_u32 s45, s45, s49
	s_wait_alu 0xfffe
	s_mul_u64 s[46:47], s[46:47], s[44:45]
	s_wait_alu 0xfffe
	s_mul_hi_u32 s49, s44, s47
	s_mul_i32 s48, s44, s47
	s_mul_hi_u32 s18, s44, s46
	s_mul_i32 s35, s45, s46
	s_wait_alu 0xfffe
	s_add_nc_u64 s[48:49], s[18:19], s[48:49]
	s_mul_hi_u32 s2, s45, s46
	s_mul_hi_u32 s37, s45, s47
	s_wait_alu 0xfffe
	s_add_co_u32 s18, s48, s35
	s_add_co_ci_u32 s18, s49, s2
	s_mul_i32 s46, s45, s47
	s_add_co_ci_u32 s47, s37, 0
	s_wait_alu 0xfffe
	s_add_nc_u64 s[46:47], s[18:19], s[46:47]
	s_wait_alu 0xfffe
	s_add_co_u32 s2, s44, s46
	s_cselect_b32 s18, -1, 0
	s_wait_alu 0xfffe
	v_mul_hi_u32 v10, v5, s2
	s_cmp_lg_u32 s18, 0
	v_mad_co_u64_u32 v[16:17], null, v8, s2, 0
	s_add_co_ci_u32 s18, s45, s47
	s_wait_alu 0xfffe
	v_mad_co_u64_u32 v[14:15], null, v5, s18, 0
	v_mad_co_u64_u32 v[18:19], null, v8, s18, 0
	s_delay_alu instid0(VALU_DEP_2) | instskip(SKIP_1) | instid1(VALU_DEP_3)
	v_add_co_u32 v10, vcc_lo, v10, v14
	s_wait_alu 0xfffd
	v_add_co_ci_u32_e64 v12, null, 0, v15, vcc_lo
	s_delay_alu instid0(VALU_DEP_2) | instskip(SKIP_1) | instid1(VALU_DEP_2)
	v_add_co_u32 v10, vcc_lo, v10, v16
	s_wait_alu 0xfffd
	v_add_co_ci_u32_e32 v10, vcc_lo, v12, v17, vcc_lo
	s_wait_alu 0xfffd
	v_add_co_ci_u32_e32 v12, vcc_lo, 0, v19, vcc_lo
	s_delay_alu instid0(VALU_DEP_2) | instskip(SKIP_1) | instid1(VALU_DEP_2)
	v_add_co_u32 v10, vcc_lo, v10, v18
	s_wait_alu 0xfffd
	v_add_co_ci_u32_e64 v12, null, 0, v12, vcc_lo
	s_delay_alu instid0(VALU_DEP_2) | instskip(SKIP_1) | instid1(VALU_DEP_3)
	v_mul_lo_u32 v16, s43, v10
	v_mad_co_u64_u32 v[14:15], null, s42, v10, 0
	v_mul_lo_u32 v17, s42, v12
	s_delay_alu instid0(VALU_DEP_2) | instskip(NEXT) | instid1(VALU_DEP_2)
	v_sub_co_u32 v5, vcc_lo, v5, v14
	v_add3_u32 v15, v15, v17, v16
	s_delay_alu instid0(VALU_DEP_1) | instskip(SKIP_2) | instid1(VALU_DEP_2)
	v_sub_nc_u32_e32 v16, v8, v15
	s_wait_alu 0xfffd
	v_sub_co_ci_u32_e64 v8, null, v8, v15, vcc_lo
	v_subrev_co_ci_u32_e64 v14, null, s43, v16, vcc_lo
	v_add_co_u32 v16, s2, v10, 2
	s_wait_alu 0xf1ff
	v_add_co_ci_u32_e64 v17, null, 0, v12, s2
	v_sub_co_u32 v18, s2, v5, s42
	s_wait_alu 0xf1ff
	v_subrev_co_ci_u32_e64 v14, null, 0, v14, s2
	s_delay_alu instid0(VALU_DEP_2) | instskip(SKIP_2) | instid1(VALU_DEP_3)
	v_cmp_le_u32_e32 vcc_lo, s42, v18
	s_wait_alu 0xfffd
	v_cndmask_b32_e64 v15, 0, -1, vcc_lo
	v_cmp_le_u32_e32 vcc_lo, s43, v14
	s_wait_alu 0xfffd
	v_cndmask_b32_e64 v18, 0, -1, vcc_lo
	;; [unrolled: 3-line block ×4, first 2 shown]
	v_cmp_eq_u32_e32 vcc_lo, s43, v14
	s_wait_alu 0xfffd
	v_cndmask_b32_e32 v14, v18, v15, vcc_lo
	v_add_co_u32 v15, vcc_lo, v10, 1
	s_wait_alu 0xfffd
	v_add_co_ci_u32_e64 v18, null, 0, v12, vcc_lo
	v_cmp_eq_u32_e32 vcc_lo, s43, v8
	s_wait_alu 0xfffd
	v_cndmask_b32_e32 v5, v19, v5, vcc_lo
	v_cmp_ne_u32_e32 vcc_lo, 0, v14
	s_delay_alu instid0(VALU_DEP_2) | instskip(SKIP_3) | instid1(VALU_DEP_1)
	v_cmp_ne_u32_e64 s2, 0, v5
	s_wait_alu 0xfffd
	v_dual_cndmask_b32 v8, v18, v17 :: v_dual_cndmask_b32 v5, v15, v16
	s_wait_alu 0xf1ff
	v_cndmask_b32_e64 v8, v12, v8, s2
	s_delay_alu instid0(VALU_DEP_2) | instskip(NEXT) | instid1(VALU_DEP_2)
	v_cndmask_b32_e64 v5, v10, v5, s2
	v_xor_b32_e32 v8, v8, v3
	s_delay_alu instid0(VALU_DEP_2) | instskip(NEXT) | instid1(VALU_DEP_1)
	v_xor_b32_e32 v5, v5, v3
	v_sub_co_u32 v15, vcc_lo, v5, v3
	s_wait_alu 0xfffd
	s_delay_alu instid0(VALU_DEP_3)
	v_sub_co_ci_u32_e64 v16, null, v8, v3, vcc_lo
.LBB0_36:                               ;   in Loop: Header=BB0_22 Depth=2
	s_wait_alu 0xfffe
	s_and_not1_saveexec_b32 s2, s27
	s_cbranch_execz .LBB0_38
; %bb.37:                               ;   in Loop: Header=BB0_22 Depth=2
	v_cvt_f32_u32_e32 v3, s36
	s_sub_co_i32 s18, 0, s36
	v_mov_b32_e32 v16, v2
	s_delay_alu instid0(VALU_DEP_2) | instskip(NEXT) | instid1(TRANS32_DEP_1)
	v_rcp_iflag_f32_e32 v3, v3
	v_mul_f32_e32 v3, 0x4f7ffffe, v3
	s_delay_alu instid0(VALU_DEP_1) | instskip(SKIP_1) | instid1(VALU_DEP_1)
	v_cvt_u32_f32_e32 v3, v3
	s_wait_alu 0xfffe
	v_mul_lo_u32 v5, s18, v3
	s_delay_alu instid0(VALU_DEP_1) | instskip(NEXT) | instid1(VALU_DEP_1)
	v_mul_hi_u32 v5, v3, v5
	v_add_nc_u32_e32 v3, v3, v5
	s_delay_alu instid0(VALU_DEP_1) | instskip(NEXT) | instid1(VALU_DEP_1)
	v_mul_hi_u32 v3, v13, v3
	v_mul_lo_u32 v5, v3, s36
	s_delay_alu instid0(VALU_DEP_1) | instskip(NEXT) | instid1(VALU_DEP_1)
	v_sub_nc_u32_e32 v5, v13, v5
	v_subrev_nc_u32_e32 v10, s36, v5
	v_cmp_le_u32_e32 vcc_lo, s36, v5
	s_wait_alu 0xfffd
	s_delay_alu instid0(VALU_DEP_2) | instskip(NEXT) | instid1(VALU_DEP_1)
	v_dual_cndmask_b32 v5, v5, v10 :: v_dual_add_nc_u32 v8, 1, v3
	v_cndmask_b32_e32 v3, v3, v8, vcc_lo
	s_delay_alu instid0(VALU_DEP_2) | instskip(NEXT) | instid1(VALU_DEP_2)
	v_cmp_le_u32_e32 vcc_lo, s36, v5
	v_add_nc_u32_e32 v8, 1, v3
	s_wait_alu 0xfffd
	s_delay_alu instid0(VALU_DEP_1)
	v_cndmask_b32_e32 v15, v3, v8, vcc_lo
.LBB0_38:                               ;   in Loop: Header=BB0_22 Depth=2
	s_wait_alu 0xfffe
	s_or_b32 exec_lo, exec_lo, s2
	s_add_co_i32 s18, s26, 3
	s_add_nc_u64 s[40:41], s[0:1], s[40:41]
	s_wait_alu 0xfffe
	s_lshl_b64 s[42:43], s[18:19], 2
                                        ; implicit-def: $vgpr17_vgpr18
	s_mov_b32 s2, exec_lo
	s_wait_alu 0xfffe
	s_add_nc_u64 s[38:39], s[10:11], s[42:43]
	s_clause 0x1
	s_load_b32 s35, s[40:41], 0x6c
	s_load_b32 s38, s[38:39], 0x8
	s_wait_kmcnt 0x0
	s_ashr_i32 s39, s38, 31
	s_wait_alu 0xfffe
	v_or_b32_e32 v3, s39, v16
	s_delay_alu instid0(VALU_DEP_1)
	v_cmpx_ne_u64_e32 0, v[2:3]
	s_xor_b32 s27, exec_lo, s2
	s_cbranch_execz .LBB0_40
; %bb.39:                               ;   in Loop: Header=BB0_22 Depth=2
	s_ashr_i32 s40, s39, 31
	v_ashrrev_i32_e32 v3, 31, v16
	s_wait_alu 0xfffe
	s_mov_b32 s41, s40
	s_wait_alu 0xfffe
	s_add_nc_u64 s[44:45], s[38:39], s[40:41]
	v_add_co_u32 v5, vcc_lo, v15, v3
	s_wait_alu 0xfffe
	s_xor_b64 s[44:45], s[44:45], s[40:41]
	s_wait_alu 0xfffd
	v_add_co_ci_u32_e64 v8, null, v16, v3, vcc_lo
	s_wait_alu 0xfffe
	s_cvt_f32_u32 s2, s44
	s_cvt_f32_u32 s18, s45
	s_sub_nc_u64 s[48:49], 0, s[44:45]
	v_xor_b32_e32 v5, v5, v3
	v_xor_b32_e32 v8, v8, v3
	s_wait_alu 0xfffe
	s_fmamk_f32 s2, s18, 0x4f800000, s2
	v_xor_b32_e32 v3, s40, v3
	s_wait_alu 0xfffe
	s_delay_alu instid0(SALU_CYCLE_1) | instskip(NEXT) | instid1(TRANS32_DEP_1)
	v_s_rcp_f32 s2, s2
	s_mul_f32 s2, s2, 0x5f7ffffc
	s_wait_alu 0xfffe
	s_delay_alu instid0(SALU_CYCLE_2) | instskip(SKIP_1) | instid1(SALU_CYCLE_2)
	s_mul_f32 s18, s2, 0x2f800000
	s_wait_alu 0xfffe
	s_trunc_f32 s18, s18
	s_wait_alu 0xfffe
	s_delay_alu instid0(SALU_CYCLE_2) | instskip(SKIP_2) | instid1(SALU_CYCLE_1)
	s_fmamk_f32 s2, s18, 0xcf800000, s2
	s_cvt_u32_f32 s47, s18
	s_wait_alu 0xfffe
	s_cvt_u32_f32 s46, s2
	s_wait_alu 0xfffe
	s_delay_alu instid0(SALU_CYCLE_2)
	s_mul_u64 s[50:51], s[48:49], s[46:47]
	s_wait_alu 0xfffe
	s_mul_hi_u32 s59, s46, s51
	s_mul_i32 s58, s46, s51
	s_mul_hi_u32 s18, s46, s50
	s_mul_i32 s37, s47, s50
	s_wait_alu 0xfffe
	s_add_nc_u64 s[58:59], s[18:19], s[58:59]
	s_mul_hi_u32 s2, s47, s50
	s_mul_hi_u32 s39, s47, s51
	s_add_co_u32 s18, s58, s37
	s_wait_alu 0xfffe
	s_add_co_ci_u32 s18, s59, s2
	s_mul_i32 s50, s47, s51
	s_add_co_ci_u32 s51, s39, 0
	s_wait_alu 0xfffe
	s_add_nc_u64 s[50:51], s[18:19], s[50:51]
	s_wait_alu 0xfffe
	s_add_co_u32 s46, s46, s50
	s_cselect_b32 s2, -1, 0
	s_wait_alu 0xfffe
	s_cmp_lg_u32 s2, 0
	s_add_co_ci_u32 s47, s47, s51
	s_wait_alu 0xfffe
	s_mul_u64 s[48:49], s[48:49], s[46:47]
	s_wait_alu 0xfffe
	s_mul_hi_u32 s51, s46, s49
	s_mul_i32 s50, s46, s49
	s_mul_hi_u32 s18, s46, s48
	s_mul_i32 s37, s47, s48
	s_wait_alu 0xfffe
	s_add_nc_u64 s[50:51], s[18:19], s[50:51]
	s_mul_hi_u32 s2, s47, s48
	s_mul_hi_u32 s39, s47, s49
	s_wait_alu 0xfffe
	s_add_co_u32 s18, s50, s37
	s_add_co_ci_u32 s18, s51, s2
	s_mul_i32 s48, s47, s49
	s_add_co_ci_u32 s49, s39, 0
	s_wait_alu 0xfffe
	s_add_nc_u64 s[48:49], s[18:19], s[48:49]
	s_wait_alu 0xfffe
	s_add_co_u32 s2, s46, s48
	s_cselect_b32 s18, -1, 0
	s_wait_alu 0xfffe
	v_mul_hi_u32 v10, v5, s2
	s_cmp_lg_u32 s18, 0
	v_mad_co_u64_u32 v[18:19], null, v8, s2, 0
	s_add_co_ci_u32 s18, s47, s49
	s_wait_alu 0xfffe
	v_mad_co_u64_u32 v[16:17], null, v5, s18, 0
	v_mad_co_u64_u32 v[20:21], null, v8, s18, 0
	s_delay_alu instid0(VALU_DEP_2) | instskip(SKIP_1) | instid1(VALU_DEP_3)
	v_add_co_u32 v10, vcc_lo, v10, v16
	s_wait_alu 0xfffd
	v_add_co_ci_u32_e64 v12, null, 0, v17, vcc_lo
	s_delay_alu instid0(VALU_DEP_2) | instskip(SKIP_1) | instid1(VALU_DEP_2)
	v_add_co_u32 v10, vcc_lo, v10, v18
	s_wait_alu 0xfffd
	v_add_co_ci_u32_e32 v10, vcc_lo, v12, v19, vcc_lo
	s_wait_alu 0xfffd
	v_add_co_ci_u32_e32 v12, vcc_lo, 0, v21, vcc_lo
	s_delay_alu instid0(VALU_DEP_2) | instskip(SKIP_1) | instid1(VALU_DEP_2)
	v_add_co_u32 v10, vcc_lo, v10, v20
	s_wait_alu 0xfffd
	v_add_co_ci_u32_e64 v12, null, 0, v12, vcc_lo
	s_delay_alu instid0(VALU_DEP_2) | instskip(SKIP_1) | instid1(VALU_DEP_3)
	v_mul_lo_u32 v14, s45, v10
	v_mad_co_u64_u32 v[16:17], null, s44, v10, 0
	v_mul_lo_u32 v18, s44, v12
	s_delay_alu instid0(VALU_DEP_2) | instskip(NEXT) | instid1(VALU_DEP_2)
	v_sub_co_u32 v5, vcc_lo, v5, v16
	v_add3_u32 v14, v17, v18, v14
	s_delay_alu instid0(VALU_DEP_1) | instskip(SKIP_2) | instid1(VALU_DEP_2)
	v_sub_nc_u32_e32 v17, v8, v14
	s_wait_alu 0xfffd
	v_sub_co_ci_u32_e64 v8, null, v8, v14, vcc_lo
	v_subrev_co_ci_u32_e64 v16, null, s45, v17, vcc_lo
	v_add_co_u32 v17, s2, v10, 2
	s_wait_alu 0xf1ff
	v_add_co_ci_u32_e64 v18, null, 0, v12, s2
	v_sub_co_u32 v19, s2, v5, s44
	s_wait_alu 0xf1ff
	v_subrev_co_ci_u32_e64 v16, null, 0, v16, s2
	s_delay_alu instid0(VALU_DEP_2) | instskip(SKIP_2) | instid1(VALU_DEP_3)
	v_cmp_le_u32_e32 vcc_lo, s44, v19
	s_wait_alu 0xfffd
	v_cndmask_b32_e64 v14, 0, -1, vcc_lo
	v_cmp_le_u32_e32 vcc_lo, s45, v16
	s_wait_alu 0xfffd
	v_cndmask_b32_e64 v19, 0, -1, vcc_lo
	;; [unrolled: 3-line block ×4, first 2 shown]
	v_cmp_eq_u32_e32 vcc_lo, s45, v16
	s_wait_alu 0xfffd
	v_cndmask_b32_e32 v14, v19, v14, vcc_lo
	v_add_co_u32 v16, vcc_lo, v10, 1
	s_wait_alu 0xfffd
	v_add_co_ci_u32_e64 v19, null, 0, v12, vcc_lo
	v_cmp_eq_u32_e32 vcc_lo, s45, v8
	s_wait_alu 0xfffd
	v_cndmask_b32_e32 v5, v20, v5, vcc_lo
	v_cmp_ne_u32_e32 vcc_lo, 0, v14
	s_delay_alu instid0(VALU_DEP_2) | instskip(SKIP_3) | instid1(VALU_DEP_1)
	v_cmp_ne_u32_e64 s2, 0, v5
	s_wait_alu 0xfffd
	v_dual_cndmask_b32 v8, v19, v18 :: v_dual_cndmask_b32 v5, v16, v17
	s_wait_alu 0xf1ff
	v_cndmask_b32_e64 v8, v12, v8, s2
	s_delay_alu instid0(VALU_DEP_2) | instskip(NEXT) | instid1(VALU_DEP_2)
	v_cndmask_b32_e64 v5, v10, v5, s2
	v_xor_b32_e32 v8, v8, v3
	s_delay_alu instid0(VALU_DEP_2) | instskip(NEXT) | instid1(VALU_DEP_1)
	v_xor_b32_e32 v5, v5, v3
	v_sub_co_u32 v17, vcc_lo, v5, v3
	s_wait_alu 0xfffd
	s_delay_alu instid0(VALU_DEP_3)
	v_sub_co_ci_u32_e64 v18, null, v8, v3, vcc_lo
.LBB0_40:                               ;   in Loop: Header=BB0_22 Depth=2
	s_wait_alu 0xfffe
	s_and_not1_saveexec_b32 s2, s27
	s_cbranch_execz .LBB0_42
; %bb.41:                               ;   in Loop: Header=BB0_22 Depth=2
	v_cvt_f32_u32_e32 v3, s38
	s_sub_co_i32 s18, 0, s38
	v_mov_b32_e32 v18, v2
	s_delay_alu instid0(VALU_DEP_2) | instskip(NEXT) | instid1(TRANS32_DEP_1)
	v_rcp_iflag_f32_e32 v3, v3
	v_mul_f32_e32 v3, 0x4f7ffffe, v3
	s_delay_alu instid0(VALU_DEP_1) | instskip(SKIP_1) | instid1(VALU_DEP_1)
	v_cvt_u32_f32_e32 v3, v3
	s_wait_alu 0xfffe
	v_mul_lo_u32 v5, s18, v3
	s_delay_alu instid0(VALU_DEP_1) | instskip(NEXT) | instid1(VALU_DEP_1)
	v_mul_hi_u32 v5, v3, v5
	v_add_nc_u32_e32 v3, v3, v5
	s_delay_alu instid0(VALU_DEP_1) | instskip(NEXT) | instid1(VALU_DEP_1)
	v_mul_hi_u32 v3, v15, v3
	v_mul_lo_u32 v5, v3, s38
	s_delay_alu instid0(VALU_DEP_1) | instskip(NEXT) | instid1(VALU_DEP_1)
	v_sub_nc_u32_e32 v5, v15, v5
	v_subrev_nc_u32_e32 v10, s38, v5
	v_cmp_le_u32_e32 vcc_lo, s38, v5
	s_wait_alu 0xfffd
	s_delay_alu instid0(VALU_DEP_2) | instskip(NEXT) | instid1(VALU_DEP_1)
	v_dual_cndmask_b32 v5, v5, v10 :: v_dual_add_nc_u32 v8, 1, v3
	v_cndmask_b32_e32 v3, v3, v8, vcc_lo
	s_delay_alu instid0(VALU_DEP_2) | instskip(NEXT) | instid1(VALU_DEP_2)
	v_cmp_le_u32_e32 vcc_lo, s38, v5
	v_add_nc_u32_e32 v8, 1, v3
	s_wait_alu 0xfffd
	s_delay_alu instid0(VALU_DEP_1)
	v_cndmask_b32_e32 v17, v3, v8, vcc_lo
.LBB0_42:                               ;   in Loop: Header=BB0_22 Depth=2
	s_wait_alu 0xfffe
	s_or_b32 exec_lo, exec_lo, s2
	s_add_co_i32 s18, s26, 2
	s_add_nc_u64 s[42:43], s[0:1], s[42:43]
	s_wait_alu 0xfffe
	s_lshl_b64 s[44:45], s[18:19], 2
                                        ; implicit-def: $vgpr19_vgpr20
	s_mov_b32 s2, exec_lo
	s_wait_alu 0xfffe
	s_add_nc_u64 s[40:41], s[10:11], s[44:45]
	s_clause 0x1
	s_load_b32 s37, s[42:43], 0x6c
	s_load_b32 s40, s[40:41], 0x8
	s_wait_kmcnt 0x0
	s_ashr_i32 s41, s40, 31
	s_wait_alu 0xfffe
	v_or_b32_e32 v3, s41, v18
	s_delay_alu instid0(VALU_DEP_1)
	v_cmpx_ne_u64_e32 0, v[2:3]
	s_xor_b32 s27, exec_lo, s2
	s_cbranch_execz .LBB0_44
; %bb.43:                               ;   in Loop: Header=BB0_22 Depth=2
	s_ashr_i32 s42, s41, 31
	v_ashrrev_i32_e32 v3, 31, v18
	s_wait_alu 0xfffe
	s_mov_b32 s43, s42
	s_wait_alu 0xfffe
	s_add_nc_u64 s[46:47], s[40:41], s[42:43]
	v_add_co_u32 v5, vcc_lo, v17, v3
	s_wait_alu 0xfffe
	s_xor_b64 s[46:47], s[46:47], s[42:43]
	s_wait_alu 0xfffd
	v_add_co_ci_u32_e64 v8, null, v18, v3, vcc_lo
	s_wait_alu 0xfffe
	s_cvt_f32_u32 s2, s46
	s_cvt_f32_u32 s18, s47
	s_sub_nc_u64 s[50:51], 0, s[46:47]
	v_xor_b32_e32 v5, v5, v3
	v_xor_b32_e32 v8, v8, v3
	s_wait_alu 0xfffe
	s_fmamk_f32 s2, s18, 0x4f800000, s2
	v_xor_b32_e32 v3, s42, v3
	s_wait_alu 0xfffe
	s_delay_alu instid0(SALU_CYCLE_1) | instskip(NEXT) | instid1(TRANS32_DEP_1)
	v_s_rcp_f32 s2, s2
	s_mul_f32 s2, s2, 0x5f7ffffc
	s_wait_alu 0xfffe
	s_delay_alu instid0(SALU_CYCLE_2) | instskip(SKIP_1) | instid1(SALU_CYCLE_2)
	s_mul_f32 s18, s2, 0x2f800000
	s_wait_alu 0xfffe
	s_trunc_f32 s18, s18
	s_wait_alu 0xfffe
	s_delay_alu instid0(SALU_CYCLE_2) | instskip(SKIP_2) | instid1(SALU_CYCLE_1)
	s_fmamk_f32 s2, s18, 0xcf800000, s2
	s_cvt_u32_f32 s49, s18
	s_wait_alu 0xfffe
	s_cvt_u32_f32 s48, s2
	s_wait_alu 0xfffe
	s_delay_alu instid0(SALU_CYCLE_2) | instskip(NEXT) | instid1(SALU_CYCLE_1)
	s_mul_u64 s[58:59], s[50:51], s[48:49]
	s_mul_hi_u32 s61, s48, s59
	s_mul_i32 s60, s48, s59
	s_mul_hi_u32 s18, s48, s58
	s_mul_i32 s39, s49, s58
	s_wait_alu 0xfffe
	s_add_nc_u64 s[60:61], s[18:19], s[60:61]
	s_mul_hi_u32 s2, s49, s58
	s_mul_hi_u32 s41, s49, s59
	s_add_co_u32 s18, s60, s39
	s_wait_alu 0xfffe
	s_add_co_ci_u32 s18, s61, s2
	s_mul_i32 s58, s49, s59
	s_add_co_ci_u32 s59, s41, 0
	s_wait_alu 0xfffe
	s_add_nc_u64 s[58:59], s[18:19], s[58:59]
	s_delay_alu instid0(SALU_CYCLE_1)
	s_add_co_u32 s48, s48, s58
	s_cselect_b32 s2, -1, 0
	s_wait_alu 0xfffe
	s_cmp_lg_u32 s2, 0
	s_add_co_ci_u32 s49, s49, s59
	s_wait_alu 0xfffe
	s_mul_u64 s[50:51], s[50:51], s[48:49]
	s_wait_alu 0xfffe
	s_mul_hi_u32 s59, s48, s51
	s_mul_i32 s58, s48, s51
	s_mul_hi_u32 s18, s48, s50
	s_mul_i32 s39, s49, s50
	s_wait_alu 0xfffe
	s_add_nc_u64 s[58:59], s[18:19], s[58:59]
	s_mul_hi_u32 s2, s49, s50
	s_mul_hi_u32 s41, s49, s51
	s_add_co_u32 s18, s58, s39
	s_wait_alu 0xfffe
	s_add_co_ci_u32 s18, s59, s2
	s_mul_i32 s50, s49, s51
	s_add_co_ci_u32 s51, s41, 0
	s_wait_alu 0xfffe
	s_add_nc_u64 s[50:51], s[18:19], s[50:51]
	s_wait_alu 0xfffe
	s_add_co_u32 s2, s48, s50
	s_cselect_b32 s18, -1, 0
	s_wait_alu 0xfffe
	v_mul_hi_u32 v10, v5, s2
	s_cmp_lg_u32 s18, 0
	v_mad_co_u64_u32 v[20:21], null, v8, s2, 0
	s_add_co_ci_u32 s18, s49, s51
	s_wait_alu 0xfffe
	v_mad_co_u64_u32 v[18:19], null, v5, s18, 0
	v_mad_co_u64_u32 v[22:23], null, v8, s18, 0
	s_delay_alu instid0(VALU_DEP_2) | instskip(SKIP_1) | instid1(VALU_DEP_3)
	v_add_co_u32 v10, vcc_lo, v10, v18
	s_wait_alu 0xfffd
	v_add_co_ci_u32_e64 v12, null, 0, v19, vcc_lo
	s_delay_alu instid0(VALU_DEP_2) | instskip(SKIP_1) | instid1(VALU_DEP_2)
	v_add_co_u32 v10, vcc_lo, v10, v20
	s_wait_alu 0xfffd
	v_add_co_ci_u32_e32 v10, vcc_lo, v12, v21, vcc_lo
	s_wait_alu 0xfffd
	v_add_co_ci_u32_e32 v12, vcc_lo, 0, v23, vcc_lo
	s_delay_alu instid0(VALU_DEP_2) | instskip(SKIP_1) | instid1(VALU_DEP_2)
	v_add_co_u32 v10, vcc_lo, v10, v22
	s_wait_alu 0xfffd
	v_add_co_ci_u32_e64 v12, null, 0, v12, vcc_lo
	s_delay_alu instid0(VALU_DEP_2) | instskip(SKIP_1) | instid1(VALU_DEP_3)
	v_mul_lo_u32 v14, s47, v10
	v_mad_co_u64_u32 v[18:19], null, s46, v10, 0
	v_mul_lo_u32 v16, s46, v12
	s_delay_alu instid0(VALU_DEP_2) | instskip(NEXT) | instid1(VALU_DEP_2)
	v_sub_co_u32 v5, vcc_lo, v5, v18
	v_add3_u32 v14, v19, v16, v14
	v_add_co_u32 v18, s2, v10, 2
	s_wait_alu 0xf1ff
	v_add_co_ci_u32_e64 v19, null, 0, v12, s2
	s_delay_alu instid0(VALU_DEP_3) | instskip(SKIP_3) | instid1(VALU_DEP_3)
	v_sub_nc_u32_e32 v16, v8, v14
	v_sub_co_u32 v20, s2, v5, s46
	s_wait_alu 0xfffd
	v_sub_co_ci_u32_e64 v8, null, v8, v14, vcc_lo
	v_subrev_co_ci_u32_e64 v16, null, s47, v16, vcc_lo
	s_delay_alu instid0(VALU_DEP_3) | instskip(SKIP_1) | instid1(VALU_DEP_2)
	v_cmp_le_u32_e32 vcc_lo, s46, v20
	s_wait_alu 0xf1ff
	v_subrev_co_ci_u32_e64 v16, null, 0, v16, s2
	s_wait_alu 0xfffd
	v_cndmask_b32_e64 v14, 0, -1, vcc_lo
	s_delay_alu instid0(VALU_DEP_2)
	v_cmp_le_u32_e32 vcc_lo, s47, v16
	s_wait_alu 0xfffd
	v_cndmask_b32_e64 v20, 0, -1, vcc_lo
	v_cmp_le_u32_e32 vcc_lo, s46, v5
	s_wait_alu 0xfffd
	v_cndmask_b32_e64 v5, 0, -1, vcc_lo
	;; [unrolled: 3-line block ×3, first 2 shown]
	v_cmp_eq_u32_e32 vcc_lo, s47, v16
	s_wait_alu 0xfffd
	v_cndmask_b32_e32 v14, v20, v14, vcc_lo
	v_add_co_u32 v16, vcc_lo, v10, 1
	s_wait_alu 0xfffd
	v_add_co_ci_u32_e64 v20, null, 0, v12, vcc_lo
	v_cmp_eq_u32_e32 vcc_lo, s47, v8
	s_wait_alu 0xfffd
	v_cndmask_b32_e32 v5, v21, v5, vcc_lo
	v_cmp_ne_u32_e32 vcc_lo, 0, v14
	s_delay_alu instid0(VALU_DEP_2) | instskip(SKIP_4) | instid1(VALU_DEP_2)
	v_cmp_ne_u32_e64 s2, 0, v5
	s_wait_alu 0xfffd
	v_cndmask_b32_e32 v5, v16, v18, vcc_lo
	v_cndmask_b32_e32 v8, v20, v19, vcc_lo
	s_wait_alu 0xf1ff
	v_cndmask_b32_e64 v5, v10, v5, s2
	s_delay_alu instid0(VALU_DEP_2) | instskip(NEXT) | instid1(VALU_DEP_2)
	v_cndmask_b32_e64 v8, v12, v8, s2
	v_xor_b32_e32 v5, v5, v3
	s_delay_alu instid0(VALU_DEP_2) | instskip(NEXT) | instid1(VALU_DEP_2)
	v_xor_b32_e32 v8, v8, v3
	v_sub_co_u32 v19, vcc_lo, v5, v3
	s_wait_alu 0xfffd
	s_delay_alu instid0(VALU_DEP_2)
	v_sub_co_ci_u32_e64 v20, null, v8, v3, vcc_lo
.LBB0_44:                               ;   in Loop: Header=BB0_22 Depth=2
	s_wait_alu 0xfffe
	s_and_not1_saveexec_b32 s2, s27
	s_cbranch_execz .LBB0_46
; %bb.45:                               ;   in Loop: Header=BB0_22 Depth=2
	v_cvt_f32_u32_e32 v3, s40
	s_sub_co_i32 s18, 0, s40
	v_mov_b32_e32 v20, v2
	s_delay_alu instid0(VALU_DEP_2) | instskip(NEXT) | instid1(TRANS32_DEP_1)
	v_rcp_iflag_f32_e32 v3, v3
	v_mul_f32_e32 v3, 0x4f7ffffe, v3
	s_delay_alu instid0(VALU_DEP_1) | instskip(SKIP_1) | instid1(VALU_DEP_1)
	v_cvt_u32_f32_e32 v3, v3
	s_wait_alu 0xfffe
	v_mul_lo_u32 v5, s18, v3
	s_delay_alu instid0(VALU_DEP_1) | instskip(NEXT) | instid1(VALU_DEP_1)
	v_mul_hi_u32 v5, v3, v5
	v_add_nc_u32_e32 v3, v3, v5
	s_delay_alu instid0(VALU_DEP_1) | instskip(NEXT) | instid1(VALU_DEP_1)
	v_mul_hi_u32 v3, v17, v3
	v_mul_lo_u32 v5, v3, s40
	s_delay_alu instid0(VALU_DEP_1) | instskip(NEXT) | instid1(VALU_DEP_1)
	v_sub_nc_u32_e32 v5, v17, v5
	v_subrev_nc_u32_e32 v10, s40, v5
	v_cmp_le_u32_e32 vcc_lo, s40, v5
	s_wait_alu 0xfffd
	s_delay_alu instid0(VALU_DEP_2) | instskip(NEXT) | instid1(VALU_DEP_1)
	v_dual_cndmask_b32 v5, v5, v10 :: v_dual_add_nc_u32 v8, 1, v3
	v_cndmask_b32_e32 v3, v3, v8, vcc_lo
	s_delay_alu instid0(VALU_DEP_2) | instskip(NEXT) | instid1(VALU_DEP_2)
	v_cmp_le_u32_e32 vcc_lo, s40, v5
	v_add_nc_u32_e32 v8, 1, v3
	s_wait_alu 0xfffd
	s_delay_alu instid0(VALU_DEP_1)
	v_cndmask_b32_e32 v19, v3, v8, vcc_lo
.LBB0_46:                               ;   in Loop: Header=BB0_22 Depth=2
	s_wait_alu 0xfffe
	s_or_b32 exec_lo, exec_lo, s2
	s_add_co_i32 s18, s26, 1
	s_add_nc_u64 s[44:45], s[0:1], s[44:45]
	s_wait_alu 0xfffe
	s_lshl_b64 s[48:49], s[18:19], 2
                                        ; implicit-def: $vgpr21_vgpr22
	s_mov_b32 s2, exec_lo
	s_wait_alu 0xfffe
	s_add_nc_u64 s[42:43], s[10:11], s[48:49]
	s_clause 0x1
	s_load_b32 s39, s[44:45], 0x6c
	s_load_b32 s42, s[42:43], 0x8
	s_wait_kmcnt 0x0
	s_ashr_i32 s43, s42, 31
	s_wait_alu 0xfffe
	v_or_b32_e32 v3, s43, v20
	s_delay_alu instid0(VALU_DEP_1)
	v_cmpx_ne_u64_e32 0, v[2:3]
	s_xor_b32 s27, exec_lo, s2
	s_cbranch_execz .LBB0_48
; %bb.47:                               ;   in Loop: Header=BB0_22 Depth=2
	s_ashr_i32 s44, s43, 31
	v_ashrrev_i32_e32 v3, 31, v20
	s_wait_alu 0xfffe
	s_mov_b32 s45, s44
	s_wait_alu 0xfffe
	s_add_nc_u64 s[46:47], s[42:43], s[44:45]
	v_add_co_u32 v5, vcc_lo, v19, v3
	s_wait_alu 0xfffe
	s_xor_b64 s[46:47], s[46:47], s[44:45]
	s_wait_alu 0xfffd
	v_add_co_ci_u32_e64 v8, null, v20, v3, vcc_lo
	s_wait_alu 0xfffe
	s_cvt_f32_u32 s2, s46
	s_cvt_f32_u32 s18, s47
	s_sub_nc_u64 s[58:59], 0, s[46:47]
	v_xor_b32_e32 v5, v5, v3
	v_xor_b32_e32 v8, v8, v3
	s_wait_alu 0xfffe
	s_fmamk_f32 s2, s18, 0x4f800000, s2
	v_xor_b32_e32 v3, s44, v3
	s_wait_alu 0xfffe
	s_delay_alu instid0(SALU_CYCLE_1) | instskip(NEXT) | instid1(TRANS32_DEP_1)
	v_s_rcp_f32 s2, s2
	s_mul_f32 s2, s2, 0x5f7ffffc
	s_wait_alu 0xfffe
	s_delay_alu instid0(SALU_CYCLE_2) | instskip(SKIP_1) | instid1(SALU_CYCLE_2)
	s_mul_f32 s18, s2, 0x2f800000
	s_wait_alu 0xfffe
	s_trunc_f32 s18, s18
	s_wait_alu 0xfffe
	s_delay_alu instid0(SALU_CYCLE_2) | instskip(SKIP_2) | instid1(SALU_CYCLE_1)
	s_fmamk_f32 s2, s18, 0xcf800000, s2
	s_cvt_u32_f32 s51, s18
	s_wait_alu 0xfffe
	s_cvt_u32_f32 s50, s2
	s_wait_alu 0xfffe
	s_delay_alu instid0(SALU_CYCLE_2) | instskip(NEXT) | instid1(SALU_CYCLE_1)
	s_mul_u64 s[60:61], s[58:59], s[50:51]
	s_mul_hi_u32 s63, s50, s61
	s_mul_i32 s62, s50, s61
	s_mul_hi_u32 s18, s50, s60
	s_mul_i32 s41, s51, s60
	s_wait_alu 0xfffe
	s_add_nc_u64 s[62:63], s[18:19], s[62:63]
	s_mul_hi_u32 s2, s51, s60
	s_mul_hi_u32 s43, s51, s61
	s_add_co_u32 s18, s62, s41
	s_wait_alu 0xfffe
	s_add_co_ci_u32 s18, s63, s2
	s_mul_i32 s60, s51, s61
	s_add_co_ci_u32 s61, s43, 0
	s_wait_alu 0xfffe
	s_add_nc_u64 s[60:61], s[18:19], s[60:61]
	s_delay_alu instid0(SALU_CYCLE_1)
	s_add_co_u32 s50, s50, s60
	s_cselect_b32 s2, -1, 0
	s_wait_alu 0xfffe
	s_cmp_lg_u32 s2, 0
	s_add_co_ci_u32 s51, s51, s61
	s_wait_alu 0xfffe
	s_mul_u64 s[58:59], s[58:59], s[50:51]
	s_delay_alu instid0(SALU_CYCLE_1)
	s_mul_hi_u32 s61, s50, s59
	s_mul_i32 s60, s50, s59
	s_mul_hi_u32 s18, s50, s58
	s_mul_i32 s41, s51, s58
	s_wait_alu 0xfffe
	s_add_nc_u64 s[60:61], s[18:19], s[60:61]
	s_mul_hi_u32 s2, s51, s58
	s_mul_hi_u32 s43, s51, s59
	s_add_co_u32 s18, s60, s41
	s_wait_alu 0xfffe
	s_add_co_ci_u32 s18, s61, s2
	s_mul_i32 s58, s51, s59
	s_add_co_ci_u32 s59, s43, 0
	s_wait_alu 0xfffe
	s_add_nc_u64 s[58:59], s[18:19], s[58:59]
	s_delay_alu instid0(SALU_CYCLE_1)
	s_add_co_u32 s2, s50, s58
	s_cselect_b32 s18, -1, 0
	s_wait_alu 0xfffe
	v_mul_hi_u32 v10, v5, s2
	s_cmp_lg_u32 s18, 0
	v_mad_co_u64_u32 v[22:23], null, v8, s2, 0
	s_add_co_ci_u32 s18, s51, s59
	s_wait_alu 0xfffe
	v_mad_co_u64_u32 v[20:21], null, v5, s18, 0
	v_mad_co_u64_u32 v[29:30], null, v8, s18, 0
	s_delay_alu instid0(VALU_DEP_2) | instskip(SKIP_1) | instid1(VALU_DEP_3)
	v_add_co_u32 v10, vcc_lo, v10, v20
	s_wait_alu 0xfffd
	v_add_co_ci_u32_e64 v12, null, 0, v21, vcc_lo
	s_delay_alu instid0(VALU_DEP_2) | instskip(SKIP_1) | instid1(VALU_DEP_2)
	v_add_co_u32 v10, vcc_lo, v10, v22
	s_wait_alu 0xfffd
	v_add_co_ci_u32_e32 v10, vcc_lo, v12, v23, vcc_lo
	s_wait_alu 0xfffd
	v_add_co_ci_u32_e32 v12, vcc_lo, 0, v30, vcc_lo
	s_delay_alu instid0(VALU_DEP_2) | instskip(SKIP_1) | instid1(VALU_DEP_2)
	v_add_co_u32 v10, vcc_lo, v10, v29
	s_wait_alu 0xfffd
	v_add_co_ci_u32_e64 v12, null, 0, v12, vcc_lo
	s_delay_alu instid0(VALU_DEP_2) | instskip(SKIP_1) | instid1(VALU_DEP_3)
	v_mul_lo_u32 v14, s47, v10
	v_mad_co_u64_u32 v[20:21], null, s46, v10, 0
	v_mul_lo_u32 v16, s46, v12
	v_add_co_u32 v18, s2, v10, 2
	s_delay_alu instid0(VALU_DEP_3) | instskip(NEXT) | instid1(VALU_DEP_3)
	v_sub_co_u32 v5, vcc_lo, v5, v20
	v_add3_u32 v14, v21, v16, v14
	s_wait_alu 0xf1ff
	v_add_co_ci_u32_e64 v20, null, 0, v12, s2
	s_delay_alu instid0(VALU_DEP_3) | instskip(NEXT) | instid1(VALU_DEP_3)
	v_sub_co_u32 v21, s2, v5, s46
	v_sub_nc_u32_e32 v16, v8, v14
	s_wait_alu 0xfffd
	v_sub_co_ci_u32_e64 v8, null, v8, v14, vcc_lo
	s_delay_alu instid0(VALU_DEP_2) | instskip(SKIP_2) | instid1(VALU_DEP_2)
	v_subrev_co_ci_u32_e64 v16, null, s47, v16, vcc_lo
	v_cmp_le_u32_e32 vcc_lo, s46, v21
	s_wait_alu 0xf1ff
	v_subrev_co_ci_u32_e64 v16, null, 0, v16, s2
	s_wait_alu 0xfffd
	v_cndmask_b32_e64 v14, 0, -1, vcc_lo
	s_delay_alu instid0(VALU_DEP_2)
	v_cmp_le_u32_e32 vcc_lo, s47, v16
	s_wait_alu 0xfffd
	v_cndmask_b32_e64 v21, 0, -1, vcc_lo
	v_cmp_le_u32_e32 vcc_lo, s46, v5
	s_wait_alu 0xfffd
	v_cndmask_b32_e64 v5, 0, -1, vcc_lo
	;; [unrolled: 3-line block ×3, first 2 shown]
	v_cmp_eq_u32_e32 vcc_lo, s47, v16
	s_wait_alu 0xfffd
	v_cndmask_b32_e32 v14, v21, v14, vcc_lo
	v_add_co_u32 v16, vcc_lo, v10, 1
	s_wait_alu 0xfffd
	v_add_co_ci_u32_e64 v21, null, 0, v12, vcc_lo
	v_cmp_eq_u32_e32 vcc_lo, s47, v8
	s_wait_alu 0xfffd
	v_cndmask_b32_e32 v5, v22, v5, vcc_lo
	v_cmp_ne_u32_e32 vcc_lo, 0, v14
	s_delay_alu instid0(VALU_DEP_2) | instskip(SKIP_3) | instid1(VALU_DEP_1)
	v_cmp_ne_u32_e64 s2, 0, v5
	s_wait_alu 0xfffd
	v_dual_cndmask_b32 v8, v21, v20 :: v_dual_cndmask_b32 v5, v16, v18
	s_wait_alu 0xf1ff
	v_cndmask_b32_e64 v8, v12, v8, s2
	s_delay_alu instid0(VALU_DEP_2) | instskip(NEXT) | instid1(VALU_DEP_2)
	v_cndmask_b32_e64 v5, v10, v5, s2
	v_xor_b32_e32 v8, v8, v3
	s_delay_alu instid0(VALU_DEP_2) | instskip(NEXT) | instid1(VALU_DEP_1)
	v_xor_b32_e32 v5, v5, v3
	v_sub_co_u32 v21, vcc_lo, v5, v3
	s_wait_alu 0xfffd
	s_delay_alu instid0(VALU_DEP_3)
	v_sub_co_ci_u32_e64 v22, null, v8, v3, vcc_lo
.LBB0_48:                               ;   in Loop: Header=BB0_22 Depth=2
	s_wait_alu 0xfffe
	s_and_not1_saveexec_b32 s2, s27
	s_cbranch_execz .LBB0_50
; %bb.49:                               ;   in Loop: Header=BB0_22 Depth=2
	v_cvt_f32_u32_e32 v3, s42
	s_sub_co_i32 s18, 0, s42
	v_mov_b32_e32 v22, v2
	s_delay_alu instid0(VALU_DEP_2) | instskip(NEXT) | instid1(TRANS32_DEP_1)
	v_rcp_iflag_f32_e32 v3, v3
	v_mul_f32_e32 v3, 0x4f7ffffe, v3
	s_delay_alu instid0(VALU_DEP_1) | instskip(SKIP_1) | instid1(VALU_DEP_1)
	v_cvt_u32_f32_e32 v3, v3
	s_wait_alu 0xfffe
	v_mul_lo_u32 v5, s18, v3
	s_delay_alu instid0(VALU_DEP_1) | instskip(NEXT) | instid1(VALU_DEP_1)
	v_mul_hi_u32 v5, v3, v5
	v_add_nc_u32_e32 v3, v3, v5
	s_delay_alu instid0(VALU_DEP_1) | instskip(NEXT) | instid1(VALU_DEP_1)
	v_mul_hi_u32 v3, v19, v3
	v_mul_lo_u32 v5, v3, s42
	s_delay_alu instid0(VALU_DEP_1) | instskip(NEXT) | instid1(VALU_DEP_1)
	v_sub_nc_u32_e32 v5, v19, v5
	v_subrev_nc_u32_e32 v10, s42, v5
	v_cmp_le_u32_e32 vcc_lo, s42, v5
	s_wait_alu 0xfffd
	s_delay_alu instid0(VALU_DEP_2) | instskip(NEXT) | instid1(VALU_DEP_1)
	v_dual_cndmask_b32 v5, v5, v10 :: v_dual_add_nc_u32 v8, 1, v3
	v_cndmask_b32_e32 v3, v3, v8, vcc_lo
	s_delay_alu instid0(VALU_DEP_2) | instskip(NEXT) | instid1(VALU_DEP_2)
	v_cmp_le_u32_e32 vcc_lo, s42, v5
	v_add_nc_u32_e32 v8, 1, v3
	s_wait_alu 0xfffd
	s_delay_alu instid0(VALU_DEP_1)
	v_cndmask_b32_e32 v21, v3, v8, vcc_lo
.LBB0_50:                               ;   in Loop: Header=BB0_22 Depth=2
	s_wait_alu 0xfffe
	s_or_b32 exec_lo, exec_lo, s2
	s_mov_b32 s27, s19
	s_add_nc_u64 s[48:49], s[0:1], s[48:49]
	s_wait_alu 0xfffe
	s_lshl_b64 s[46:47], s[26:27], 2
                                        ; implicit-def: $vgpr23_vgpr24
	s_mov_b32 s2, exec_lo
	s_wait_alu 0xfffe
	s_add_nc_u64 s[44:45], s[10:11], s[46:47]
	s_clause 0x1
	s_load_b32 s27, s[48:49], 0x6c
	s_load_b32 s44, s[44:45], 0x8
	s_wait_kmcnt 0x0
	s_ashr_i32 s45, s44, 31
	s_wait_alu 0xfffe
	v_or_b32_e32 v3, s45, v22
	s_delay_alu instid0(VALU_DEP_1)
	v_cmpx_ne_u64_e32 0, v[2:3]
	s_xor_b32 s41, exec_lo, s2
	s_cbranch_execz .LBB0_52
; %bb.51:                               ;   in Loop: Header=BB0_22 Depth=2
	s_ashr_i32 s48, s45, 31
	v_ashrrev_i32_e32 v3, 31, v22
	s_wait_alu 0xfffe
	s_mov_b32 s49, s48
	s_wait_alu 0xfffe
	s_add_nc_u64 s[50:51], s[44:45], s[48:49]
	v_add_co_u32 v5, vcc_lo, v21, v3
	s_wait_alu 0xfffe
	s_xor_b64 s[50:51], s[50:51], s[48:49]
	s_wait_alu 0xfffd
	v_add_co_ci_u32_e64 v8, null, v22, v3, vcc_lo
	s_wait_alu 0xfffe
	s_cvt_f32_u32 s2, s50
	s_cvt_f32_u32 s18, s51
	s_sub_nc_u64 s[60:61], 0, s[50:51]
	v_xor_b32_e32 v5, v5, v3
	v_xor_b32_e32 v8, v8, v3
	s_wait_alu 0xfffe
	s_fmamk_f32 s2, s18, 0x4f800000, s2
	v_xor_b32_e32 v3, s48, v3
	s_wait_alu 0xfffe
	s_delay_alu instid0(SALU_CYCLE_1) | instskip(NEXT) | instid1(TRANS32_DEP_1)
	v_s_rcp_f32 s2, s2
	s_mul_f32 s2, s2, 0x5f7ffffc
	s_wait_alu 0xfffe
	s_delay_alu instid0(SALU_CYCLE_2) | instskip(SKIP_1) | instid1(SALU_CYCLE_2)
	s_mul_f32 s18, s2, 0x2f800000
	s_wait_alu 0xfffe
	s_trunc_f32 s18, s18
	s_wait_alu 0xfffe
	s_delay_alu instid0(SALU_CYCLE_2) | instskip(SKIP_2) | instid1(SALU_CYCLE_1)
	s_fmamk_f32 s2, s18, 0xcf800000, s2
	s_cvt_u32_f32 s59, s18
	s_wait_alu 0xfffe
	s_cvt_u32_f32 s58, s2
	s_delay_alu instid0(SALU_CYCLE_3) | instskip(NEXT) | instid1(SALU_CYCLE_1)
	s_mul_u64 s[62:63], s[60:61], s[58:59]
	s_mul_hi_u32 s65, s58, s63
	s_mul_i32 s64, s58, s63
	s_mul_hi_u32 s18, s58, s62
	s_mul_i32 s43, s59, s62
	s_wait_alu 0xfffe
	s_add_nc_u64 s[64:65], s[18:19], s[64:65]
	s_mul_hi_u32 s2, s59, s62
	s_mul_hi_u32 s45, s59, s63
	s_add_co_u32 s18, s64, s43
	s_wait_alu 0xfffe
	s_add_co_ci_u32 s18, s65, s2
	s_mul_i32 s62, s59, s63
	s_add_co_ci_u32 s63, s45, 0
	s_wait_alu 0xfffe
	s_add_nc_u64 s[62:63], s[18:19], s[62:63]
	s_delay_alu instid0(SALU_CYCLE_1) | instskip(SKIP_4) | instid1(SALU_CYCLE_1)
	s_add_co_u32 s58, s58, s62
	s_cselect_b32 s2, -1, 0
	s_wait_alu 0xfffe
	s_cmp_lg_u32 s2, 0
	s_add_co_ci_u32 s59, s59, s63
	s_mul_u64 s[60:61], s[60:61], s[58:59]
	s_delay_alu instid0(SALU_CYCLE_1)
	s_mul_hi_u32 s63, s58, s61
	s_mul_i32 s62, s58, s61
	s_mul_hi_u32 s18, s58, s60
	s_mul_i32 s43, s59, s60
	s_wait_alu 0xfffe
	s_add_nc_u64 s[62:63], s[18:19], s[62:63]
	s_mul_hi_u32 s2, s59, s60
	s_mul_hi_u32 s45, s59, s61
	s_add_co_u32 s18, s62, s43
	s_wait_alu 0xfffe
	s_add_co_ci_u32 s18, s63, s2
	s_mul_i32 s60, s59, s61
	s_add_co_ci_u32 s61, s45, 0
	s_wait_alu 0xfffe
	s_add_nc_u64 s[60:61], s[18:19], s[60:61]
	s_delay_alu instid0(SALU_CYCLE_1)
	s_add_co_u32 s2, s58, s60
	s_cselect_b32 s18, -1, 0
	s_wait_alu 0xfffe
	v_mul_hi_u32 v10, v5, s2
	s_cmp_lg_u32 s18, 0
	v_mad_co_u64_u32 v[29:30], null, v8, s2, 0
	s_add_co_ci_u32 s18, s59, s61
	s_wait_alu 0xfffe
	v_mad_co_u64_u32 v[22:23], null, v5, s18, 0
	v_mad_co_u64_u32 v[31:32], null, v8, s18, 0
	s_delay_alu instid0(VALU_DEP_2) | instskip(SKIP_1) | instid1(VALU_DEP_3)
	v_add_co_u32 v10, vcc_lo, v10, v22
	s_wait_alu 0xfffd
	v_add_co_ci_u32_e64 v12, null, 0, v23, vcc_lo
	s_delay_alu instid0(VALU_DEP_2) | instskip(SKIP_1) | instid1(VALU_DEP_2)
	v_add_co_u32 v10, vcc_lo, v10, v29
	s_wait_alu 0xfffd
	v_add_co_ci_u32_e32 v10, vcc_lo, v12, v30, vcc_lo
	s_wait_alu 0xfffd
	v_add_co_ci_u32_e32 v12, vcc_lo, 0, v32, vcc_lo
	s_delay_alu instid0(VALU_DEP_2) | instskip(SKIP_1) | instid1(VALU_DEP_2)
	v_add_co_u32 v10, vcc_lo, v10, v31
	s_wait_alu 0xfffd
	v_add_co_ci_u32_e64 v12, null, 0, v12, vcc_lo
	s_delay_alu instid0(VALU_DEP_2) | instskip(SKIP_1) | instid1(VALU_DEP_3)
	v_mul_lo_u32 v14, s51, v10
	v_mad_co_u64_u32 v[22:23], null, s50, v10, 0
	v_mul_lo_u32 v16, s50, v12
	v_add_co_u32 v18, s2, v10, 2
	s_wait_alu 0xf1ff
	v_add_co_ci_u32_e64 v20, null, 0, v12, s2
	s_delay_alu instid0(VALU_DEP_4) | instskip(NEXT) | instid1(VALU_DEP_4)
	v_sub_co_u32 v5, vcc_lo, v5, v22
	v_add3_u32 v14, v23, v16, v14
	s_delay_alu instid0(VALU_DEP_2) | instskip(NEXT) | instid1(VALU_DEP_2)
	v_sub_co_u32 v22, s2, v5, s50
	v_sub_nc_u32_e32 v16, v8, v14
	s_wait_alu 0xfffd
	v_sub_co_ci_u32_e64 v8, null, v8, v14, vcc_lo
	s_delay_alu instid0(VALU_DEP_2) | instskip(SKIP_2) | instid1(VALU_DEP_2)
	v_subrev_co_ci_u32_e64 v16, null, s51, v16, vcc_lo
	v_cmp_le_u32_e32 vcc_lo, s50, v22
	s_wait_alu 0xf1ff
	v_subrev_co_ci_u32_e64 v16, null, 0, v16, s2
	s_wait_alu 0xfffd
	v_cndmask_b32_e64 v14, 0, -1, vcc_lo
	s_delay_alu instid0(VALU_DEP_2)
	v_cmp_le_u32_e32 vcc_lo, s51, v16
	s_wait_alu 0xfffd
	v_cndmask_b32_e64 v22, 0, -1, vcc_lo
	v_cmp_le_u32_e32 vcc_lo, s50, v5
	s_wait_alu 0xfffd
	v_cndmask_b32_e64 v5, 0, -1, vcc_lo
	;; [unrolled: 3-line block ×3, first 2 shown]
	v_cmp_eq_u32_e32 vcc_lo, s51, v16
	s_wait_alu 0xfffd
	v_cndmask_b32_e32 v14, v22, v14, vcc_lo
	v_add_co_u32 v16, vcc_lo, v10, 1
	s_wait_alu 0xfffd
	v_add_co_ci_u32_e64 v22, null, 0, v12, vcc_lo
	v_cmp_eq_u32_e32 vcc_lo, s51, v8
	s_wait_alu 0xfffd
	v_cndmask_b32_e32 v5, v23, v5, vcc_lo
	v_cmp_ne_u32_e32 vcc_lo, 0, v14
	s_delay_alu instid0(VALU_DEP_2) | instskip(SKIP_3) | instid1(VALU_DEP_1)
	v_cmp_ne_u32_e64 s2, 0, v5
	s_wait_alu 0xfffd
	v_dual_cndmask_b32 v8, v22, v20 :: v_dual_cndmask_b32 v5, v16, v18
	s_wait_alu 0xf1ff
	v_cndmask_b32_e64 v8, v12, v8, s2
	s_delay_alu instid0(VALU_DEP_2) | instskip(NEXT) | instid1(VALU_DEP_2)
	v_cndmask_b32_e64 v5, v10, v5, s2
	v_xor_b32_e32 v8, v8, v3
	s_delay_alu instid0(VALU_DEP_2) | instskip(NEXT) | instid1(VALU_DEP_1)
	v_xor_b32_e32 v5, v5, v3
	v_sub_co_u32 v23, vcc_lo, v5, v3
	s_wait_alu 0xfffd
	s_delay_alu instid0(VALU_DEP_3)
	v_sub_co_ci_u32_e64 v24, null, v8, v3, vcc_lo
.LBB0_52:                               ;   in Loop: Header=BB0_22 Depth=2
	s_wait_alu 0xfffe
	s_and_not1_saveexec_b32 s2, s41
	s_cbranch_execz .LBB0_54
; %bb.53:                               ;   in Loop: Header=BB0_22 Depth=2
	v_cvt_f32_u32_e32 v3, s44
	s_sub_co_i32 s18, 0, s44
	v_mov_b32_e32 v24, v2
	s_delay_alu instid0(VALU_DEP_2) | instskip(NEXT) | instid1(TRANS32_DEP_1)
	v_rcp_iflag_f32_e32 v3, v3
	v_mul_f32_e32 v3, 0x4f7ffffe, v3
	s_delay_alu instid0(VALU_DEP_1) | instskip(SKIP_1) | instid1(VALU_DEP_1)
	v_cvt_u32_f32_e32 v3, v3
	s_wait_alu 0xfffe
	v_mul_lo_u32 v5, s18, v3
	s_delay_alu instid0(VALU_DEP_1) | instskip(NEXT) | instid1(VALU_DEP_1)
	v_mul_hi_u32 v5, v3, v5
	v_add_nc_u32_e32 v3, v3, v5
	s_delay_alu instid0(VALU_DEP_1) | instskip(NEXT) | instid1(VALU_DEP_1)
	v_mul_hi_u32 v3, v21, v3
	v_mul_lo_u32 v5, v3, s44
	s_delay_alu instid0(VALU_DEP_1) | instskip(NEXT) | instid1(VALU_DEP_1)
	v_sub_nc_u32_e32 v5, v21, v5
	v_subrev_nc_u32_e32 v10, s44, v5
	v_cmp_le_u32_e32 vcc_lo, s44, v5
	s_wait_alu 0xfffd
	s_delay_alu instid0(VALU_DEP_2) | instskip(NEXT) | instid1(VALU_DEP_1)
	v_dual_cndmask_b32 v5, v5, v10 :: v_dual_add_nc_u32 v8, 1, v3
	v_cndmask_b32_e32 v3, v3, v8, vcc_lo
	s_delay_alu instid0(VALU_DEP_2) | instskip(NEXT) | instid1(VALU_DEP_2)
	v_cmp_le_u32_e32 vcc_lo, s44, v5
	v_add_nc_u32_e32 v8, 1, v3
	s_wait_alu 0xfffd
	s_delay_alu instid0(VALU_DEP_1)
	v_cndmask_b32_e32 v23, v3, v8, vcc_lo
.LBB0_54:                               ;   in Loop: Header=BB0_22 Depth=2
	s_wait_alu 0xfffe
	s_or_b32 exec_lo, exec_lo, s2
	v_mul_lo_u32 v3, v9, s28
	v_mul_lo_u32 v5, v11, s30
	;; [unrolled: 1-line block ×5, first 2 shown]
	s_add_nc_u64 s[40:41], s[0:1], s[46:47]
	v_mul_lo_u32 v12, v17, s38
	s_load_b32 s2, s[40:41], 0x6c
	v_sub_nc_u32_e32 v3, v7, v3
	v_sub_nc_u32_e32 v5, v9, v5
	;; [unrolled: 1-line block ×4, first 2 shown]
	v_mul_lo_u32 v9, v21, s42
	v_mul_lo_u32 v3, s25, v3
	;; [unrolled: 1-line block ×4, first 2 shown]
	v_sub_nc_u32_e32 v11, v15, v12
	v_sub_nc_u32_e32 v12, v17, v14
	v_mul_lo_u32 v7, s31, v7
	v_mul_lo_u32 v8, s35, v8
	s_add_co_i32 s26, s26, -8
	v_mul_lo_u32 v11, s37, v11
	v_add3_u32 v3, v3, v4, v5
	v_sub_nc_u32_e32 v4, v19, v9
	v_sub_nc_u32_e32 v5, v21, v10
	v_mul_lo_u32 v9, s39, v12
	s_wait_alu 0xfffe
	s_cmp_eq_u32 s26, -8
	v_add3_u32 v3, v7, v3, v8
	v_mul_lo_u32 v4, s27, v4
	s_wait_kmcnt 0x0
	v_mul_lo_u32 v5, s2, v5
	s_delay_alu instid0(VALU_DEP_3) | instskip(NEXT) | instid1(VALU_DEP_1)
	v_add3_u32 v3, v11, v3, v9
	v_add3_u32 v4, v4, v3, v5
	s_cbranch_scc1 .LBB0_56
; %bb.55:                               ;   in Loop: Header=BB0_22 Depth=2
	v_dual_mov_b32 v7, v23 :: v_dual_mov_b32 v8, v24
	s_branch .LBB0_22
.LBB0_56:                               ;   in Loop: Header=BB0_3 Depth=1
	s_load_b32 s2, s[12:13], 0x4
	s_wait_kmcnt 0x0
	v_cmp_gt_i32_e32 vcc_lo, s2, v28
	s_and_b32 exec_lo, exec_lo, vcc_lo
	s_cbranch_execz .LBB0_2
; %bb.57:                               ;   in Loop: Header=BB0_3 Depth=1
	v_ashrrev_i32_e32 v7, 31, v6
	s_mov_b32 s18, exec_lo
	s_delay_alu instid0(VALU_DEP_1)
	v_cmpx_lt_i64_e64 s[4:5], v[6:7]
	s_cbranch_execz .LBB0_59
; %bb.58:                               ;   in Loop: Header=BB0_3 Depth=1
	v_ashrrev_i32_e32 v3, 31, v4
	v_add_co_u32 v5, vcc_lo, s16, v4
	s_wait_alu 0xfffd
	s_delay_alu instid0(VALU_DEP_2)
	v_add_co_ci_u32_e64 v6, null, s17, v3, vcc_lo
	global_store_b8 v[5:6], v2, off
.LBB0_59:                               ;   in Loop: Header=BB0_3 Depth=1
	s_wait_alu 0xfffe
	s_or_b32 exec_lo, exec_lo, s18
	v_add_nc_u32_e32 v3, 1, v28
	s_delay_alu instid0(VALU_DEP_1)
	v_cmp_gt_i32_e32 vcc_lo, s2, v3
	s_and_b32 exec_lo, exec_lo, vcc_lo
	s_cbranch_execz .LBB0_2
; %bb.60:                               ;   in Loop: Header=BB0_3 Depth=1
	v_sub_nc_u32_e32 v5, v3, v27
	s_mov_b32 s18, exec_lo
	s_delay_alu instid0(VALU_DEP_1) | instskip(NEXT) | instid1(VALU_DEP_1)
	v_ashrrev_i32_e32 v6, 31, v5
	v_cmpx_lt_i64_e64 s[4:5], v[5:6]
	s_cbranch_execz .LBB0_62
; %bb.61:                               ;   in Loop: Header=BB0_3 Depth=1
	v_add_nc_u32_e32 v3, s3, v4
	s_delay_alu instid0(VALU_DEP_1) | instskip(SKIP_2) | instid1(VALU_DEP_2)
	v_ashrrev_i32_e32 v6, 31, v3
	v_add_co_u32 v5, vcc_lo, s16, v3
	s_wait_alu 0xfffd
	v_add_co_ci_u32_e64 v6, null, s17, v6, vcc_lo
	global_store_b8 v[5:6], v2, off
.LBB0_62:                               ;   in Loop: Header=BB0_3 Depth=1
	s_wait_alu 0xfffe
	s_or_b32 exec_lo, exec_lo, s18
	v_add_nc_u32_e32 v3, 2, v28
	s_delay_alu instid0(VALU_DEP_1)
	v_cmp_gt_i32_e32 vcc_lo, s2, v3
	s_and_b32 exec_lo, exec_lo, vcc_lo
	s_cbranch_execz .LBB0_2
; %bb.63:                               ;   in Loop: Header=BB0_3 Depth=1
	v_sub_nc_u32_e32 v5, v3, v27
	s_mov_b32 s18, exec_lo
	s_delay_alu instid0(VALU_DEP_1) | instskip(NEXT) | instid1(VALU_DEP_1)
	v_ashrrev_i32_e32 v6, 31, v5
	v_cmpx_lt_i64_e64 s[4:5], v[5:6]
	s_cbranch_execz .LBB0_65
; %bb.64:                               ;   in Loop: Header=BB0_3 Depth=1
	v_lshl_add_u32 v3, s3, 1, v4
	s_delay_alu instid0(VALU_DEP_1) | instskip(SKIP_2) | instid1(VALU_DEP_2)
	v_ashrrev_i32_e32 v6, 31, v3
	v_add_co_u32 v5, vcc_lo, s16, v3
	s_wait_alu 0xfffd
	v_add_co_ci_u32_e64 v6, null, s17, v6, vcc_lo
	global_store_b8 v[5:6], v2, off
.LBB0_65:                               ;   in Loop: Header=BB0_3 Depth=1
	s_wait_alu 0xfffe
	s_or_b32 exec_lo, exec_lo, s18
	v_add_nc_u32_e32 v3, 3, v28
	s_delay_alu instid0(VALU_DEP_1)
	v_cmp_gt_i32_e32 vcc_lo, s2, v3
	s_and_b32 exec_lo, exec_lo, vcc_lo
	s_cbranch_execz .LBB0_2
; %bb.66:                               ;   in Loop: Header=BB0_3 Depth=1
	v_sub_nc_u32_e32 v5, v3, v27
	s_delay_alu instid0(VALU_DEP_1) | instskip(NEXT) | instid1(VALU_DEP_1)
	v_ashrrev_i32_e32 v6, 31, v5
	v_cmp_lt_i64_e32 vcc_lo, s[4:5], v[5:6]
	s_and_b32 exec_lo, exec_lo, vcc_lo
	s_cbranch_execz .LBB0_2
; %bb.67:                               ;   in Loop: Header=BB0_3 Depth=1
	v_mad_co_u64_u32 v[3:4], null, s3, 3, v[4:5]
	s_delay_alu instid0(VALU_DEP_1) | instskip(SKIP_2) | instid1(VALU_DEP_2)
	v_ashrrev_i32_e32 v4, 31, v3
	v_add_co_u32 v3, vcc_lo, s16, v3
	s_wait_alu 0xfffd
	v_add_co_ci_u32_e64 v4, null, s17, v4, vcc_lo
	global_store_b8 v[3:4], v2, off
	s_branch .LBB0_2
.LBB0_68:
	s_endpgm
	.section	.rodata,"a",@progbits
	.p2align	6, 0x0
	.amdhsa_kernel _ZN2at6native16triu_tril_kernelIhiLb0ELi4ELb1EEEvNS_4cuda6detail10TensorInfoIT_T0_EENS4_IKS5_S6_EEllS6_
		.amdhsa_group_segment_fixed_size 0
		.amdhsa_private_segment_fixed_size 0
		.amdhsa_kernarg_size 712
		.amdhsa_user_sgpr_count 2
		.amdhsa_user_sgpr_dispatch_ptr 0
		.amdhsa_user_sgpr_queue_ptr 0
		.amdhsa_user_sgpr_kernarg_segment_ptr 1
		.amdhsa_user_sgpr_dispatch_id 0
		.amdhsa_user_sgpr_private_segment_size 0
		.amdhsa_wavefront_size32 1
		.amdhsa_uses_dynamic_stack 0
		.amdhsa_enable_private_segment 0
		.amdhsa_system_sgpr_workgroup_id_x 1
		.amdhsa_system_sgpr_workgroup_id_y 0
		.amdhsa_system_sgpr_workgroup_id_z 0
		.amdhsa_system_sgpr_workgroup_info 0
		.amdhsa_system_vgpr_workitem_id 0
		.amdhsa_next_free_vgpr 33
		.amdhsa_next_free_sgpr 66
		.amdhsa_reserve_vcc 1
		.amdhsa_float_round_mode_32 0
		.amdhsa_float_round_mode_16_64 0
		.amdhsa_float_denorm_mode_32 3
		.amdhsa_float_denorm_mode_16_64 3
		.amdhsa_fp16_overflow 0
		.amdhsa_workgroup_processor_mode 1
		.amdhsa_memory_ordered 1
		.amdhsa_forward_progress 1
		.amdhsa_inst_pref_size 98
		.amdhsa_round_robin_scheduling 0
		.amdhsa_exception_fp_ieee_invalid_op 0
		.amdhsa_exception_fp_denorm_src 0
		.amdhsa_exception_fp_ieee_div_zero 0
		.amdhsa_exception_fp_ieee_overflow 0
		.amdhsa_exception_fp_ieee_underflow 0
		.amdhsa_exception_fp_ieee_inexact 0
		.amdhsa_exception_int_div_zero 0
	.end_amdhsa_kernel
	.section	.text._ZN2at6native16triu_tril_kernelIhiLb0ELi4ELb1EEEvNS_4cuda6detail10TensorInfoIT_T0_EENS4_IKS5_S6_EEllS6_,"axG",@progbits,_ZN2at6native16triu_tril_kernelIhiLb0ELi4ELb1EEEvNS_4cuda6detail10TensorInfoIT_T0_EENS4_IKS5_S6_EEllS6_,comdat
.Lfunc_end0:
	.size	_ZN2at6native16triu_tril_kernelIhiLb0ELi4ELb1EEEvNS_4cuda6detail10TensorInfoIT_T0_EENS4_IKS5_S6_EEllS6_, .Lfunc_end0-_ZN2at6native16triu_tril_kernelIhiLb0ELi4ELb1EEEvNS_4cuda6detail10TensorInfoIT_T0_EENS4_IKS5_S6_EEllS6_
                                        ; -- End function
	.set _ZN2at6native16triu_tril_kernelIhiLb0ELi4ELb1EEEvNS_4cuda6detail10TensorInfoIT_T0_EENS4_IKS5_S6_EEllS6_.num_vgpr, 33
	.set _ZN2at6native16triu_tril_kernelIhiLb0ELi4ELb1EEEvNS_4cuda6detail10TensorInfoIT_T0_EENS4_IKS5_S6_EEllS6_.num_agpr, 0
	.set _ZN2at6native16triu_tril_kernelIhiLb0ELi4ELb1EEEvNS_4cuda6detail10TensorInfoIT_T0_EENS4_IKS5_S6_EEllS6_.numbered_sgpr, 66
	.set _ZN2at6native16triu_tril_kernelIhiLb0ELi4ELb1EEEvNS_4cuda6detail10TensorInfoIT_T0_EENS4_IKS5_S6_EEllS6_.num_named_barrier, 0
	.set _ZN2at6native16triu_tril_kernelIhiLb0ELi4ELb1EEEvNS_4cuda6detail10TensorInfoIT_T0_EENS4_IKS5_S6_EEllS6_.private_seg_size, 0
	.set _ZN2at6native16triu_tril_kernelIhiLb0ELi4ELb1EEEvNS_4cuda6detail10TensorInfoIT_T0_EENS4_IKS5_S6_EEllS6_.uses_vcc, 1
	.set _ZN2at6native16triu_tril_kernelIhiLb0ELi4ELb1EEEvNS_4cuda6detail10TensorInfoIT_T0_EENS4_IKS5_S6_EEllS6_.uses_flat_scratch, 0
	.set _ZN2at6native16triu_tril_kernelIhiLb0ELi4ELb1EEEvNS_4cuda6detail10TensorInfoIT_T0_EENS4_IKS5_S6_EEllS6_.has_dyn_sized_stack, 0
	.set _ZN2at6native16triu_tril_kernelIhiLb0ELi4ELb1EEEvNS_4cuda6detail10TensorInfoIT_T0_EENS4_IKS5_S6_EEllS6_.has_recursion, 0
	.set _ZN2at6native16triu_tril_kernelIhiLb0ELi4ELb1EEEvNS_4cuda6detail10TensorInfoIT_T0_EENS4_IKS5_S6_EEllS6_.has_indirect_call, 0
	.section	.AMDGPU.csdata,"",@progbits
; Kernel info:
; codeLenInByte = 12420
; TotalNumSgprs: 68
; NumVgprs: 33
; ScratchSize: 0
; MemoryBound: 0
; FloatMode: 240
; IeeeMode: 1
; LDSByteSize: 0 bytes/workgroup (compile time only)
; SGPRBlocks: 0
; VGPRBlocks: 4
; NumSGPRsForWavesPerEU: 68
; NumVGPRsForWavesPerEU: 33
; Occupancy: 16
; WaveLimiterHint : 0
; COMPUTE_PGM_RSRC2:SCRATCH_EN: 0
; COMPUTE_PGM_RSRC2:USER_SGPR: 2
; COMPUTE_PGM_RSRC2:TRAP_HANDLER: 0
; COMPUTE_PGM_RSRC2:TGID_X_EN: 1
; COMPUTE_PGM_RSRC2:TGID_Y_EN: 0
; COMPUTE_PGM_RSRC2:TGID_Z_EN: 0
; COMPUTE_PGM_RSRC2:TIDIG_COMP_CNT: 0
	.section	.text._ZN2at6native16triu_tril_kernelIhiLb0ELi4ELb0EEEvNS_4cuda6detail10TensorInfoIT_T0_EENS4_IKS5_S6_EEllS6_,"axG",@progbits,_ZN2at6native16triu_tril_kernelIhiLb0ELi4ELb0EEEvNS_4cuda6detail10TensorInfoIT_T0_EENS4_IKS5_S6_EEllS6_,comdat
	.protected	_ZN2at6native16triu_tril_kernelIhiLb0ELi4ELb0EEEvNS_4cuda6detail10TensorInfoIT_T0_EENS4_IKS5_S6_EEllS6_ ; -- Begin function _ZN2at6native16triu_tril_kernelIhiLb0ELi4ELb0EEEvNS_4cuda6detail10TensorInfoIT_T0_EENS4_IKS5_S6_EEllS6_
	.globl	_ZN2at6native16triu_tril_kernelIhiLb0ELi4ELb0EEEvNS_4cuda6detail10TensorInfoIT_T0_EENS4_IKS5_S6_EEllS6_
	.p2align	8
	.type	_ZN2at6native16triu_tril_kernelIhiLb0ELi4ELb0EEEvNS_4cuda6detail10TensorInfoIT_T0_EENS4_IKS5_S6_EEllS6_,@function
_ZN2at6native16triu_tril_kernelIhiLb0ELi4ELb0EEEvNS_4cuda6detail10TensorInfoIT_T0_EENS4_IKS5_S6_EEllS6_: ; @_ZN2at6native16triu_tril_kernelIhiLb0ELi4ELb0EEEvNS_4cuda6detail10TensorInfoIT_T0_EENS4_IKS5_S6_EEllS6_
; %bb.0:
	s_clause 0x1
	s_load_b32 s2, s[0:1], 0x1d4
	s_load_b128 s[4:7], s[0:1], 0x1b0
	v_mov_b32_e32 v2, 0
	s_delay_alu instid0(VALU_DEP_1) | instskip(SKIP_3) | instid1(VALU_DEP_1)
	v_mov_b32_e32 v1, v2
	s_wait_kmcnt 0x0
	s_and_b32 s16, s2, 0xffff
	s_mov_b32 s2, exec_lo
	v_mad_co_u64_u32 v[0:1], null, s16, ttmp9, v[0:1]
	s_delay_alu instid0(VALU_DEP_1) | instskip(NEXT) | instid1(VALU_DEP_1)
	v_lshlrev_b64_e32 v[0:1], 2, v[0:1]
	v_cmpx_gt_i64_e64 s[6:7], v[0:1]
	s_cbranch_execz .LBB1_53
; %bb.1:
	s_clause 0x2
	s_load_b32 s34, s[0:1], 0x1a8
	s_load_b32 s8, s[0:1], 0x1c0
	s_load_b64 s[10:11], s[0:1], 0xd8
	s_add_nc_u64 s[12:13], s[0:1], 0xd8
	s_add_nc_u64 s[18:19], s[0:1], 0x1c8
	s_mov_b32 s17, 0
	s_mov_b32 s20, s4
	;; [unrolled: 1-line block ×6, first 2 shown]
	s_wait_kmcnt 0x0
	s_ashr_i32 s35, s34, 31
	v_cvt_f32_u32_e32 v3, s8
	s_lshl_b64 s[22:23], s[34:35], 2
	s_and_b32 s52, s34, 3
	s_add_nc_u64 s[24:25], s[12:13], s[22:23]
	s_add_nc_u64 s[26:27], s[0:1], s[22:23]
	s_clause 0x1
	s_load_b64 s[2:3], s[24:25], 0x0
	s_load_b64 s[14:15], s[0:1], 0x0
	s_load_b32 s31, s[18:19], 0x0
	v_rcp_iflag_f32_e32 v3, v3
	s_clause 0x1
	s_load_b64 s[22:23], s[24:25], 0x64
	s_load_b64 s[26:27], s[26:27], 0x64
	s_ashr_i32 s9, s8, 31
	s_add_co_i32 s33, s34, -3
	v_cmp_gt_i64_e64 s53, s[34:35], 2
	s_mov_b32 s18, s4
	s_mov_b32 s19, s5
	;; [unrolled: 1-line block ×4, first 2 shown]
	v_mul_f32_e32 v3, 0x4f7ffffe, v3
	s_delay_alu instid0(VALU_DEP_1)
	v_cvt_u32_f32_e32 v18, v3
	s_wait_kmcnt 0x0
	s_mov_b32 s30, s2
	s_mul_i32 s31, s31, s16
	v_cvt_f32_u32_e32 v4, s30
	s_lshl_b32 s54, s31, 2
	s_ashr_i32 s31, s2, 31
	s_cmp_lg_u32 s52, 2
	s_mov_b32 s55, s23
	v_rcp_iflag_f32_e32 v4, v4
	s_cselect_b32 s57, -1, 0
	s_cmp_gt_u32 s33, 2
	s_mov_b32 s56, s27
	s_cselect_b32 s58, -1, 0
	s_ashr_i32 s59, s23, 31
	s_add_co_i32 s23, s23, s23
	s_ashr_i32 s60, s27, 31
	s_add_co_i32 s27, s27, s27
	s_wait_alu 0xfffe
	s_ashr_i32 s34, s9, 31
	v_mul_f32_e32 v3, 0x4f7ffffe, v4
	s_delay_alu instid0(VALU_DEP_1)
	v_cvt_u32_f32_e32 v19, v3
	s_branch .LBB1_3
.LBB1_2:                                ;   in Loop: Header=BB1_3 Depth=1
	s_wait_alu 0xfffe
	s_or_b32 exec_lo, exec_lo, s2
	v_add_co_u32 v0, vcc_lo, v0, s54
	s_wait_alu 0xfffd
	v_add_co_ci_u32_e64 v1, null, 0, v1, vcc_lo
	s_delay_alu instid0(VALU_DEP_1)
	v_cmp_le_i64_e32 vcc_lo, s[6:7], v[0:1]
	s_or_b32 s61, vcc_lo, s61
	s_wait_alu 0xfffe
	s_and_not1_b32 exec_lo, exec_lo, s61
	s_cbranch_execz .LBB1_53
.LBB1_3:                                ; =>This Loop Header: Depth=1
                                        ;     Child Loop BB1_15 Depth 2
                                        ;     Child Loop BB1_20 Depth 2
	v_or_b32_e32 v3, s9, v1
                                        ; implicit-def: $vgpr4_vgpr5
	s_mov_b32 s2, exec_lo
	s_delay_alu instid0(VALU_DEP_1)
	v_cmpx_ne_u64_e32 0, v[2:3]
	s_wait_alu 0xfffe
	s_xor_b32 s38, exec_lo, s2
	s_cbranch_execz .LBB1_5
; %bb.4:                                ;   in Loop: Header=BB1_3 Depth=1
	s_mov_b32 s35, s34
	v_ashrrev_i32_e32 v9, 31, v1
	s_wait_alu 0xfffe
	s_add_nc_u64 s[36:37], s[8:9], s[34:35]
	s_wait_alu 0xfffe
	s_xor_b64 s[36:37], s[36:37], s[34:35]
	v_add_co_u32 v3, vcc_lo, v0, v9
	s_wait_alu 0xfffe
	s_cvt_f32_u32 s2, s36
	s_cvt_f32_u32 s16, s37
	s_sub_nc_u64 s[42:43], 0, s[36:37]
	s_wait_alu 0xfffd
	v_add_co_ci_u32_e64 v4, null, v1, v9, vcc_lo
	s_wait_alu 0xfffe
	s_fmamk_f32 s2, s16, 0x4f800000, s2
	v_xor_b32_e32 v10, v3, v9
	s_delay_alu instid0(VALU_DEP_2) | instskip(SKIP_2) | instid1(TRANS32_DEP_1)
	v_xor_b32_e32 v11, v4, v9
	s_wait_alu 0xfffe
	v_s_rcp_f32 s2, s2
	s_mul_f32 s2, s2, 0x5f7ffffc
	s_wait_alu 0xfffe
	s_delay_alu instid0(SALU_CYCLE_2) | instskip(SKIP_1) | instid1(SALU_CYCLE_2)
	s_mul_f32 s16, s2, 0x2f800000
	s_wait_alu 0xfffe
	s_trunc_f32 s16, s16
	s_wait_alu 0xfffe
	s_delay_alu instid0(SALU_CYCLE_2) | instskip(SKIP_2) | instid1(SALU_CYCLE_1)
	s_fmamk_f32 s2, s16, 0xcf800000, s2
	s_cvt_u32_f32 s41, s16
	s_wait_alu 0xfffe
	s_cvt_u32_f32 s40, s2
	s_wait_alu 0xfffe
	s_delay_alu instid0(SALU_CYCLE_2)
	s_mul_u64 s[44:45], s[42:43], s[40:41]
	s_wait_alu 0xfffe
	s_mul_hi_u32 s47, s40, s45
	s_mul_i32 s46, s40, s45
	s_mul_hi_u32 s16, s40, s44
	s_mul_i32 s35, s41, s44
	s_wait_alu 0xfffe
	s_add_nc_u64 s[46:47], s[16:17], s[46:47]
	s_mul_hi_u32 s2, s41, s44
	s_mul_hi_u32 s39, s41, s45
	s_wait_alu 0xfffe
	s_add_co_u32 s16, s46, s35
	s_add_co_ci_u32 s16, s47, s2
	s_mul_i32 s44, s41, s45
	s_add_co_ci_u32 s45, s39, 0
	s_wait_alu 0xfffe
	s_add_nc_u64 s[44:45], s[16:17], s[44:45]
	s_wait_alu 0xfffe
	s_add_co_u32 s40, s40, s44
	s_cselect_b32 s2, -1, 0
	s_wait_alu 0xfffe
	s_cmp_lg_u32 s2, 0
	s_add_co_ci_u32 s41, s41, s45
	s_wait_alu 0xfffe
	s_mul_u64 s[42:43], s[42:43], s[40:41]
	s_wait_alu 0xfffe
	s_mul_hi_u32 s45, s40, s43
	s_mul_i32 s44, s40, s43
	s_mul_hi_u32 s16, s40, s42
	s_mul_i32 s35, s41, s42
	s_wait_alu 0xfffe
	s_add_nc_u64 s[44:45], s[16:17], s[44:45]
	s_mul_hi_u32 s2, s41, s42
	s_mul_hi_u32 s39, s41, s43
	s_wait_alu 0xfffe
	s_add_co_u32 s16, s44, s35
	s_add_co_ci_u32 s16, s45, s2
	s_mul_i32 s42, s41, s43
	s_add_co_ci_u32 s43, s39, 0
	s_wait_alu 0xfffe
	s_add_nc_u64 s[42:43], s[16:17], s[42:43]
	s_wait_alu 0xfffe
	s_add_co_u32 s2, s40, s42
	s_cselect_b32 s16, -1, 0
	s_wait_alu 0xfffe
	v_mul_hi_u32 v12, v10, s2
	s_cmp_lg_u32 s16, 0
	v_mad_co_u64_u32 v[5:6], null, v11, s2, 0
	s_add_co_ci_u32 s16, s41, s43
	s_wait_alu 0xfffe
	v_mad_co_u64_u32 v[3:4], null, v10, s16, 0
	v_mad_co_u64_u32 v[7:8], null, v11, s16, 0
	s_delay_alu instid0(VALU_DEP_2) | instskip(SKIP_1) | instid1(VALU_DEP_3)
	v_add_co_u32 v3, vcc_lo, v12, v3
	s_wait_alu 0xfffd
	v_add_co_ci_u32_e64 v4, null, 0, v4, vcc_lo
	s_delay_alu instid0(VALU_DEP_2) | instskip(SKIP_1) | instid1(VALU_DEP_2)
	v_add_co_u32 v3, vcc_lo, v3, v5
	s_wait_alu 0xfffd
	v_add_co_ci_u32_e32 v3, vcc_lo, v4, v6, vcc_lo
	s_wait_alu 0xfffd
	v_add_co_ci_u32_e32 v4, vcc_lo, 0, v8, vcc_lo
	s_delay_alu instid0(VALU_DEP_2) | instskip(SKIP_1) | instid1(VALU_DEP_2)
	v_add_co_u32 v5, vcc_lo, v3, v7
	s_wait_alu 0xfffd
	v_add_co_ci_u32_e64 v6, null, 0, v4, vcc_lo
	s_delay_alu instid0(VALU_DEP_2) | instskip(SKIP_1) | instid1(VALU_DEP_3)
	v_mul_lo_u32 v7, s37, v5
	v_mad_co_u64_u32 v[3:4], null, s36, v5, 0
	v_mul_lo_u32 v8, s36, v6
	s_delay_alu instid0(VALU_DEP_2) | instskip(NEXT) | instid1(VALU_DEP_2)
	v_sub_co_u32 v3, vcc_lo, v10, v3
	v_add3_u32 v4, v4, v8, v7
	v_add_co_u32 v8, s2, v5, 2
	s_wait_alu 0xf1ff
	v_add_co_ci_u32_e64 v10, null, 0, v6, s2
	s_delay_alu instid0(VALU_DEP_3) | instskip(SKIP_3) | instid1(VALU_DEP_3)
	v_sub_nc_u32_e32 v7, v11, v4
	v_sub_co_u32 v12, s2, v3, s36
	s_wait_alu 0xfffd
	v_sub_co_ci_u32_e64 v4, null, v11, v4, vcc_lo
	v_subrev_co_ci_u32_e64 v7, null, s37, v7, vcc_lo
	s_delay_alu instid0(VALU_DEP_3) | instskip(SKIP_1) | instid1(VALU_DEP_2)
	v_cmp_le_u32_e32 vcc_lo, s36, v12
	s_wait_alu 0xf1ff
	v_subrev_co_ci_u32_e64 v7, null, 0, v7, s2
	s_wait_alu 0xfffd
	v_cndmask_b32_e64 v11, 0, -1, vcc_lo
	s_delay_alu instid0(VALU_DEP_2)
	v_cmp_le_u32_e32 vcc_lo, s37, v7
	s_wait_alu 0xfffd
	v_cndmask_b32_e64 v12, 0, -1, vcc_lo
	v_cmp_le_u32_e32 vcc_lo, s36, v3
	s_wait_alu 0xfffd
	v_cndmask_b32_e64 v3, 0, -1, vcc_lo
	;; [unrolled: 3-line block ×3, first 2 shown]
	v_cmp_eq_u32_e32 vcc_lo, s37, v7
	s_wait_alu 0xfffd
	v_cndmask_b32_e32 v7, v12, v11, vcc_lo
	v_add_co_u32 v11, vcc_lo, v5, 1
	s_wait_alu 0xfffd
	v_add_co_ci_u32_e64 v12, null, 0, v6, vcc_lo
	v_cmp_eq_u32_e32 vcc_lo, s37, v4
	s_wait_alu 0xfffd
	v_cndmask_b32_e32 v3, v13, v3, vcc_lo
	v_cmp_ne_u32_e32 vcc_lo, 0, v7
	v_xor_b32_e32 v7, s34, v9
	s_wait_alu 0xfffd
	v_cndmask_b32_e32 v4, v12, v10, vcc_lo
	v_cmp_ne_u32_e64 s2, 0, v3
	v_cndmask_b32_e32 v3, v11, v8, vcc_lo
	s_wait_alu 0xf1ff
	s_delay_alu instid0(VALU_DEP_2) | instskip(NEXT) | instid1(VALU_DEP_2)
	v_cndmask_b32_e64 v4, v6, v4, s2
	v_cndmask_b32_e64 v3, v5, v3, s2
	s_delay_alu instid0(VALU_DEP_2) | instskip(NEXT) | instid1(VALU_DEP_2)
	v_xor_b32_e32 v5, v4, v7
	v_xor_b32_e32 v3, v3, v7
	s_delay_alu instid0(VALU_DEP_1) | instskip(SKIP_1) | instid1(VALU_DEP_3)
	v_sub_co_u32 v4, vcc_lo, v3, v7
	s_wait_alu 0xfffd
	v_sub_co_ci_u32_e64 v5, null, v5, v7, vcc_lo
.LBB1_5:                                ;   in Loop: Header=BB1_3 Depth=1
	s_wait_alu 0xfffe
	s_and_not1_saveexec_b32 s2, s38
	s_cbranch_execz .LBB1_7
; %bb.6:                                ;   in Loop: Header=BB1_3 Depth=1
	s_sub_co_i32 s16, 0, s8
	s_wait_alu 0xfffe
	v_mul_lo_u32 v3, s16, v18
	s_delay_alu instid0(VALU_DEP_1) | instskip(NEXT) | instid1(VALU_DEP_1)
	v_mul_hi_u32 v3, v18, v3
	v_add_nc_u32_e32 v3, v18, v3
	s_delay_alu instid0(VALU_DEP_1) | instskip(NEXT) | instid1(VALU_DEP_1)
	v_mul_hi_u32 v3, v0, v3
	v_mul_lo_u32 v4, v3, s8
	v_add_nc_u32_e32 v5, 1, v3
	s_delay_alu instid0(VALU_DEP_2) | instskip(NEXT) | instid1(VALU_DEP_1)
	v_sub_nc_u32_e32 v4, v0, v4
	v_subrev_nc_u32_e32 v6, s8, v4
	v_cmp_le_u32_e32 vcc_lo, s8, v4
	s_wait_alu 0xfffd
	s_delay_alu instid0(VALU_DEP_2) | instskip(NEXT) | instid1(VALU_DEP_1)
	v_dual_cndmask_b32 v4, v4, v6 :: v_dual_cndmask_b32 v3, v3, v5
	v_cmp_le_u32_e32 vcc_lo, s8, v4
	s_delay_alu instid0(VALU_DEP_2) | instskip(SKIP_1) | instid1(VALU_DEP_1)
	v_add_nc_u32_e32 v5, 1, v3
	s_wait_alu 0xfffd
	v_dual_cndmask_b32 v4, v3, v5 :: v_dual_mov_b32 v5, v2
.LBB1_7:                                ;   in Loop: Header=BB1_3 Depth=1
	s_wait_alu 0xfffe
	s_or_b32 exec_lo, exec_lo, s2
	s_delay_alu instid0(VALU_DEP_1) | instskip(SKIP_1) | instid1(VALU_DEP_1)
	v_or_b32_e32 v3, s31, v5
                                        ; implicit-def: $vgpr8_vgpr9
	s_mov_b32 s2, exec_lo
	v_cmpx_ne_u64_e32 0, v[2:3]
	s_wait_alu 0xfffe
	s_xor_b32 s35, exec_lo, s2
	s_cbranch_execz .LBB1_9
; %bb.8:                                ;   in Loop: Header=BB1_3 Depth=1
	s_ashr_i32 s36, s31, 31
	v_ashrrev_i32_e32 v3, 31, v5
	s_wait_alu 0xfffe
	s_mov_b32 s37, s36
	s_wait_alu 0xfffe
	s_add_nc_u64 s[38:39], s[30:31], s[36:37]
	v_add_co_u32 v6, vcc_lo, v4, v3
	s_wait_alu 0xfffe
	s_xor_b64 s[38:39], s[38:39], s[36:37]
	s_wait_alu 0xfffd
	v_add_co_ci_u32_e64 v5, null, v5, v3, vcc_lo
	s_wait_alu 0xfffe
	s_cvt_f32_u32 s2, s38
	s_cvt_f32_u32 s16, s39
	s_sub_nc_u64 s[42:43], 0, s[38:39]
	v_xor_b32_e32 v11, v6, v3
	v_xor_b32_e32 v12, v5, v3
	s_wait_alu 0xfffe
	s_fmamk_f32 s2, s16, 0x4f800000, s2
	v_xor_b32_e32 v3, s36, v3
	s_wait_alu 0xfffe
	s_delay_alu instid0(SALU_CYCLE_1) | instskip(NEXT) | instid1(TRANS32_DEP_1)
	v_s_rcp_f32 s2, s2
	s_mul_f32 s2, s2, 0x5f7ffffc
	s_wait_alu 0xfffe
	s_delay_alu instid0(SALU_CYCLE_2) | instskip(SKIP_1) | instid1(SALU_CYCLE_2)
	s_mul_f32 s16, s2, 0x2f800000
	s_wait_alu 0xfffe
	s_trunc_f32 s16, s16
	s_wait_alu 0xfffe
	s_delay_alu instid0(SALU_CYCLE_2) | instskip(SKIP_2) | instid1(SALU_CYCLE_1)
	s_fmamk_f32 s2, s16, 0xcf800000, s2
	s_cvt_u32_f32 s41, s16
	s_wait_alu 0xfffe
	s_cvt_u32_f32 s40, s2
	s_wait_alu 0xfffe
	s_delay_alu instid0(SALU_CYCLE_2)
	s_mul_u64 s[44:45], s[42:43], s[40:41]
	s_wait_alu 0xfffe
	s_mul_hi_u32 s47, s40, s45
	s_mul_i32 s46, s40, s45
	s_mul_hi_u32 s16, s40, s44
	s_mul_i32 s37, s41, s44
	s_wait_alu 0xfffe
	s_add_nc_u64 s[46:47], s[16:17], s[46:47]
	s_mul_hi_u32 s2, s41, s44
	s_mul_hi_u32 s48, s41, s45
	s_wait_alu 0xfffe
	s_add_co_u32 s16, s46, s37
	s_add_co_ci_u32 s16, s47, s2
	s_mul_i32 s44, s41, s45
	s_add_co_ci_u32 s45, s48, 0
	s_wait_alu 0xfffe
	s_add_nc_u64 s[44:45], s[16:17], s[44:45]
	s_wait_alu 0xfffe
	s_add_co_u32 s40, s40, s44
	s_cselect_b32 s2, -1, 0
	s_wait_alu 0xfffe
	s_cmp_lg_u32 s2, 0
	s_add_co_ci_u32 s41, s41, s45
	s_wait_alu 0xfffe
	s_mul_u64 s[42:43], s[42:43], s[40:41]
	s_wait_alu 0xfffe
	s_mul_hi_u32 s45, s40, s43
	s_mul_i32 s44, s40, s43
	s_mul_hi_u32 s16, s40, s42
	s_mul_i32 s37, s41, s42
	s_wait_alu 0xfffe
	s_add_nc_u64 s[44:45], s[16:17], s[44:45]
	s_mul_hi_u32 s2, s41, s42
	s_mul_hi_u32 s46, s41, s43
	s_wait_alu 0xfffe
	s_add_co_u32 s16, s44, s37
	s_add_co_ci_u32 s16, s45, s2
	s_mul_i32 s42, s41, s43
	s_add_co_ci_u32 s43, s46, 0
	s_wait_alu 0xfffe
	s_add_nc_u64 s[42:43], s[16:17], s[42:43]
	s_wait_alu 0xfffe
	s_add_co_u32 s2, s40, s42
	s_cselect_b32 s16, -1, 0
	s_wait_alu 0xfffe
	v_mul_hi_u32 v13, v11, s2
	s_cmp_lg_u32 s16, 0
	v_mad_co_u64_u32 v[7:8], null, v12, s2, 0
	s_add_co_ci_u32 s16, s41, s43
	s_wait_alu 0xfffe
	v_mad_co_u64_u32 v[5:6], null, v11, s16, 0
	v_mad_co_u64_u32 v[9:10], null, v12, s16, 0
	s_delay_alu instid0(VALU_DEP_2) | instskip(SKIP_1) | instid1(VALU_DEP_3)
	v_add_co_u32 v5, vcc_lo, v13, v5
	s_wait_alu 0xfffd
	v_add_co_ci_u32_e64 v6, null, 0, v6, vcc_lo
	s_delay_alu instid0(VALU_DEP_2) | instskip(SKIP_1) | instid1(VALU_DEP_2)
	v_add_co_u32 v5, vcc_lo, v5, v7
	s_wait_alu 0xfffd
	v_add_co_ci_u32_e32 v5, vcc_lo, v6, v8, vcc_lo
	s_wait_alu 0xfffd
	v_add_co_ci_u32_e32 v6, vcc_lo, 0, v10, vcc_lo
	s_delay_alu instid0(VALU_DEP_2) | instskip(SKIP_1) | instid1(VALU_DEP_2)
	v_add_co_u32 v7, vcc_lo, v5, v9
	s_wait_alu 0xfffd
	v_add_co_ci_u32_e64 v8, null, 0, v6, vcc_lo
	s_delay_alu instid0(VALU_DEP_2) | instskip(SKIP_1) | instid1(VALU_DEP_3)
	v_mul_lo_u32 v9, s39, v7
	v_mad_co_u64_u32 v[5:6], null, s38, v7, 0
	v_mul_lo_u32 v10, s38, v8
	s_delay_alu instid0(VALU_DEP_2) | instskip(NEXT) | instid1(VALU_DEP_2)
	v_sub_co_u32 v5, vcc_lo, v11, v5
	v_add3_u32 v6, v6, v10, v9
	v_add_co_u32 v10, s2, v7, 2
	s_wait_alu 0xf1ff
	v_add_co_ci_u32_e64 v11, null, 0, v8, s2
	s_delay_alu instid0(VALU_DEP_3) | instskip(SKIP_3) | instid1(VALU_DEP_3)
	v_sub_nc_u32_e32 v9, v12, v6
	v_sub_co_u32 v13, s2, v5, s38
	s_wait_alu 0xfffd
	v_sub_co_ci_u32_e64 v6, null, v12, v6, vcc_lo
	v_subrev_co_ci_u32_e64 v9, null, s39, v9, vcc_lo
	s_delay_alu instid0(VALU_DEP_3) | instskip(SKIP_1) | instid1(VALU_DEP_2)
	v_cmp_le_u32_e32 vcc_lo, s38, v13
	s_wait_alu 0xf1ff
	v_subrev_co_ci_u32_e64 v9, null, 0, v9, s2
	s_wait_alu 0xfffd
	v_cndmask_b32_e64 v12, 0, -1, vcc_lo
	s_delay_alu instid0(VALU_DEP_2)
	v_cmp_le_u32_e32 vcc_lo, s39, v9
	s_wait_alu 0xfffd
	v_cndmask_b32_e64 v13, 0, -1, vcc_lo
	v_cmp_le_u32_e32 vcc_lo, s38, v5
	s_wait_alu 0xfffd
	v_cndmask_b32_e64 v5, 0, -1, vcc_lo
	;; [unrolled: 3-line block ×3, first 2 shown]
	v_cmp_eq_u32_e32 vcc_lo, s39, v9
	s_wait_alu 0xfffd
	v_cndmask_b32_e32 v9, v13, v12, vcc_lo
	v_add_co_u32 v12, vcc_lo, v7, 1
	s_wait_alu 0xfffd
	v_add_co_ci_u32_e64 v13, null, 0, v8, vcc_lo
	v_cmp_eq_u32_e32 vcc_lo, s39, v6
	s_wait_alu 0xfffd
	v_cndmask_b32_e32 v5, v14, v5, vcc_lo
	v_cmp_ne_u32_e32 vcc_lo, 0, v9
	s_wait_alu 0xfffd
	v_cndmask_b32_e32 v6, v13, v11, vcc_lo
	s_delay_alu instid0(VALU_DEP_3) | instskip(SKIP_2) | instid1(VALU_DEP_2)
	v_cmp_ne_u32_e64 s2, 0, v5
	v_cndmask_b32_e32 v5, v12, v10, vcc_lo
	s_wait_alu 0xf1ff
	v_cndmask_b32_e64 v6, v8, v6, s2
	s_delay_alu instid0(VALU_DEP_2) | instskip(NEXT) | instid1(VALU_DEP_2)
	v_cndmask_b32_e64 v5, v7, v5, s2
	v_xor_b32_e32 v6, v6, v3
	s_delay_alu instid0(VALU_DEP_2) | instskip(NEXT) | instid1(VALU_DEP_1)
	v_xor_b32_e32 v5, v5, v3
	v_sub_co_u32 v8, vcc_lo, v5, v3
	s_wait_alu 0xfffd
	s_delay_alu instid0(VALU_DEP_3)
	v_sub_co_ci_u32_e64 v9, null, v6, v3, vcc_lo
.LBB1_9:                                ;   in Loop: Header=BB1_3 Depth=1
	s_wait_alu 0xfffe
	s_and_not1_saveexec_b32 s2, s35
	s_cbranch_execz .LBB1_11
; %bb.10:                               ;   in Loop: Header=BB1_3 Depth=1
	s_sub_co_i32 s16, 0, s30
	v_mov_b32_e32 v9, v2
	s_wait_alu 0xfffe
	v_mul_lo_u32 v3, s16, v19
	s_delay_alu instid0(VALU_DEP_1) | instskip(NEXT) | instid1(VALU_DEP_1)
	v_mul_hi_u32 v3, v19, v3
	v_add_nc_u32_e32 v3, v19, v3
	s_delay_alu instid0(VALU_DEP_1) | instskip(NEXT) | instid1(VALU_DEP_1)
	v_mul_hi_u32 v3, v4, v3
	v_mul_lo_u32 v5, v3, s30
	v_add_nc_u32_e32 v6, 1, v3
	s_delay_alu instid0(VALU_DEP_2) | instskip(NEXT) | instid1(VALU_DEP_1)
	v_sub_nc_u32_e32 v5, v4, v5
	v_cmp_le_u32_e32 vcc_lo, s30, v5
	v_subrev_nc_u32_e32 v7, s30, v5
	s_wait_alu 0xfffd
	v_cndmask_b32_e32 v3, v3, v6, vcc_lo
	s_delay_alu instid0(VALU_DEP_1) | instskip(NEXT) | instid1(VALU_DEP_3)
	v_add_nc_u32_e32 v6, 1, v3
	v_cndmask_b32_e32 v5, v5, v7, vcc_lo
	s_delay_alu instid0(VALU_DEP_1) | instskip(SKIP_1) | instid1(VALU_DEP_3)
	v_cmp_le_u32_e32 vcc_lo, s30, v5
	s_wait_alu 0xfffd
	v_cndmask_b32_e32 v8, v3, v6, vcc_lo
.LBB1_11:                               ;   in Loop: Header=BB1_3 Depth=1
	s_wait_alu 0xfffe
	s_or_b32 exec_lo, exec_lo, s2
	v_mad_co_u64_u32 v[5:6], null, v4, s8, 0
	s_delay_alu instid0(VALU_DEP_2) | instskip(SKIP_3) | instid1(VALU_DEP_2)
	v_mad_co_u64_u32 v[6:7], null, v8, s30, 0
	s_and_not1_b32 vcc_lo, exec_lo, s53
	v_sub_co_u32 v20, null, v0, v5
	v_sub_co_u32 v21, null, v4, v6
	v_mul_lo_u32 v3, s55, v20
	v_mul_lo_u32 v5, s56, v20
	s_delay_alu instid0(VALU_DEP_2) | instskip(NEXT) | instid1(VALU_DEP_1)
	v_mad_co_u64_u32 v[6:7], null, s22, v21, v[3:4]
	v_mad_co_u64_u32 v[4:5], null, s26, v21, v[5:6]
	s_wait_alu 0xfffe
	s_cbranch_vccnz .LBB1_38
; %bb.12:                               ;   in Loop: Header=BB1_3 Depth=1
	s_mov_b32 s35, 1
	s_and_not1_b32 vcc_lo, exec_lo, s57
	s_mov_b32 s16, s33
	s_mov_b32 s2, s33
	s_wait_alu 0xfffe
	s_cbranch_vccz .LBB1_15
; %bb.13:                               ;   in Loop: Header=BB1_3 Depth=1
	s_and_b32 vcc_lo, exec_lo, s58
	s_mov_b32 s16, s2
	s_wait_alu 0xfffe
	s_cbranch_vccnz .LBB1_20
	s_branch .LBB1_38
.LBB1_14:                               ;   in Loop: Header=BB1_15 Depth=2
	s_wait_alu 0xfffe
	s_or_b32 exec_lo, exec_lo, s2
	s_add_nc_u64 s[40:41], s[0:1], s[40:41]
	s_clause 0x1
	s_load_b32 s2, s[38:39], 0x6c
	s_load_b32 s37, s[40:41], 0x6c
	v_mul_lo_u32 v3, v10, s36
	s_add_co_i32 s16, s16, -1
	s_delay_alu instid0(VALU_DEP_1) | instskip(SKIP_2) | instid1(VALU_DEP_2)
	v_sub_nc_u32_e32 v3, v8, v3
	v_dual_mov_b32 v8, v10 :: v_dual_mov_b32 v9, v11
	s_wait_kmcnt 0x0
	v_mad_co_u64_u32 v[6:7], null, s2, v3, v[6:7]
	v_mad_co_u64_u32 v[4:5], null, s37, v3, v[4:5]
	s_xor_b32 s2, s52, s35
	s_add_co_i32 s35, s35, 1
	s_wait_alu 0xfffe
	s_cmp_lg_u32 s2, 2
	s_cbranch_scc0 .LBB1_19
.LBB1_15:                               ;   Parent Loop BB1_3 Depth=1
                                        ; =>  This Inner Loop Header: Depth=2
	s_lshl_b64 s[40:41], s[16:17], 2
                                        ; implicit-def: $vgpr10_vgpr11
	s_mov_b32 s2, exec_lo
	s_wait_alu 0xfffe
	s_add_nc_u64 s[38:39], s[12:13], s[40:41]
	s_load_b32 s36, s[38:39], 0x8
	s_wait_kmcnt 0x0
	s_ashr_i32 s37, s36, 31
	s_wait_alu 0xfffe
	v_or_b32_e32 v3, s37, v9
	s_delay_alu instid0(VALU_DEP_1)
	v_cmpx_ne_u64_e32 0, v[2:3]
	s_xor_b32 s46, exec_lo, s2
	s_cbranch_execz .LBB1_17
; %bb.16:                               ;   in Loop: Header=BB1_15 Depth=2
	s_ashr_i32 s42, s37, 31
	s_mov_b32 s63, s17
	s_wait_alu 0xfffe
	s_mov_b32 s43, s42
	s_mov_b32 s67, s17
	s_wait_alu 0xfffe
	s_add_nc_u64 s[44:45], s[36:37], s[42:43]
	v_ashrrev_i32_e32 v3, 31, v9
	s_wait_alu 0xfffe
	s_xor_b64 s[44:45], s[44:45], s[42:43]
	s_wait_alu 0xfffe
	s_cvt_f32_u32 s2, s44
	s_cvt_f32_u32 s37, s45
	s_sub_nc_u64 s[50:51], 0, s[44:45]
	v_add_co_u32 v5, vcc_lo, v8, v3
	s_wait_alu 0xfffe
	s_fmamk_f32 s2, s37, 0x4f800000, s2
	s_wait_alu 0xfffd
	v_add_co_ci_u32_e64 v7, null, v9, v3, vcc_lo
	v_xor_b32_e32 v5, v5, v3
	s_wait_alu 0xfffe
	v_s_rcp_f32 s2, s2
	s_delay_alu instid0(VALU_DEP_2) | instskip(SKIP_1) | instid1(TRANS32_DEP_1)
	v_xor_b32_e32 v7, v7, v3
	v_xor_b32_e32 v3, s42, v3
	s_mul_f32 s2, s2, 0x5f7ffffc
	s_wait_alu 0xfffe
	s_delay_alu instid0(SALU_CYCLE_2) | instskip(SKIP_1) | instid1(SALU_CYCLE_2)
	s_mul_f32 s37, s2, 0x2f800000
	s_wait_alu 0xfffe
	s_trunc_f32 s37, s37
	s_wait_alu 0xfffe
	s_delay_alu instid0(SALU_CYCLE_2) | instskip(SKIP_2) | instid1(SALU_CYCLE_1)
	s_fmamk_f32 s2, s37, 0xcf800000, s2
	s_cvt_u32_f32 s49, s37
	s_wait_alu 0xfffe
	s_cvt_u32_f32 s48, s2
	s_wait_alu 0xfffe
	s_delay_alu instid0(SALU_CYCLE_2) | instskip(NEXT) | instid1(SALU_CYCLE_1)
	s_mul_u64 s[64:65], s[50:51], s[48:49]
	s_mul_hi_u32 s69, s48, s65
	s_mul_i32 s68, s48, s65
	s_mul_hi_u32 s62, s48, s64
	s_mul_i32 s37, s49, s64
	s_wait_alu 0xfffe
	s_add_nc_u64 s[62:63], s[62:63], s[68:69]
	s_mul_hi_u32 s2, s49, s64
	s_mul_hi_u32 s43, s49, s65
	s_wait_alu 0xfffe
	s_add_co_u32 s37, s62, s37
	s_add_co_ci_u32 s66, s63, s2
	s_mul_i32 s64, s49, s65
	s_add_co_ci_u32 s65, s43, 0
	s_delay_alu instid0(SALU_CYCLE_1)
	s_add_nc_u64 s[62:63], s[66:67], s[64:65]
	s_mov_b32 s65, s17
	s_wait_alu 0xfffe
	s_add_co_u32 s48, s48, s62
	s_cselect_b32 s2, -1, 0
	s_wait_alu 0xfffe
	s_cmp_lg_u32 s2, 0
	s_add_co_ci_u32 s49, s49, s63
	s_mov_b32 s63, s17
	s_wait_alu 0xfffe
	s_mul_u64 s[50:51], s[50:51], s[48:49]
	s_wait_alu 0xfffe
	s_mul_hi_u32 s67, s48, s51
	s_mul_i32 s66, s48, s51
	s_mul_hi_u32 s64, s48, s50
	s_mul_i32 s37, s49, s50
	s_add_nc_u64 s[64:65], s[64:65], s[66:67]
	s_mul_hi_u32 s2, s49, s50
	s_mul_hi_u32 s43, s49, s51
	s_wait_alu 0xfffe
	s_add_co_u32 s37, s64, s37
	s_add_co_ci_u32 s62, s65, s2
	s_mul_i32 s50, s49, s51
	s_add_co_ci_u32 s51, s43, 0
	s_wait_alu 0xfffe
	s_add_nc_u64 s[50:51], s[62:63], s[50:51]
	s_wait_alu 0xfffe
	s_add_co_u32 s2, s48, s50
	s_cselect_b32 s37, -1, 0
	s_wait_alu 0xfffe
	v_mul_hi_u32 v15, v5, s2
	s_cmp_lg_u32 s37, 0
	v_mad_co_u64_u32 v[11:12], null, v7, s2, 0
	s_add_co_ci_u32 s37, s49, s51
	s_wait_alu 0xfffe
	v_mad_co_u64_u32 v[9:10], null, v5, s37, 0
	v_mad_co_u64_u32 v[13:14], null, v7, s37, 0
	s_delay_alu instid0(VALU_DEP_2) | instskip(SKIP_1) | instid1(VALU_DEP_3)
	v_add_co_u32 v9, vcc_lo, v15, v9
	s_wait_alu 0xfffd
	v_add_co_ci_u32_e64 v10, null, 0, v10, vcc_lo
	s_delay_alu instid0(VALU_DEP_2) | instskip(SKIP_1) | instid1(VALU_DEP_2)
	v_add_co_u32 v9, vcc_lo, v9, v11
	s_wait_alu 0xfffd
	v_add_co_ci_u32_e32 v9, vcc_lo, v10, v12, vcc_lo
	s_wait_alu 0xfffd
	v_add_co_ci_u32_e32 v10, vcc_lo, 0, v14, vcc_lo
	s_delay_alu instid0(VALU_DEP_2) | instskip(SKIP_1) | instid1(VALU_DEP_2)
	v_add_co_u32 v11, vcc_lo, v9, v13
	s_wait_alu 0xfffd
	v_add_co_ci_u32_e64 v12, null, 0, v10, vcc_lo
	s_delay_alu instid0(VALU_DEP_2) | instskip(SKIP_1) | instid1(VALU_DEP_3)
	v_mul_lo_u32 v13, s45, v11
	v_mad_co_u64_u32 v[9:10], null, s44, v11, 0
	v_mul_lo_u32 v14, s44, v12
	s_delay_alu instid0(VALU_DEP_2) | instskip(NEXT) | instid1(VALU_DEP_2)
	v_sub_co_u32 v5, vcc_lo, v5, v9
	v_add3_u32 v10, v10, v14, v13
	s_delay_alu instid0(VALU_DEP_1) | instskip(SKIP_2) | instid1(VALU_DEP_2)
	v_sub_nc_u32_e32 v13, v7, v10
	s_wait_alu 0xfffd
	v_sub_co_ci_u32_e64 v7, null, v7, v10, vcc_lo
	v_subrev_co_ci_u32_e64 v9, null, s45, v13, vcc_lo
	v_add_co_u32 v13, s2, v11, 2
	s_wait_alu 0xf1ff
	v_add_co_ci_u32_e64 v14, null, 0, v12, s2
	v_sub_co_u32 v15, s2, v5, s44
	s_wait_alu 0xf1ff
	v_subrev_co_ci_u32_e64 v9, null, 0, v9, s2
	s_delay_alu instid0(VALU_DEP_2) | instskip(SKIP_2) | instid1(VALU_DEP_3)
	v_cmp_le_u32_e32 vcc_lo, s44, v15
	s_wait_alu 0xfffd
	v_cndmask_b32_e64 v10, 0, -1, vcc_lo
	v_cmp_le_u32_e32 vcc_lo, s45, v9
	s_wait_alu 0xfffd
	v_cndmask_b32_e64 v15, 0, -1, vcc_lo
	;; [unrolled: 3-line block ×4, first 2 shown]
	v_cmp_eq_u32_e32 vcc_lo, s45, v9
	s_wait_alu 0xfffd
	v_cndmask_b32_e32 v9, v15, v10, vcc_lo
	v_add_co_u32 v10, vcc_lo, v11, 1
	s_wait_alu 0xfffd
	v_add_co_ci_u32_e64 v15, null, 0, v12, vcc_lo
	v_cmp_eq_u32_e32 vcc_lo, s45, v7
	s_wait_alu 0xfffd
	v_cndmask_b32_e32 v5, v16, v5, vcc_lo
	v_cmp_ne_u32_e32 vcc_lo, 0, v9
	s_delay_alu instid0(VALU_DEP_2) | instskip(SKIP_4) | instid1(VALU_DEP_2)
	v_cmp_ne_u32_e64 s2, 0, v5
	s_wait_alu 0xfffd
	v_cndmask_b32_e32 v5, v10, v13, vcc_lo
	v_cndmask_b32_e32 v7, v15, v14, vcc_lo
	s_wait_alu 0xf1ff
	v_cndmask_b32_e64 v5, v11, v5, s2
	s_delay_alu instid0(VALU_DEP_2) | instskip(NEXT) | instid1(VALU_DEP_2)
	v_cndmask_b32_e64 v7, v12, v7, s2
	v_xor_b32_e32 v5, v5, v3
	s_delay_alu instid0(VALU_DEP_2) | instskip(NEXT) | instid1(VALU_DEP_2)
	v_xor_b32_e32 v7, v7, v3
	v_sub_co_u32 v10, vcc_lo, v5, v3
	s_wait_alu 0xfffd
	s_delay_alu instid0(VALU_DEP_2)
	v_sub_co_ci_u32_e64 v11, null, v7, v3, vcc_lo
.LBB1_17:                               ;   in Loop: Header=BB1_15 Depth=2
	s_wait_alu 0xfffe
	s_and_not1_saveexec_b32 s2, s46
	s_cbranch_execz .LBB1_14
; %bb.18:                               ;   in Loop: Header=BB1_15 Depth=2
	v_cvt_f32_u32_e32 v3, s36
	s_sub_co_i32 s37, 0, s36
	v_mov_b32_e32 v11, v2
	s_delay_alu instid0(VALU_DEP_2) | instskip(NEXT) | instid1(TRANS32_DEP_1)
	v_rcp_iflag_f32_e32 v3, v3
	v_mul_f32_e32 v3, 0x4f7ffffe, v3
	s_delay_alu instid0(VALU_DEP_1) | instskip(SKIP_1) | instid1(VALU_DEP_1)
	v_cvt_u32_f32_e32 v3, v3
	s_wait_alu 0xfffe
	v_mul_lo_u32 v5, s37, v3
	s_delay_alu instid0(VALU_DEP_1) | instskip(NEXT) | instid1(VALU_DEP_1)
	v_mul_hi_u32 v5, v3, v5
	v_add_nc_u32_e32 v3, v3, v5
	s_delay_alu instid0(VALU_DEP_1) | instskip(NEXT) | instid1(VALU_DEP_1)
	v_mul_hi_u32 v3, v8, v3
	v_mul_lo_u32 v5, v3, s36
	v_add_nc_u32_e32 v7, 1, v3
	s_delay_alu instid0(VALU_DEP_2) | instskip(NEXT) | instid1(VALU_DEP_1)
	v_sub_nc_u32_e32 v5, v8, v5
	v_cmp_le_u32_e32 vcc_lo, s36, v5
	v_subrev_nc_u32_e32 v9, s36, v5
	s_wait_alu 0xfffd
	v_cndmask_b32_e32 v3, v3, v7, vcc_lo
	s_delay_alu instid0(VALU_DEP_1) | instskip(NEXT) | instid1(VALU_DEP_3)
	v_add_nc_u32_e32 v7, 1, v3
	v_cndmask_b32_e32 v5, v5, v9, vcc_lo
	s_delay_alu instid0(VALU_DEP_1) | instskip(SKIP_1) | instid1(VALU_DEP_3)
	v_cmp_le_u32_e32 vcc_lo, s36, v5
	s_wait_alu 0xfffd
	v_cndmask_b32_e32 v10, v3, v7, vcc_lo
	s_branch .LBB1_14
.LBB1_19:                               ;   in Loop: Header=BB1_3 Depth=1
	s_mov_b32 s2, s16
	s_and_b32 vcc_lo, exec_lo, s58
	s_wait_alu 0xfffe
	s_mov_b32 s16, s2
	s_cbranch_vccz .LBB1_38
.LBB1_20:                               ;   Parent Loop BB1_3 Depth=1
                                        ; =>  This Inner Loop Header: Depth=2
	s_wait_alu 0xfffe
	s_lshl_b64 s[46:47], s[16:17], 2
                                        ; implicit-def: $vgpr10_vgpr11
	s_mov_b32 s2, exec_lo
	s_wait_alu 0xfffe
	s_add_nc_u64 s[40:41], s[12:13], s[46:47]
	s_load_b32 s36, s[40:41], 0x8
	s_wait_kmcnt 0x0
	s_ashr_i32 s37, s36, 31
	s_wait_alu 0xfffe
	v_or_b32_e32 v3, s37, v9
	s_delay_alu instid0(VALU_DEP_1)
	v_cmpx_ne_u64_e32 0, v[2:3]
	s_xor_b32 s35, exec_lo, s2
	s_cbranch_execz .LBB1_22
; %bb.21:                               ;   in Loop: Header=BB1_20 Depth=2
	s_ashr_i32 s38, s37, 31
	s_mov_b32 s51, s17
	s_wait_alu 0xfffe
	s_mov_b32 s39, s38
	s_mov_b32 s65, s17
	s_wait_alu 0xfffe
	s_add_nc_u64 s[42:43], s[36:37], s[38:39]
	v_ashrrev_i32_e32 v3, 31, v9
	s_wait_alu 0xfffe
	s_xor_b64 s[42:43], s[42:43], s[38:39]
	s_wait_alu 0xfffe
	s_cvt_f32_u32 s2, s42
	s_cvt_f32_u32 s37, s43
	s_sub_nc_u64 s[48:49], 0, s[42:43]
	v_add_co_u32 v5, vcc_lo, v8, v3
	s_wait_alu 0xfffe
	s_fmamk_f32 s2, s37, 0x4f800000, s2
	s_wait_alu 0xfffd
	v_add_co_ci_u32_e64 v7, null, v9, v3, vcc_lo
	v_xor_b32_e32 v5, v5, v3
	s_wait_alu 0xfffe
	v_s_rcp_f32 s2, s2
	s_delay_alu instid0(VALU_DEP_2) | instskip(SKIP_1) | instid1(TRANS32_DEP_1)
	v_xor_b32_e32 v7, v7, v3
	v_xor_b32_e32 v3, s38, v3
	s_mul_f32 s2, s2, 0x5f7ffffc
	s_wait_alu 0xfffe
	s_delay_alu instid0(SALU_CYCLE_2) | instskip(SKIP_1) | instid1(SALU_CYCLE_2)
	s_mul_f32 s37, s2, 0x2f800000
	s_wait_alu 0xfffe
	s_trunc_f32 s37, s37
	s_wait_alu 0xfffe
	s_delay_alu instid0(SALU_CYCLE_2) | instskip(SKIP_2) | instid1(SALU_CYCLE_1)
	s_fmamk_f32 s2, s37, 0xcf800000, s2
	s_cvt_u32_f32 s45, s37
	s_wait_alu 0xfffe
	s_cvt_u32_f32 s44, s2
	s_wait_alu 0xfffe
	s_delay_alu instid0(SALU_CYCLE_2)
	s_mul_u64 s[62:63], s[48:49], s[44:45]
	s_wait_alu 0xfffe
	s_mul_hi_u32 s67, s44, s63
	s_mul_i32 s66, s44, s63
	s_mul_hi_u32 s50, s44, s62
	s_mul_i32 s37, s45, s62
	s_wait_alu 0xfffe
	s_add_nc_u64 s[50:51], s[50:51], s[66:67]
	s_mul_hi_u32 s2, s45, s62
	s_mul_hi_u32 s39, s45, s63
	s_wait_alu 0xfffe
	s_add_co_u32 s37, s50, s37
	s_add_co_ci_u32 s64, s51, s2
	s_mul_i32 s62, s45, s63
	s_add_co_ci_u32 s63, s39, 0
	s_wait_alu 0xfffe
	s_add_nc_u64 s[50:51], s[64:65], s[62:63]
	s_mov_b32 s63, s17
	s_wait_alu 0xfffe
	s_add_co_u32 s44, s44, s50
	s_cselect_b32 s2, -1, 0
	s_wait_alu 0xfffe
	s_cmp_lg_u32 s2, 0
	s_add_co_ci_u32 s45, s45, s51
	s_mov_b32 s51, s17
	s_wait_alu 0xfffe
	s_mul_u64 s[48:49], s[48:49], s[44:45]
	s_wait_alu 0xfffe
	s_mul_hi_u32 s65, s44, s49
	s_mul_i32 s64, s44, s49
	s_mul_hi_u32 s62, s44, s48
	s_mul_i32 s37, s45, s48
	s_wait_alu 0xfffe
	s_add_nc_u64 s[62:63], s[62:63], s[64:65]
	s_mul_hi_u32 s2, s45, s48
	s_mul_hi_u32 s39, s45, s49
	s_wait_alu 0xfffe
	s_add_co_u32 s37, s62, s37
	s_add_co_ci_u32 s50, s63, s2
	s_mul_i32 s48, s45, s49
	s_add_co_ci_u32 s49, s39, 0
	s_wait_alu 0xfffe
	s_add_nc_u64 s[48:49], s[50:51], s[48:49]
	s_wait_alu 0xfffe
	s_add_co_u32 s2, s44, s48
	s_cselect_b32 s37, -1, 0
	s_wait_alu 0xfffe
	v_mul_hi_u32 v15, v5, s2
	s_cmp_lg_u32 s37, 0
	v_mad_co_u64_u32 v[11:12], null, v7, s2, 0
	s_add_co_ci_u32 s37, s45, s49
	s_wait_alu 0xfffe
	v_mad_co_u64_u32 v[9:10], null, v5, s37, 0
	v_mad_co_u64_u32 v[13:14], null, v7, s37, 0
	s_delay_alu instid0(VALU_DEP_2) | instskip(SKIP_1) | instid1(VALU_DEP_3)
	v_add_co_u32 v9, vcc_lo, v15, v9
	s_wait_alu 0xfffd
	v_add_co_ci_u32_e64 v10, null, 0, v10, vcc_lo
	s_delay_alu instid0(VALU_DEP_2) | instskip(SKIP_1) | instid1(VALU_DEP_2)
	v_add_co_u32 v9, vcc_lo, v9, v11
	s_wait_alu 0xfffd
	v_add_co_ci_u32_e32 v9, vcc_lo, v10, v12, vcc_lo
	s_wait_alu 0xfffd
	v_add_co_ci_u32_e32 v10, vcc_lo, 0, v14, vcc_lo
	s_delay_alu instid0(VALU_DEP_2) | instskip(SKIP_1) | instid1(VALU_DEP_2)
	v_add_co_u32 v11, vcc_lo, v9, v13
	s_wait_alu 0xfffd
	v_add_co_ci_u32_e64 v12, null, 0, v10, vcc_lo
	s_delay_alu instid0(VALU_DEP_2) | instskip(SKIP_1) | instid1(VALU_DEP_3)
	v_mul_lo_u32 v13, s43, v11
	v_mad_co_u64_u32 v[9:10], null, s42, v11, 0
	v_mul_lo_u32 v14, s42, v12
	s_delay_alu instid0(VALU_DEP_2) | instskip(NEXT) | instid1(VALU_DEP_2)
	v_sub_co_u32 v5, vcc_lo, v5, v9
	v_add3_u32 v10, v10, v14, v13
	s_delay_alu instid0(VALU_DEP_1) | instskip(SKIP_2) | instid1(VALU_DEP_2)
	v_sub_nc_u32_e32 v13, v7, v10
	s_wait_alu 0xfffd
	v_sub_co_ci_u32_e64 v7, null, v7, v10, vcc_lo
	v_subrev_co_ci_u32_e64 v9, null, s43, v13, vcc_lo
	v_add_co_u32 v13, s2, v11, 2
	s_wait_alu 0xf1ff
	v_add_co_ci_u32_e64 v14, null, 0, v12, s2
	v_sub_co_u32 v15, s2, v5, s42
	s_wait_alu 0xf1ff
	v_subrev_co_ci_u32_e64 v9, null, 0, v9, s2
	s_delay_alu instid0(VALU_DEP_2) | instskip(SKIP_2) | instid1(VALU_DEP_3)
	v_cmp_le_u32_e32 vcc_lo, s42, v15
	s_wait_alu 0xfffd
	v_cndmask_b32_e64 v10, 0, -1, vcc_lo
	v_cmp_le_u32_e32 vcc_lo, s43, v9
	s_wait_alu 0xfffd
	v_cndmask_b32_e64 v15, 0, -1, vcc_lo
	v_cmp_le_u32_e32 vcc_lo, s42, v5
	s_wait_alu 0xfffd
	v_cndmask_b32_e64 v5, 0, -1, vcc_lo
	v_cmp_le_u32_e32 vcc_lo, s43, v7
	s_wait_alu 0xfffd
	v_cndmask_b32_e64 v16, 0, -1, vcc_lo
	v_cmp_eq_u32_e32 vcc_lo, s43, v9
	s_wait_alu 0xfffd
	v_cndmask_b32_e32 v9, v15, v10, vcc_lo
	v_add_co_u32 v10, vcc_lo, v11, 1
	s_wait_alu 0xfffd
	v_add_co_ci_u32_e64 v15, null, 0, v12, vcc_lo
	v_cmp_eq_u32_e32 vcc_lo, s43, v7
	s_wait_alu 0xfffd
	v_cndmask_b32_e32 v5, v16, v5, vcc_lo
	v_cmp_ne_u32_e32 vcc_lo, 0, v9
	s_delay_alu instid0(VALU_DEP_2) | instskip(SKIP_4) | instid1(VALU_DEP_2)
	v_cmp_ne_u32_e64 s2, 0, v5
	s_wait_alu 0xfffd
	v_cndmask_b32_e32 v5, v10, v13, vcc_lo
	v_cndmask_b32_e32 v7, v15, v14, vcc_lo
	s_wait_alu 0xf1ff
	v_cndmask_b32_e64 v5, v11, v5, s2
	s_delay_alu instid0(VALU_DEP_2) | instskip(NEXT) | instid1(VALU_DEP_2)
	v_cndmask_b32_e64 v7, v12, v7, s2
	v_xor_b32_e32 v5, v5, v3
	s_delay_alu instid0(VALU_DEP_2) | instskip(NEXT) | instid1(VALU_DEP_2)
	v_xor_b32_e32 v7, v7, v3
	v_sub_co_u32 v10, vcc_lo, v5, v3
	s_wait_alu 0xfffd
	s_delay_alu instid0(VALU_DEP_2)
	v_sub_co_ci_u32_e64 v11, null, v7, v3, vcc_lo
.LBB1_22:                               ;   in Loop: Header=BB1_20 Depth=2
	s_wait_alu 0xfffe
	s_and_not1_saveexec_b32 s2, s35
	s_cbranch_execz .LBB1_24
; %bb.23:                               ;   in Loop: Header=BB1_20 Depth=2
	v_cvt_f32_u32_e32 v3, s36
	s_sub_co_i32 s35, 0, s36
	v_mov_b32_e32 v11, v2
	s_delay_alu instid0(VALU_DEP_2) | instskip(NEXT) | instid1(TRANS32_DEP_1)
	v_rcp_iflag_f32_e32 v3, v3
	v_mul_f32_e32 v3, 0x4f7ffffe, v3
	s_delay_alu instid0(VALU_DEP_1) | instskip(SKIP_1) | instid1(VALU_DEP_1)
	v_cvt_u32_f32_e32 v3, v3
	s_wait_alu 0xfffe
	v_mul_lo_u32 v5, s35, v3
	s_delay_alu instid0(VALU_DEP_1) | instskip(NEXT) | instid1(VALU_DEP_1)
	v_mul_hi_u32 v5, v3, v5
	v_add_nc_u32_e32 v3, v3, v5
	s_delay_alu instid0(VALU_DEP_1) | instskip(NEXT) | instid1(VALU_DEP_1)
	v_mul_hi_u32 v3, v8, v3
	v_mul_lo_u32 v5, v3, s36
	v_add_nc_u32_e32 v7, 1, v3
	s_delay_alu instid0(VALU_DEP_2) | instskip(NEXT) | instid1(VALU_DEP_1)
	v_sub_nc_u32_e32 v5, v8, v5
	v_cmp_le_u32_e32 vcc_lo, s36, v5
	v_subrev_nc_u32_e32 v9, s36, v5
	s_wait_alu 0xfffd
	v_cndmask_b32_e32 v3, v3, v7, vcc_lo
	s_delay_alu instid0(VALU_DEP_1) | instskip(NEXT) | instid1(VALU_DEP_3)
	v_add_nc_u32_e32 v7, 1, v3
	v_cndmask_b32_e32 v5, v5, v9, vcc_lo
	s_delay_alu instid0(VALU_DEP_1) | instskip(SKIP_1) | instid1(VALU_DEP_3)
	v_cmp_le_u32_e32 vcc_lo, s36, v5
	s_wait_alu 0xfffd
	v_cndmask_b32_e32 v10, v3, v7, vcc_lo
.LBB1_24:                               ;   in Loop: Header=BB1_20 Depth=2
	s_wait_alu 0xfffe
	s_or_b32 exec_lo, exec_lo, s2
	s_add_co_i32 s38, s16, -1
	s_mov_b32 s39, s17
	s_add_nc_u64 s[46:47], s[0:1], s[46:47]
	s_wait_alu 0xfffe
	s_lshl_b64 s[44:45], s[38:39], 2
                                        ; implicit-def: $vgpr12_vgpr13
	s_mov_b32 s2, exec_lo
	s_wait_alu 0xfffe
	s_add_nc_u64 s[42:43], s[12:13], s[44:45]
	s_clause 0x2
	s_load_b32 s38, s[42:43], 0x8
	s_load_b32 s35, s[40:41], 0x6c
	;; [unrolled: 1-line block ×3, first 2 shown]
	s_wait_kmcnt 0x0
	s_ashr_i32 s39, s38, 31
	s_wait_alu 0xfffe
	v_or_b32_e32 v3, s39, v11
	s_delay_alu instid0(VALU_DEP_1)
	v_cmpx_ne_u64_e32 0, v[2:3]
	s_xor_b32 s48, exec_lo, s2
	s_cbranch_execz .LBB1_26
; %bb.25:                               ;   in Loop: Header=BB1_20 Depth=2
	s_ashr_i32 s40, s39, 31
	s_mov_b32 s65, s17
	s_wait_alu 0xfffe
	s_mov_b32 s41, s40
	s_mov_b32 s69, s17
	s_wait_alu 0xfffe
	s_add_nc_u64 s[46:47], s[38:39], s[40:41]
	v_ashrrev_i32_e32 v3, 31, v11
	s_wait_alu 0xfffe
	s_xor_b64 s[46:47], s[46:47], s[40:41]
	s_wait_alu 0xfffe
	s_cvt_f32_u32 s2, s46
	s_cvt_f32_u32 s39, s47
	s_sub_nc_u64 s[62:63], 0, s[46:47]
	v_add_co_u32 v5, vcc_lo, v10, v3
	s_wait_alu 0xfffe
	s_fmamk_f32 s2, s39, 0x4f800000, s2
	s_wait_alu 0xfffd
	v_add_co_ci_u32_e64 v7, null, v11, v3, vcc_lo
	v_xor_b32_e32 v5, v5, v3
	s_wait_alu 0xfffe
	v_s_rcp_f32 s2, s2
	s_delay_alu instid0(VALU_DEP_2) | instskip(SKIP_1) | instid1(TRANS32_DEP_1)
	v_xor_b32_e32 v7, v7, v3
	v_xor_b32_e32 v3, s40, v3
	s_mul_f32 s2, s2, 0x5f7ffffc
	s_wait_alu 0xfffe
	s_delay_alu instid0(SALU_CYCLE_2) | instskip(SKIP_1) | instid1(SALU_CYCLE_2)
	s_mul_f32 s39, s2, 0x2f800000
	s_wait_alu 0xfffe
	s_trunc_f32 s39, s39
	s_wait_alu 0xfffe
	s_delay_alu instid0(SALU_CYCLE_2) | instskip(SKIP_2) | instid1(SALU_CYCLE_1)
	s_fmamk_f32 s2, s39, 0xcf800000, s2
	s_cvt_u32_f32 s51, s39
	s_wait_alu 0xfffe
	s_cvt_u32_f32 s50, s2
	s_wait_alu 0xfffe
	s_delay_alu instid0(SALU_CYCLE_2) | instskip(NEXT) | instid1(SALU_CYCLE_1)
	s_mul_u64 s[66:67], s[62:63], s[50:51]
	s_mul_hi_u32 s71, s50, s67
	s_mul_i32 s70, s50, s67
	s_mul_hi_u32 s64, s50, s66
	s_mul_i32 s39, s51, s66
	s_add_nc_u64 s[64:65], s[64:65], s[70:71]
	s_mul_hi_u32 s2, s51, s66
	s_mul_hi_u32 s41, s51, s67
	s_wait_alu 0xfffe
	s_add_co_u32 s39, s64, s39
	s_add_co_ci_u32 s68, s65, s2
	s_mul_i32 s66, s51, s67
	s_add_co_ci_u32 s67, s41, 0
	s_delay_alu instid0(SALU_CYCLE_1)
	s_add_nc_u64 s[64:65], s[68:69], s[66:67]
	s_mov_b32 s67, s17
	s_add_co_u32 s50, s50, s64
	s_cselect_b32 s2, -1, 0
	s_wait_alu 0xfffe
	s_cmp_lg_u32 s2, 0
	s_add_co_ci_u32 s51, s51, s65
	s_mov_b32 s65, s17
	s_wait_alu 0xfffe
	s_mul_u64 s[62:63], s[62:63], s[50:51]
	s_wait_alu 0xfffe
	s_mul_hi_u32 s69, s50, s63
	s_mul_i32 s68, s50, s63
	s_mul_hi_u32 s66, s50, s62
	s_mul_i32 s39, s51, s62
	s_add_nc_u64 s[66:67], s[66:67], s[68:69]
	s_mul_hi_u32 s2, s51, s62
	s_mul_hi_u32 s41, s51, s63
	s_wait_alu 0xfffe
	s_add_co_u32 s39, s66, s39
	s_add_co_ci_u32 s64, s67, s2
	s_mul_i32 s62, s51, s63
	s_add_co_ci_u32 s63, s41, 0
	s_wait_alu 0xfffe
	s_add_nc_u64 s[62:63], s[64:65], s[62:63]
	s_wait_alu 0xfffe
	s_add_co_u32 s2, s50, s62
	s_cselect_b32 s39, -1, 0
	s_wait_alu 0xfffe
	v_mul_hi_u32 v9, v5, s2
	s_cmp_lg_u32 s39, 0
	v_mad_co_u64_u32 v[13:14], null, v7, s2, 0
	s_add_co_ci_u32 s39, s51, s63
	s_wait_alu 0xfffe
	v_mad_co_u64_u32 v[11:12], null, v5, s39, 0
	v_mad_co_u64_u32 v[15:16], null, v7, s39, 0
	s_delay_alu instid0(VALU_DEP_2) | instskip(SKIP_1) | instid1(VALU_DEP_3)
	v_add_co_u32 v9, vcc_lo, v9, v11
	s_wait_alu 0xfffd
	v_add_co_ci_u32_e64 v11, null, 0, v12, vcc_lo
	s_delay_alu instid0(VALU_DEP_2) | instskip(SKIP_1) | instid1(VALU_DEP_2)
	v_add_co_u32 v9, vcc_lo, v9, v13
	s_wait_alu 0xfffd
	v_add_co_ci_u32_e32 v9, vcc_lo, v11, v14, vcc_lo
	s_wait_alu 0xfffd
	v_add_co_ci_u32_e32 v11, vcc_lo, 0, v16, vcc_lo
	s_delay_alu instid0(VALU_DEP_2) | instskip(SKIP_1) | instid1(VALU_DEP_2)
	v_add_co_u32 v9, vcc_lo, v9, v15
	s_wait_alu 0xfffd
	v_add_co_ci_u32_e64 v13, null, 0, v11, vcc_lo
	s_delay_alu instid0(VALU_DEP_2) | instskip(SKIP_1) | instid1(VALU_DEP_3)
	v_mul_lo_u32 v14, s47, v9
	v_mad_co_u64_u32 v[11:12], null, s46, v9, 0
	v_mul_lo_u32 v15, s46, v13
	s_delay_alu instid0(VALU_DEP_2) | instskip(NEXT) | instid1(VALU_DEP_2)
	v_sub_co_u32 v5, vcc_lo, v5, v11
	v_add3_u32 v12, v12, v15, v14
	s_delay_alu instid0(VALU_DEP_1) | instskip(SKIP_2) | instid1(VALU_DEP_2)
	v_sub_nc_u32_e32 v14, v7, v12
	s_wait_alu 0xfffd
	v_sub_co_ci_u32_e64 v7, null, v7, v12, vcc_lo
	v_subrev_co_ci_u32_e64 v11, null, s47, v14, vcc_lo
	v_add_co_u32 v14, s2, v9, 2
	s_wait_alu 0xf1ff
	v_add_co_ci_u32_e64 v15, null, 0, v13, s2
	v_sub_co_u32 v16, s2, v5, s46
	s_wait_alu 0xf1ff
	v_subrev_co_ci_u32_e64 v11, null, 0, v11, s2
	s_delay_alu instid0(VALU_DEP_2) | instskip(SKIP_2) | instid1(VALU_DEP_3)
	v_cmp_le_u32_e32 vcc_lo, s46, v16
	s_wait_alu 0xfffd
	v_cndmask_b32_e64 v12, 0, -1, vcc_lo
	v_cmp_le_u32_e32 vcc_lo, s47, v11
	s_wait_alu 0xfffd
	v_cndmask_b32_e64 v16, 0, -1, vcc_lo
	;; [unrolled: 3-line block ×4, first 2 shown]
	v_cmp_eq_u32_e32 vcc_lo, s47, v11
	s_wait_alu 0xfffd
	v_cndmask_b32_e32 v11, v16, v12, vcc_lo
	v_add_co_u32 v12, vcc_lo, v9, 1
	s_wait_alu 0xfffd
	v_add_co_ci_u32_e64 v16, null, 0, v13, vcc_lo
	v_cmp_eq_u32_e32 vcc_lo, s47, v7
	s_wait_alu 0xfffd
	v_cndmask_b32_e32 v5, v17, v5, vcc_lo
	v_cmp_ne_u32_e32 vcc_lo, 0, v11
	s_delay_alu instid0(VALU_DEP_2) | instskip(SKIP_4) | instid1(VALU_DEP_2)
	v_cmp_ne_u32_e64 s2, 0, v5
	s_wait_alu 0xfffd
	v_cndmask_b32_e32 v5, v12, v14, vcc_lo
	v_cndmask_b32_e32 v7, v16, v15, vcc_lo
	s_wait_alu 0xf1ff
	v_cndmask_b32_e64 v5, v9, v5, s2
	s_delay_alu instid0(VALU_DEP_2) | instskip(NEXT) | instid1(VALU_DEP_2)
	v_cndmask_b32_e64 v7, v13, v7, s2
	v_xor_b32_e32 v5, v5, v3
	s_delay_alu instid0(VALU_DEP_2) | instskip(NEXT) | instid1(VALU_DEP_2)
	v_xor_b32_e32 v7, v7, v3
	v_sub_co_u32 v12, vcc_lo, v5, v3
	s_wait_alu 0xfffd
	s_delay_alu instid0(VALU_DEP_2)
	v_sub_co_ci_u32_e64 v13, null, v7, v3, vcc_lo
.LBB1_26:                               ;   in Loop: Header=BB1_20 Depth=2
	s_wait_alu 0xfffe
	s_and_not1_saveexec_b32 s2, s48
	s_cbranch_execz .LBB1_28
; %bb.27:                               ;   in Loop: Header=BB1_20 Depth=2
	v_cvt_f32_u32_e32 v3, s38
	s_sub_co_i32 s39, 0, s38
	v_mov_b32_e32 v13, v2
	s_delay_alu instid0(VALU_DEP_2) | instskip(NEXT) | instid1(TRANS32_DEP_1)
	v_rcp_iflag_f32_e32 v3, v3
	v_mul_f32_e32 v3, 0x4f7ffffe, v3
	s_delay_alu instid0(VALU_DEP_1) | instskip(SKIP_1) | instid1(VALU_DEP_1)
	v_cvt_u32_f32_e32 v3, v3
	s_wait_alu 0xfffe
	v_mul_lo_u32 v5, s39, v3
	s_delay_alu instid0(VALU_DEP_1) | instskip(NEXT) | instid1(VALU_DEP_1)
	v_mul_hi_u32 v5, v3, v5
	v_add_nc_u32_e32 v3, v3, v5
	s_delay_alu instid0(VALU_DEP_1) | instskip(NEXT) | instid1(VALU_DEP_1)
	v_mul_hi_u32 v3, v10, v3
	v_mul_lo_u32 v5, v3, s38
	v_add_nc_u32_e32 v7, 1, v3
	s_delay_alu instid0(VALU_DEP_2) | instskip(NEXT) | instid1(VALU_DEP_1)
	v_sub_nc_u32_e32 v5, v10, v5
	v_cmp_le_u32_e32 vcc_lo, s38, v5
	v_subrev_nc_u32_e32 v9, s38, v5
	s_wait_alu 0xfffd
	v_cndmask_b32_e32 v3, v3, v7, vcc_lo
	s_delay_alu instid0(VALU_DEP_1) | instskip(NEXT) | instid1(VALU_DEP_3)
	v_add_nc_u32_e32 v7, 1, v3
	v_cndmask_b32_e32 v5, v5, v9, vcc_lo
	s_delay_alu instid0(VALU_DEP_1) | instskip(SKIP_1) | instid1(VALU_DEP_3)
	v_cmp_le_u32_e32 vcc_lo, s38, v5
	s_wait_alu 0xfffd
	v_cndmask_b32_e32 v12, v3, v7, vcc_lo
.LBB1_28:                               ;   in Loop: Header=BB1_20 Depth=2
	s_wait_alu 0xfffe
	s_or_b32 exec_lo, exec_lo, s2
	s_add_co_i32 s40, s16, -2
	s_mov_b32 s41, s17
	s_add_nc_u64 s[44:45], s[0:1], s[44:45]
	s_wait_alu 0xfffe
	s_lshl_b64 s[50:51], s[40:41], 2
                                        ; implicit-def: $vgpr14_vgpr15
	s_mov_b32 s2, exec_lo
	s_wait_alu 0xfffe
	s_add_nc_u64 s[48:49], s[12:13], s[50:51]
	s_clause 0x2
	s_load_b32 s40, s[48:49], 0x8
	s_load_b32 s39, s[42:43], 0x6c
	s_load_b32 s62, s[44:45], 0x6c
	s_wait_kmcnt 0x0
	s_ashr_i32 s41, s40, 31
	s_wait_alu 0xfffe
	v_or_b32_e32 v3, s41, v13
	s_delay_alu instid0(VALU_DEP_1)
	v_cmpx_ne_u64_e32 0, v[2:3]
	s_xor_b32 s46, exec_lo, s2
	s_cbranch_execz .LBB1_30
; %bb.29:                               ;   in Loop: Header=BB1_20 Depth=2
	s_ashr_i32 s42, s41, 31
	s_mov_b32 s69, s17
	s_wait_alu 0xfffe
	s_mov_b32 s43, s42
	s_mov_b32 s73, s17
	s_wait_alu 0xfffe
	s_add_nc_u64 s[44:45], s[40:41], s[42:43]
	v_ashrrev_i32_e32 v3, 31, v13
	s_wait_alu 0xfffe
	s_xor_b64 s[44:45], s[44:45], s[42:43]
	s_wait_alu 0xfffe
	s_cvt_f32_u32 s2, s44
	s_cvt_f32_u32 s41, s45
	s_sub_nc_u64 s[66:67], 0, s[44:45]
	v_add_co_u32 v5, vcc_lo, v12, v3
	s_wait_alu 0xfffe
	s_fmamk_f32 s2, s41, 0x4f800000, s2
	s_wait_alu 0xfffd
	v_add_co_ci_u32_e64 v7, null, v13, v3, vcc_lo
	v_xor_b32_e32 v5, v5, v3
	s_wait_alu 0xfffe
	v_s_rcp_f32 s2, s2
	s_delay_alu instid0(VALU_DEP_2) | instskip(SKIP_1) | instid1(TRANS32_DEP_1)
	v_xor_b32_e32 v7, v7, v3
	v_xor_b32_e32 v3, s42, v3
	s_mul_f32 s2, s2, 0x5f7ffffc
	s_wait_alu 0xfffe
	s_delay_alu instid0(SALU_CYCLE_2) | instskip(SKIP_1) | instid1(SALU_CYCLE_2)
	s_mul_f32 s41, s2, 0x2f800000
	s_wait_alu 0xfffe
	s_trunc_f32 s41, s41
	s_wait_alu 0xfffe
	s_delay_alu instid0(SALU_CYCLE_2) | instskip(SKIP_2) | instid1(SALU_CYCLE_1)
	s_fmamk_f32 s2, s41, 0xcf800000, s2
	s_cvt_u32_f32 s65, s41
	s_wait_alu 0xfffe
	s_cvt_u32_f32 s64, s2
	s_delay_alu instid0(SALU_CYCLE_3) | instskip(NEXT) | instid1(SALU_CYCLE_1)
	s_mul_u64 s[70:71], s[66:67], s[64:65]
	s_mul_hi_u32 s75, s64, s71
	s_mul_i32 s74, s64, s71
	s_mul_hi_u32 s68, s64, s70
	s_mul_i32 s41, s65, s70
	s_add_nc_u64 s[68:69], s[68:69], s[74:75]
	s_mul_hi_u32 s2, s65, s70
	s_mul_hi_u32 s43, s65, s71
	s_wait_alu 0xfffe
	s_add_co_u32 s41, s68, s41
	s_add_co_ci_u32 s72, s69, s2
	s_mul_i32 s70, s65, s71
	s_add_co_ci_u32 s71, s43, 0
	s_delay_alu instid0(SALU_CYCLE_1)
	s_add_nc_u64 s[68:69], s[72:73], s[70:71]
	s_mov_b32 s71, s17
	s_add_co_u32 s64, s64, s68
	s_cselect_b32 s2, -1, 0
	s_wait_alu 0xfffe
	s_cmp_lg_u32 s2, 0
	s_add_co_ci_u32 s65, s65, s69
	s_mov_b32 s69, s17
	s_mul_u64 s[66:67], s[66:67], s[64:65]
	s_delay_alu instid0(SALU_CYCLE_1)
	s_mul_hi_u32 s73, s64, s67
	s_mul_i32 s72, s64, s67
	s_mul_hi_u32 s70, s64, s66
	s_mul_i32 s41, s65, s66
	s_add_nc_u64 s[70:71], s[70:71], s[72:73]
	s_mul_hi_u32 s2, s65, s66
	s_mul_hi_u32 s43, s65, s67
	s_wait_alu 0xfffe
	s_add_co_u32 s41, s70, s41
	s_add_co_ci_u32 s68, s71, s2
	s_mul_i32 s66, s65, s67
	s_add_co_ci_u32 s67, s43, 0
	s_delay_alu instid0(SALU_CYCLE_1) | instskip(NEXT) | instid1(SALU_CYCLE_1)
	s_add_nc_u64 s[66:67], s[68:69], s[66:67]
	s_add_co_u32 s2, s64, s66
	s_cselect_b32 s41, -1, 0
	s_wait_alu 0xfffe
	v_mul_hi_u32 v9, v5, s2
	s_cmp_lg_u32 s41, 0
	v_mad_co_u64_u32 v[15:16], null, v7, s2, 0
	s_add_co_ci_u32 s41, s65, s67
	s_wait_alu 0xfffe
	v_mad_co_u64_u32 v[13:14], null, v5, s41, 0
	v_mad_co_u64_u32 v[22:23], null, v7, s41, 0
	s_delay_alu instid0(VALU_DEP_2) | instskip(SKIP_1) | instid1(VALU_DEP_3)
	v_add_co_u32 v9, vcc_lo, v9, v13
	s_wait_alu 0xfffd
	v_add_co_ci_u32_e64 v11, null, 0, v14, vcc_lo
	s_delay_alu instid0(VALU_DEP_2) | instskip(SKIP_1) | instid1(VALU_DEP_2)
	v_add_co_u32 v9, vcc_lo, v9, v15
	s_wait_alu 0xfffd
	v_add_co_ci_u32_e32 v9, vcc_lo, v11, v16, vcc_lo
	s_wait_alu 0xfffd
	v_add_co_ci_u32_e32 v11, vcc_lo, 0, v23, vcc_lo
	s_delay_alu instid0(VALU_DEP_2) | instskip(SKIP_1) | instid1(VALU_DEP_2)
	v_add_co_u32 v9, vcc_lo, v9, v22
	s_wait_alu 0xfffd
	v_add_co_ci_u32_e64 v11, null, 0, v11, vcc_lo
	s_delay_alu instid0(VALU_DEP_2) | instskip(SKIP_1) | instid1(VALU_DEP_3)
	v_mul_lo_u32 v15, s45, v9
	v_mad_co_u64_u32 v[13:14], null, s44, v9, 0
	v_mul_lo_u32 v16, s44, v11
	s_delay_alu instid0(VALU_DEP_2) | instskip(NEXT) | instid1(VALU_DEP_2)
	v_sub_co_u32 v5, vcc_lo, v5, v13
	v_add3_u32 v14, v14, v16, v15
	s_delay_alu instid0(VALU_DEP_1) | instskip(SKIP_2) | instid1(VALU_DEP_2)
	v_sub_nc_u32_e32 v15, v7, v14
	s_wait_alu 0xfffd
	v_sub_co_ci_u32_e64 v7, null, v7, v14, vcc_lo
	v_subrev_co_ci_u32_e64 v13, null, s45, v15, vcc_lo
	v_add_co_u32 v15, s2, v9, 2
	s_wait_alu 0xf1ff
	v_add_co_ci_u32_e64 v16, null, 0, v11, s2
	v_sub_co_u32 v17, s2, v5, s44
	s_wait_alu 0xf1ff
	v_subrev_co_ci_u32_e64 v13, null, 0, v13, s2
	s_delay_alu instid0(VALU_DEP_2) | instskip(SKIP_2) | instid1(VALU_DEP_3)
	v_cmp_le_u32_e32 vcc_lo, s44, v17
	s_wait_alu 0xfffd
	v_cndmask_b32_e64 v14, 0, -1, vcc_lo
	v_cmp_le_u32_e32 vcc_lo, s45, v13
	s_wait_alu 0xfffd
	v_cndmask_b32_e64 v17, 0, -1, vcc_lo
	v_cmp_le_u32_e32 vcc_lo, s44, v5
	s_wait_alu 0xfffd
	v_cndmask_b32_e64 v5, 0, -1, vcc_lo
	v_cmp_le_u32_e32 vcc_lo, s45, v7
	s_wait_alu 0xfffd
	v_cndmask_b32_e64 v22, 0, -1, vcc_lo
	v_cmp_eq_u32_e32 vcc_lo, s45, v13
	s_wait_alu 0xfffd
	v_cndmask_b32_e32 v13, v17, v14, vcc_lo
	v_add_co_u32 v14, vcc_lo, v9, 1
	s_wait_alu 0xfffd
	v_add_co_ci_u32_e64 v17, null, 0, v11, vcc_lo
	v_cmp_eq_u32_e32 vcc_lo, s45, v7
	s_wait_alu 0xfffd
	v_cndmask_b32_e32 v5, v22, v5, vcc_lo
	v_cmp_ne_u32_e32 vcc_lo, 0, v13
	s_delay_alu instid0(VALU_DEP_2) | instskip(SKIP_4) | instid1(VALU_DEP_2)
	v_cmp_ne_u32_e64 s2, 0, v5
	s_wait_alu 0xfffd
	v_cndmask_b32_e32 v5, v14, v15, vcc_lo
	v_cndmask_b32_e32 v7, v17, v16, vcc_lo
	s_wait_alu 0xf1ff
	v_cndmask_b32_e64 v5, v9, v5, s2
	s_delay_alu instid0(VALU_DEP_2) | instskip(NEXT) | instid1(VALU_DEP_2)
	v_cndmask_b32_e64 v7, v11, v7, s2
	v_xor_b32_e32 v5, v5, v3
	s_delay_alu instid0(VALU_DEP_2) | instskip(NEXT) | instid1(VALU_DEP_2)
	v_xor_b32_e32 v7, v7, v3
	v_sub_co_u32 v14, vcc_lo, v5, v3
	s_wait_alu 0xfffd
	s_delay_alu instid0(VALU_DEP_2)
	v_sub_co_ci_u32_e64 v15, null, v7, v3, vcc_lo
.LBB1_30:                               ;   in Loop: Header=BB1_20 Depth=2
	s_wait_alu 0xfffe
	s_and_not1_saveexec_b32 s2, s46
	s_cbranch_execz .LBB1_32
; %bb.31:                               ;   in Loop: Header=BB1_20 Depth=2
	v_cvt_f32_u32_e32 v3, s40
	s_sub_co_i32 s41, 0, s40
	v_mov_b32_e32 v15, v2
	s_delay_alu instid0(VALU_DEP_2) | instskip(NEXT) | instid1(TRANS32_DEP_1)
	v_rcp_iflag_f32_e32 v3, v3
	v_mul_f32_e32 v3, 0x4f7ffffe, v3
	s_delay_alu instid0(VALU_DEP_1) | instskip(SKIP_1) | instid1(VALU_DEP_1)
	v_cvt_u32_f32_e32 v3, v3
	s_wait_alu 0xfffe
	v_mul_lo_u32 v5, s41, v3
	s_delay_alu instid0(VALU_DEP_1) | instskip(NEXT) | instid1(VALU_DEP_1)
	v_mul_hi_u32 v5, v3, v5
	v_add_nc_u32_e32 v3, v3, v5
	s_delay_alu instid0(VALU_DEP_1) | instskip(NEXT) | instid1(VALU_DEP_1)
	v_mul_hi_u32 v3, v12, v3
	v_mul_lo_u32 v5, v3, s40
	v_add_nc_u32_e32 v7, 1, v3
	s_delay_alu instid0(VALU_DEP_2) | instskip(NEXT) | instid1(VALU_DEP_1)
	v_sub_nc_u32_e32 v5, v12, v5
	v_cmp_le_u32_e32 vcc_lo, s40, v5
	v_subrev_nc_u32_e32 v9, s40, v5
	s_wait_alu 0xfffd
	v_cndmask_b32_e32 v3, v3, v7, vcc_lo
	s_delay_alu instid0(VALU_DEP_1) | instskip(NEXT) | instid1(VALU_DEP_3)
	v_add_nc_u32_e32 v7, 1, v3
	v_cndmask_b32_e32 v5, v5, v9, vcc_lo
	s_delay_alu instid0(VALU_DEP_1) | instskip(SKIP_1) | instid1(VALU_DEP_3)
	v_cmp_le_u32_e32 vcc_lo, s40, v5
	s_wait_alu 0xfffd
	v_cndmask_b32_e32 v14, v3, v7, vcc_lo
.LBB1_32:                               ;   in Loop: Header=BB1_20 Depth=2
	s_wait_alu 0xfffe
	s_or_b32 exec_lo, exec_lo, s2
	s_add_co_i32 s42, s16, -3
	s_mov_b32 s43, s17
	s_add_nc_u64 s[50:51], s[0:1], s[50:51]
	s_wait_alu 0xfffe
	s_lshl_b64 s[46:47], s[42:43], 2
                                        ; implicit-def: $vgpr16_vgpr17
	s_mov_b32 s2, exec_lo
	s_wait_alu 0xfffe
	s_add_nc_u64 s[44:45], s[12:13], s[46:47]
	s_clause 0x2
	s_load_b32 s42, s[44:45], 0x8
	s_load_b32 s41, s[48:49], 0x6c
	;; [unrolled: 1-line block ×3, first 2 shown]
	s_wait_kmcnt 0x0
	s_ashr_i32 s43, s42, 31
	s_wait_alu 0xfffe
	v_or_b32_e32 v3, s43, v15
	s_delay_alu instid0(VALU_DEP_1)
	v_cmpx_ne_u64_e32 0, v[2:3]
	s_xor_b32 s64, exec_lo, s2
	s_cbranch_execz .LBB1_34
; %bb.33:                               ;   in Loop: Header=BB1_20 Depth=2
	s_ashr_i32 s48, s43, 31
	s_mov_b32 s71, s17
	s_wait_alu 0xfffe
	s_mov_b32 s49, s48
	s_mov_b32 s75, s17
	s_wait_alu 0xfffe
	s_add_nc_u64 s[50:51], s[42:43], s[48:49]
	v_ashrrev_i32_e32 v3, 31, v15
	s_wait_alu 0xfffe
	s_xor_b64 s[50:51], s[50:51], s[48:49]
	s_wait_alu 0xfffe
	s_cvt_f32_u32 s2, s50
	s_cvt_f32_u32 s43, s51
	s_sub_nc_u64 s[68:69], 0, s[50:51]
	v_add_co_u32 v5, vcc_lo, v14, v3
	s_wait_alu 0xfffe
	s_fmamk_f32 s2, s43, 0x4f800000, s2
	s_wait_alu 0xfffd
	v_add_co_ci_u32_e64 v7, null, v15, v3, vcc_lo
	v_xor_b32_e32 v5, v5, v3
	s_wait_alu 0xfffe
	v_s_rcp_f32 s2, s2
	s_delay_alu instid0(VALU_DEP_2) | instskip(SKIP_1) | instid1(TRANS32_DEP_1)
	v_xor_b32_e32 v7, v7, v3
	v_xor_b32_e32 v3, s48, v3
	s_mul_f32 s2, s2, 0x5f7ffffc
	s_wait_alu 0xfffe
	s_delay_alu instid0(SALU_CYCLE_2) | instskip(SKIP_1) | instid1(SALU_CYCLE_2)
	s_mul_f32 s43, s2, 0x2f800000
	s_wait_alu 0xfffe
	s_trunc_f32 s43, s43
	s_wait_alu 0xfffe
	s_delay_alu instid0(SALU_CYCLE_2) | instskip(SKIP_2) | instid1(SALU_CYCLE_1)
	s_fmamk_f32 s2, s43, 0xcf800000, s2
	s_cvt_u32_f32 s67, s43
	s_wait_alu 0xfffe
	s_cvt_u32_f32 s66, s2
	s_delay_alu instid0(SALU_CYCLE_3) | instskip(NEXT) | instid1(SALU_CYCLE_1)
	s_mul_u64 s[72:73], s[68:69], s[66:67]
	s_mul_hi_u32 s77, s66, s73
	s_mul_i32 s76, s66, s73
	s_mul_hi_u32 s70, s66, s72
	s_mul_i32 s43, s67, s72
	s_add_nc_u64 s[70:71], s[70:71], s[76:77]
	s_mul_hi_u32 s2, s67, s72
	s_mul_hi_u32 s49, s67, s73
	s_wait_alu 0xfffe
	s_add_co_u32 s43, s70, s43
	s_add_co_ci_u32 s74, s71, s2
	s_mul_i32 s72, s67, s73
	s_add_co_ci_u32 s73, s49, 0
	s_delay_alu instid0(SALU_CYCLE_1)
	s_add_nc_u64 s[70:71], s[74:75], s[72:73]
	s_mov_b32 s73, s17
	s_add_co_u32 s66, s66, s70
	s_cselect_b32 s2, -1, 0
	s_wait_alu 0xfffe
	s_cmp_lg_u32 s2, 0
	s_add_co_ci_u32 s67, s67, s71
	s_mov_b32 s71, s17
	s_mul_u64 s[68:69], s[68:69], s[66:67]
	s_delay_alu instid0(SALU_CYCLE_1)
	s_mul_hi_u32 s75, s66, s69
	s_mul_i32 s74, s66, s69
	s_mul_hi_u32 s72, s66, s68
	s_mul_i32 s43, s67, s68
	s_add_nc_u64 s[72:73], s[72:73], s[74:75]
	s_mul_hi_u32 s2, s67, s68
	s_mul_hi_u32 s49, s67, s69
	s_wait_alu 0xfffe
	s_add_co_u32 s43, s72, s43
	s_add_co_ci_u32 s70, s73, s2
	s_mul_i32 s68, s67, s69
	s_add_co_ci_u32 s69, s49, 0
	s_delay_alu instid0(SALU_CYCLE_1) | instskip(NEXT) | instid1(SALU_CYCLE_1)
	s_add_nc_u64 s[68:69], s[70:71], s[68:69]
	s_add_co_u32 s2, s66, s68
	s_cselect_b32 s43, -1, 0
	s_wait_alu 0xfffe
	v_mul_hi_u32 v9, v5, s2
	s_cmp_lg_u32 s43, 0
	v_mad_co_u64_u32 v[22:23], null, v7, s2, 0
	s_add_co_ci_u32 s43, s67, s69
	s_wait_alu 0xfffe
	v_mad_co_u64_u32 v[15:16], null, v5, s43, 0
	v_mad_co_u64_u32 v[24:25], null, v7, s43, 0
	s_delay_alu instid0(VALU_DEP_2) | instskip(SKIP_1) | instid1(VALU_DEP_3)
	v_add_co_u32 v9, vcc_lo, v9, v15
	s_wait_alu 0xfffd
	v_add_co_ci_u32_e64 v11, null, 0, v16, vcc_lo
	s_delay_alu instid0(VALU_DEP_2) | instskip(SKIP_1) | instid1(VALU_DEP_2)
	v_add_co_u32 v9, vcc_lo, v9, v22
	s_wait_alu 0xfffd
	v_add_co_ci_u32_e32 v9, vcc_lo, v11, v23, vcc_lo
	s_wait_alu 0xfffd
	v_add_co_ci_u32_e32 v11, vcc_lo, 0, v25, vcc_lo
	s_delay_alu instid0(VALU_DEP_2) | instskip(SKIP_1) | instid1(VALU_DEP_2)
	v_add_co_u32 v9, vcc_lo, v9, v24
	s_wait_alu 0xfffd
	v_add_co_ci_u32_e64 v11, null, 0, v11, vcc_lo
	s_delay_alu instid0(VALU_DEP_2) | instskip(SKIP_1) | instid1(VALU_DEP_3)
	v_mul_lo_u32 v13, s51, v9
	v_mad_co_u64_u32 v[15:16], null, s50, v9, 0
	v_mul_lo_u32 v17, s50, v11
	s_delay_alu instid0(VALU_DEP_2) | instskip(NEXT) | instid1(VALU_DEP_2)
	v_sub_co_u32 v5, vcc_lo, v5, v15
	v_add3_u32 v13, v16, v17, v13
	s_delay_alu instid0(VALU_DEP_1) | instskip(SKIP_2) | instid1(VALU_DEP_2)
	v_sub_nc_u32_e32 v16, v7, v13
	s_wait_alu 0xfffd
	v_sub_co_ci_u32_e64 v7, null, v7, v13, vcc_lo
	v_subrev_co_ci_u32_e64 v15, null, s51, v16, vcc_lo
	v_add_co_u32 v16, s2, v9, 2
	s_wait_alu 0xf1ff
	v_add_co_ci_u32_e64 v17, null, 0, v11, s2
	v_sub_co_u32 v22, s2, v5, s50
	s_wait_alu 0xf1ff
	v_subrev_co_ci_u32_e64 v15, null, 0, v15, s2
	s_delay_alu instid0(VALU_DEP_2) | instskip(SKIP_2) | instid1(VALU_DEP_3)
	v_cmp_le_u32_e32 vcc_lo, s50, v22
	s_wait_alu 0xfffd
	v_cndmask_b32_e64 v13, 0, -1, vcc_lo
	v_cmp_le_u32_e32 vcc_lo, s51, v15
	s_wait_alu 0xfffd
	v_cndmask_b32_e64 v22, 0, -1, vcc_lo
	;; [unrolled: 3-line block ×4, first 2 shown]
	v_cmp_eq_u32_e32 vcc_lo, s51, v15
	s_wait_alu 0xfffd
	v_cndmask_b32_e32 v13, v22, v13, vcc_lo
	v_add_co_u32 v15, vcc_lo, v9, 1
	s_wait_alu 0xfffd
	v_add_co_ci_u32_e64 v22, null, 0, v11, vcc_lo
	v_cmp_eq_u32_e32 vcc_lo, s51, v7
	s_wait_alu 0xfffd
	v_cndmask_b32_e32 v5, v23, v5, vcc_lo
	v_cmp_ne_u32_e32 vcc_lo, 0, v13
	s_delay_alu instid0(VALU_DEP_2) | instskip(SKIP_4) | instid1(VALU_DEP_2)
	v_cmp_ne_u32_e64 s2, 0, v5
	s_wait_alu 0xfffd
	v_cndmask_b32_e32 v5, v15, v16, vcc_lo
	v_cndmask_b32_e32 v7, v22, v17, vcc_lo
	s_wait_alu 0xf1ff
	v_cndmask_b32_e64 v5, v9, v5, s2
	s_delay_alu instid0(VALU_DEP_2) | instskip(NEXT) | instid1(VALU_DEP_2)
	v_cndmask_b32_e64 v7, v11, v7, s2
	v_xor_b32_e32 v5, v5, v3
	s_delay_alu instid0(VALU_DEP_2) | instskip(NEXT) | instid1(VALU_DEP_2)
	v_xor_b32_e32 v7, v7, v3
	v_sub_co_u32 v16, vcc_lo, v5, v3
	s_wait_alu 0xfffd
	s_delay_alu instid0(VALU_DEP_2)
	v_sub_co_ci_u32_e64 v17, null, v7, v3, vcc_lo
.LBB1_34:                               ;   in Loop: Header=BB1_20 Depth=2
	s_and_not1_saveexec_b32 s2, s64
	s_cbranch_execz .LBB1_36
; %bb.35:                               ;   in Loop: Header=BB1_20 Depth=2
	v_cvt_f32_u32_e32 v3, s42
	s_sub_co_i32 s43, 0, s42
	v_mov_b32_e32 v17, v2
	s_delay_alu instid0(VALU_DEP_2) | instskip(NEXT) | instid1(TRANS32_DEP_1)
	v_rcp_iflag_f32_e32 v3, v3
	v_mul_f32_e32 v3, 0x4f7ffffe, v3
	s_delay_alu instid0(VALU_DEP_1) | instskip(SKIP_1) | instid1(VALU_DEP_1)
	v_cvt_u32_f32_e32 v3, v3
	s_wait_alu 0xfffe
	v_mul_lo_u32 v5, s43, v3
	s_delay_alu instid0(VALU_DEP_1) | instskip(NEXT) | instid1(VALU_DEP_1)
	v_mul_hi_u32 v5, v3, v5
	v_add_nc_u32_e32 v3, v3, v5
	s_delay_alu instid0(VALU_DEP_1) | instskip(NEXT) | instid1(VALU_DEP_1)
	v_mul_hi_u32 v3, v14, v3
	v_mul_lo_u32 v5, v3, s42
	v_add_nc_u32_e32 v7, 1, v3
	s_delay_alu instid0(VALU_DEP_2) | instskip(NEXT) | instid1(VALU_DEP_1)
	v_sub_nc_u32_e32 v5, v14, v5
	v_cmp_le_u32_e32 vcc_lo, s42, v5
	v_subrev_nc_u32_e32 v9, s42, v5
	s_wait_alu 0xfffd
	v_cndmask_b32_e32 v3, v3, v7, vcc_lo
	s_delay_alu instid0(VALU_DEP_1) | instskip(NEXT) | instid1(VALU_DEP_3)
	v_add_nc_u32_e32 v7, 1, v3
	v_cndmask_b32_e32 v5, v5, v9, vcc_lo
	s_delay_alu instid0(VALU_DEP_1) | instskip(SKIP_1) | instid1(VALU_DEP_3)
	v_cmp_le_u32_e32 vcc_lo, s42, v5
	s_wait_alu 0xfffd
	v_cndmask_b32_e32 v16, v3, v7, vcc_lo
.LBB1_36:                               ;   in Loop: Header=BB1_20 Depth=2
	s_wait_alu 0xfffe
	s_or_b32 exec_lo, exec_lo, s2
	s_add_nc_u64 s[46:47], s[0:1], s[46:47]
	v_mul_lo_u32 v3, v10, s36
	s_clause 0x1
	s_load_b32 s2, s[44:45], 0x6c
	s_load_b32 s36, s[46:47], 0x6c
	v_mul_lo_u32 v5, v12, s38
	v_mul_lo_u32 v7, v14, s40
	;; [unrolled: 1-line block ×3, first 2 shown]
	s_add_co_i32 s16, s16, -4
	s_wait_alu 0xfffe
	s_cmp_eq_u32 s16, -1
	v_sub_nc_u32_e32 v3, v8, v3
	s_delay_alu instid0(VALU_DEP_4) | instskip(NEXT) | instid1(VALU_DEP_4)
	v_sub_nc_u32_e32 v5, v10, v5
	v_sub_nc_u32_e32 v7, v12, v7
	s_delay_alu instid0(VALU_DEP_4) | instskip(NEXT) | instid1(VALU_DEP_4)
	v_sub_nc_u32_e32 v8, v14, v9
	v_mul_lo_u32 v9, s35, v3
	v_mul_lo_u32 v3, s37, v3
	;; [unrolled: 1-line block ×6, first 2 shown]
	s_wait_kmcnt 0x0
	v_mul_lo_u32 v12, s2, v8
	v_mul_lo_u32 v8, s36, v8
	v_add3_u32 v6, v9, v6, v10
	v_add3_u32 v3, v3, v4, v5
	s_delay_alu instid0(VALU_DEP_2) | instskip(NEXT) | instid1(VALU_DEP_2)
	v_add3_u32 v6, v11, v6, v12
	v_add3_u32 v4, v7, v3, v8
	s_cbranch_scc1 .LBB1_38
; %bb.37:                               ;   in Loop: Header=BB1_20 Depth=2
	v_dual_mov_b32 v8, v16 :: v_dual_mov_b32 v9, v17
	s_branch .LBB1_20
.LBB1_38:                               ;   in Loop: Header=BB1_3 Depth=1
	v_sub_nc_u32_e32 v7, v20, v21
	v_mov_b32_e32 v3, 0
	s_mov_b32 s2, exec_lo
	s_delay_alu instid0(VALU_DEP_2) | instskip(NEXT) | instid1(VALU_DEP_1)
	v_ashrrev_i32_e32 v8, 31, v7
	v_cmpx_ge_i64_e64 s[4:5], v[7:8]
	s_cbranch_execz .LBB1_48
; %bb.39:                               ;   in Loop: Header=BB1_3 Depth=1
	v_dual_mov_b32 v3, 0 :: v_dual_mov_b32 v12, 0
	v_mov_b32_e32 v5, 0
	v_mov_b32_e32 v11, 0
	s_mov_b32 s16, exec_lo
	v_cmpx_gt_i32_e64 s3, v20
	s_cbranch_execz .LBB1_47
; %bb.40:                               ;   in Loop: Header=BB1_3 Depth=1
	v_ashrrev_i32_e32 v3, 31, v6
	v_add_co_u32 v9, vcc_lo, s10, v6
	v_dual_mov_b32 v12, 0 :: v_dual_add_nc_u32 v11, 1, v20
	s_wait_alu 0xfffd
	s_delay_alu instid0(VALU_DEP_3) | instskip(SKIP_1) | instid1(VALU_DEP_3)
	v_add_co_ci_u32_e64 v10, null, s11, v3, vcc_lo
	v_mov_b32_e32 v5, 0
	v_cmp_gt_i32_e32 vcc_lo, s3, v11
	v_mov_b32_e32 v11, 0
	global_load_u8 v3, v[9:10], off
	s_and_saveexec_b32 s35, vcc_lo
	s_wait_alu 0xfffe
	s_xor_b32 s35, exec_lo, s35
	s_cbranch_execz .LBB1_46
; %bb.41:                               ;   in Loop: Header=BB1_3 Depth=1
	v_add_co_u32 v9, vcc_lo, v9, s55
	s_wait_alu 0xfffd
	v_add_co_ci_u32_e64 v10, null, s59, v10, vcc_lo
	v_mov_b32_e32 v11, 0
	s_mov_b32 s36, exec_lo
	v_mov_b32_e32 v12, 0
	global_load_u8 v5, v[9:10], off
	v_add_nc_u32_e32 v9, 2, v20
	s_delay_alu instid0(VALU_DEP_1)
	v_cmpx_gt_i32_e64 s3, v9
	s_wait_alu 0xfffe
	s_xor_b32 s36, exec_lo, s36
	s_cbranch_execz .LBB1_45
; %bb.42:                               ;   in Loop: Header=BB1_3 Depth=1
	v_add_nc_u32_e32 v6, s23, v6
	s_mov_b32 s37, exec_lo
	v_mov_b32_e32 v12, 0
	s_delay_alu instid0(VALU_DEP_2) | instskip(SKIP_2) | instid1(VALU_DEP_2)
	v_ashrrev_i32_e32 v10, 31, v6
	v_add_co_u32 v9, vcc_lo, s10, v6
	s_wait_alu 0xfffd
	v_add_co_ci_u32_e64 v10, null, s11, v10, vcc_lo
	global_load_u8 v11, v[9:10], off
	v_add_nc_u32_e32 v9, 3, v20
	s_delay_alu instid0(VALU_DEP_1)
	v_cmpx_gt_i32_e64 s3, v9
	s_wait_alu 0xfffe
	s_xor_b32 s37, exec_lo, s37
	s_cbranch_execz .LBB1_44
; %bb.43:                               ;   in Loop: Header=BB1_3 Depth=1
	v_add_nc_u32_e32 v6, s55, v6
	s_delay_alu instid0(VALU_DEP_1) | instskip(SKIP_2) | instid1(VALU_DEP_2)
	v_ashrrev_i32_e32 v10, 31, v6
	v_add_co_u32 v9, vcc_lo, s10, v6
	s_wait_alu 0xfffd
	v_add_co_ci_u32_e64 v10, null, s11, v10, vcc_lo
	global_load_u8 v12, v[9:10], off
.LBB1_44:                               ;   in Loop: Header=BB1_3 Depth=1
	s_wait_alu 0xfffe
	s_or_b32 exec_lo, exec_lo, s37
.LBB1_45:                               ;   in Loop: Header=BB1_3 Depth=1
	s_wait_alu 0xfffe
	s_or_b32 exec_lo, exec_lo, s36
.LBB1_46:                               ;   in Loop: Header=BB1_3 Depth=1
	s_wait_alu 0xfffe
	s_or_b32 exec_lo, exec_lo, s35
.LBB1_47:                               ;   in Loop: Header=BB1_3 Depth=1
	s_wait_alu 0xfffe
	s_or_b32 exec_lo, exec_lo, s16
	v_add_nc_u32_e32 v9, 1, v7
	v_cmp_ge_i64_e32 vcc_lo, s[18:19], v[7:8]
	v_add_nc_u32_e32 v13, 3, v7
	s_delay_alu instid0(VALU_DEP_3)
	v_ashrrev_i32_e32 v10, 31, v9
	s_wait_loadcnt 0x0
	s_wait_alu 0xfffd
	v_cndmask_b32_e32 v3, 0, v3, vcc_lo
	v_ashrrev_i32_e32 v14, 31, v13
	v_cmp_ge_i64_e32 vcc_lo, s[20:21], v[9:10]
	s_wait_alu 0xfffd
	v_dual_cndmask_b32 v5, 0, v5 :: v_dual_add_nc_u32 v6, 2, v7
	s_delay_alu instid0(VALU_DEP_3) | instskip(NEXT) | instid1(VALU_DEP_2)
	v_cmp_ge_i64_e32 vcc_lo, s[28:29], v[13:14]
	v_ashrrev_i32_e32 v7, 31, v6
	s_delay_alu instid0(VALU_DEP_3) | instskip(SKIP_2) | instid1(VALU_DEP_3)
	v_lshlrev_b16 v5, 8, v5
	s_wait_alu 0xfffd
	v_cndmask_b32_e32 v8, 0, v12, vcc_lo
	v_cmp_ge_i64_e32 vcc_lo, s[24:25], v[6:7]
	s_delay_alu instid0(VALU_DEP_2) | instskip(SKIP_2) | instid1(VALU_DEP_1)
	v_lshlrev_b16 v7, 8, v8
	s_wait_alu 0xfffd
	v_cndmask_b32_e32 v6, 0, v11, vcc_lo
	v_and_b32_e32 v6, 0xff, v6
	v_and_b32_e32 v3, 0xff, v3
	s_delay_alu instid0(VALU_DEP_1) | instskip(NEXT) | instid1(VALU_DEP_3)
	v_or_b32_e32 v3, v3, v5
	v_or_b32_e32 v5, v6, v7
	s_delay_alu instid0(VALU_DEP_2) | instskip(NEXT) | instid1(VALU_DEP_2)
	v_and_b32_e32 v3, 0xffff, v3
	v_lshlrev_b32_e32 v5, 16, v5
	s_delay_alu instid0(VALU_DEP_1)
	v_or_b32_e32 v3, v3, v5
.LBB1_48:                               ;   in Loop: Header=BB1_3 Depth=1
	s_wait_alu 0xfffe
	s_or_b32 exec_lo, exec_lo, s2
	s_delay_alu instid0(SALU_CYCLE_1)
	s_mov_b32 s2, exec_lo
	v_cmpx_gt_i32_e64 s3, v20
	s_cbranch_execz .LBB1_2
; %bb.49:                               ;   in Loop: Header=BB1_3 Depth=1
	v_ashrrev_i32_e32 v6, 31, v4
	v_add_co_u32 v5, vcc_lo, s14, v4
	v_add_nc_u32_e32 v7, 1, v20
	s_mov_b32 s16, exec_lo
	s_wait_alu 0xfffd
	v_add_co_ci_u32_e64 v6, null, s15, v6, vcc_lo
	global_store_b8 v[5:6], v3, off
	v_cmpx_gt_i32_e64 s3, v7
	s_wait_alu 0xfffe
	s_xor_b32 s16, exec_lo, s16
	s_cbranch_execz .LBB1_2
; %bb.50:                               ;   in Loop: Header=BB1_3 Depth=1
	v_add_co_u32 v5, vcc_lo, v5, s56
	v_lshrrev_b32_e32 v7, 8, v3
	v_add_nc_u32_e32 v8, 2, v20
	s_wait_alu 0xfffd
	v_add_co_ci_u32_e64 v6, null, s60, v6, vcc_lo
	s_mov_b32 s16, exec_lo
	global_store_b8 v[5:6], v7, off
	v_cmpx_gt_i32_e64 s3, v8
	s_wait_alu 0xfffe
	s_xor_b32 s16, exec_lo, s16
	s_cbranch_execz .LBB1_2
; %bb.51:                               ;   in Loop: Header=BB1_3 Depth=1
	v_add_nc_u32_e32 v4, s27, v4
	v_add_nc_u32_e32 v7, 3, v20
	s_mov_b32 s16, exec_lo
	s_delay_alu instid0(VALU_DEP_2) | instskip(SKIP_2) | instid1(VALU_DEP_2)
	v_ashrrev_i32_e32 v6, 31, v4
	v_add_co_u32 v5, vcc_lo, s14, v4
	s_wait_alu 0xfffd
	v_add_co_ci_u32_e64 v6, null, s15, v6, vcc_lo
	global_store_d16_hi_b8 v[5:6], v3, off
	v_cmpx_gt_i32_e64 s3, v7
	s_wait_alu 0xfffe
	s_xor_b32 s16, exec_lo, s16
	s_cbranch_execz .LBB1_2
; %bb.52:                               ;   in Loop: Header=BB1_3 Depth=1
	v_add_nc_u32_e32 v4, s56, v4
	v_lshrrev_b32_e32 v6, 24, v3
	s_delay_alu instid0(VALU_DEP_2) | instskip(SKIP_2) | instid1(VALU_DEP_2)
	v_ashrrev_i32_e32 v5, 31, v4
	v_add_co_u32 v3, vcc_lo, s14, v4
	s_wait_alu 0xfffd
	v_add_co_ci_u32_e64 v4, null, s15, v5, vcc_lo
	global_store_b8 v[3:4], v6, off
	s_branch .LBB1_2
.LBB1_53:
	s_endpgm
	.section	.rodata,"a",@progbits
	.p2align	6, 0x0
	.amdhsa_kernel _ZN2at6native16triu_tril_kernelIhiLb0ELi4ELb0EEEvNS_4cuda6detail10TensorInfoIT_T0_EENS4_IKS5_S6_EEllS6_
		.amdhsa_group_segment_fixed_size 0
		.amdhsa_private_segment_fixed_size 0
		.amdhsa_kernarg_size 712
		.amdhsa_user_sgpr_count 2
		.amdhsa_user_sgpr_dispatch_ptr 0
		.amdhsa_user_sgpr_queue_ptr 0
		.amdhsa_user_sgpr_kernarg_segment_ptr 1
		.amdhsa_user_sgpr_dispatch_id 0
		.amdhsa_user_sgpr_private_segment_size 0
		.amdhsa_wavefront_size32 1
		.amdhsa_uses_dynamic_stack 0
		.amdhsa_enable_private_segment 0
		.amdhsa_system_sgpr_workgroup_id_x 1
		.amdhsa_system_sgpr_workgroup_id_y 0
		.amdhsa_system_sgpr_workgroup_id_z 0
		.amdhsa_system_sgpr_workgroup_info 0
		.amdhsa_system_vgpr_workitem_id 0
		.amdhsa_next_free_vgpr 26
		.amdhsa_next_free_sgpr 78
		.amdhsa_reserve_vcc 1
		.amdhsa_float_round_mode_32 0
		.amdhsa_float_round_mode_16_64 0
		.amdhsa_float_denorm_mode_32 3
		.amdhsa_float_denorm_mode_16_64 3
		.amdhsa_fp16_overflow 0
		.amdhsa_workgroup_processor_mode 1
		.amdhsa_memory_ordered 1
		.amdhsa_forward_progress 1
		.amdhsa_inst_pref_size 69
		.amdhsa_round_robin_scheduling 0
		.amdhsa_exception_fp_ieee_invalid_op 0
		.amdhsa_exception_fp_denorm_src 0
		.amdhsa_exception_fp_ieee_div_zero 0
		.amdhsa_exception_fp_ieee_overflow 0
		.amdhsa_exception_fp_ieee_underflow 0
		.amdhsa_exception_fp_ieee_inexact 0
		.amdhsa_exception_int_div_zero 0
	.end_amdhsa_kernel
	.section	.text._ZN2at6native16triu_tril_kernelIhiLb0ELi4ELb0EEEvNS_4cuda6detail10TensorInfoIT_T0_EENS4_IKS5_S6_EEllS6_,"axG",@progbits,_ZN2at6native16triu_tril_kernelIhiLb0ELi4ELb0EEEvNS_4cuda6detail10TensorInfoIT_T0_EENS4_IKS5_S6_EEllS6_,comdat
.Lfunc_end1:
	.size	_ZN2at6native16triu_tril_kernelIhiLb0ELi4ELb0EEEvNS_4cuda6detail10TensorInfoIT_T0_EENS4_IKS5_S6_EEllS6_, .Lfunc_end1-_ZN2at6native16triu_tril_kernelIhiLb0ELi4ELb0EEEvNS_4cuda6detail10TensorInfoIT_T0_EENS4_IKS5_S6_EEllS6_
                                        ; -- End function
	.set _ZN2at6native16triu_tril_kernelIhiLb0ELi4ELb0EEEvNS_4cuda6detail10TensorInfoIT_T0_EENS4_IKS5_S6_EEllS6_.num_vgpr, 26
	.set _ZN2at6native16triu_tril_kernelIhiLb0ELi4ELb0EEEvNS_4cuda6detail10TensorInfoIT_T0_EENS4_IKS5_S6_EEllS6_.num_agpr, 0
	.set _ZN2at6native16triu_tril_kernelIhiLb0ELi4ELb0EEEvNS_4cuda6detail10TensorInfoIT_T0_EENS4_IKS5_S6_EEllS6_.numbered_sgpr, 78
	.set _ZN2at6native16triu_tril_kernelIhiLb0ELi4ELb0EEEvNS_4cuda6detail10TensorInfoIT_T0_EENS4_IKS5_S6_EEllS6_.num_named_barrier, 0
	.set _ZN2at6native16triu_tril_kernelIhiLb0ELi4ELb0EEEvNS_4cuda6detail10TensorInfoIT_T0_EENS4_IKS5_S6_EEllS6_.private_seg_size, 0
	.set _ZN2at6native16triu_tril_kernelIhiLb0ELi4ELb0EEEvNS_4cuda6detail10TensorInfoIT_T0_EENS4_IKS5_S6_EEllS6_.uses_vcc, 1
	.set _ZN2at6native16triu_tril_kernelIhiLb0ELi4ELb0EEEvNS_4cuda6detail10TensorInfoIT_T0_EENS4_IKS5_S6_EEllS6_.uses_flat_scratch, 0
	.set _ZN2at6native16triu_tril_kernelIhiLb0ELi4ELb0EEEvNS_4cuda6detail10TensorInfoIT_T0_EENS4_IKS5_S6_EEllS6_.has_dyn_sized_stack, 0
	.set _ZN2at6native16triu_tril_kernelIhiLb0ELi4ELb0EEEvNS_4cuda6detail10TensorInfoIT_T0_EENS4_IKS5_S6_EEllS6_.has_recursion, 0
	.set _ZN2at6native16triu_tril_kernelIhiLb0ELi4ELb0EEEvNS_4cuda6detail10TensorInfoIT_T0_EENS4_IKS5_S6_EEllS6_.has_indirect_call, 0
	.section	.AMDGPU.csdata,"",@progbits
; Kernel info:
; codeLenInByte = 8736
; TotalNumSgprs: 80
; NumVgprs: 26
; ScratchSize: 0
; MemoryBound: 0
; FloatMode: 240
; IeeeMode: 1
; LDSByteSize: 0 bytes/workgroup (compile time only)
; SGPRBlocks: 0
; VGPRBlocks: 3
; NumSGPRsForWavesPerEU: 80
; NumVGPRsForWavesPerEU: 26
; Occupancy: 16
; WaveLimiterHint : 1
; COMPUTE_PGM_RSRC2:SCRATCH_EN: 0
; COMPUTE_PGM_RSRC2:USER_SGPR: 2
; COMPUTE_PGM_RSRC2:TRAP_HANDLER: 0
; COMPUTE_PGM_RSRC2:TGID_X_EN: 1
; COMPUTE_PGM_RSRC2:TGID_Y_EN: 0
; COMPUTE_PGM_RSRC2:TGID_Z_EN: 0
; COMPUTE_PGM_RSRC2:TIDIG_COMP_CNT: 0
	.section	.text._ZN2at6native16triu_tril_kernelIhlLb0ELi4ELb1EEEvNS_4cuda6detail10TensorInfoIT_T0_EENS4_IKS5_S6_EEllS6_,"axG",@progbits,_ZN2at6native16triu_tril_kernelIhlLb0ELi4ELb1EEEvNS_4cuda6detail10TensorInfoIT_T0_EENS4_IKS5_S6_EEllS6_,comdat
	.protected	_ZN2at6native16triu_tril_kernelIhlLb0ELi4ELb1EEEvNS_4cuda6detail10TensorInfoIT_T0_EENS4_IKS5_S6_EEllS6_ ; -- Begin function _ZN2at6native16triu_tril_kernelIhlLb0ELi4ELb1EEEvNS_4cuda6detail10TensorInfoIT_T0_EENS4_IKS5_S6_EEllS6_
	.globl	_ZN2at6native16triu_tril_kernelIhlLb0ELi4ELb1EEEvNS_4cuda6detail10TensorInfoIT_T0_EENS4_IKS5_S6_EEllS6_
	.p2align	8
	.type	_ZN2at6native16triu_tril_kernelIhlLb0ELi4ELb1EEEvNS_4cuda6detail10TensorInfoIT_T0_EENS4_IKS5_S6_EEllS6_,@function
_ZN2at6native16triu_tril_kernelIhlLb0ELi4ELb1EEEvNS_4cuda6detail10TensorInfoIT_T0_EENS4_IKS5_S6_EEllS6_: ; @_ZN2at6native16triu_tril_kernelIhlLb0ELi4ELb1EEEvNS_4cuda6detail10TensorInfoIT_T0_EENS4_IKS5_S6_EEllS6_
; %bb.0:
	s_clause 0x1
	s_load_b32 s2, s[0:1], 0x364
	s_load_b128 s[4:7], s[0:1], 0x340
	v_mov_b32_e32 v2, 0
	s_mov_b32 s3, exec_lo
	s_delay_alu instid0(VALU_DEP_1)
	v_mov_b32_e32 v1, v2
	s_wait_kmcnt 0x0
	s_and_b32 s2, s2, 0xffff
	s_delay_alu instid0(VALU_DEP_1) | instid1(SALU_CYCLE_1)
	v_mad_co_u64_u32 v[0:1], null, s2, ttmp9, v[0:1]
	s_delay_alu instid0(VALU_DEP_1) | instskip(NEXT) | instid1(VALU_DEP_1)
	v_lshlrev_b64_e32 v[0:1], 2, v[0:1]
	v_cmpx_gt_i64_e64 s[6:7], v[0:1]
	s_cbranch_execz .LBB2_49
; %bb.1:
	s_load_b32 s22, s[0:1], 0x338
	s_add_nc_u64 s[12:13], s[0:1], 0x358
	s_clause 0x1
	s_load_b64 s[8:9], s[0:1], 0x350
	s_load_b64 s[10:11], s[0:1], 0x0
	s_add_nc_u64 s[28:29], s[0:1], 0x1a0
	s_load_b32 s3, s[12:13], 0x0
	s_movk_i32 s18, 0xffe0
	s_add_nc_u64 s[16:17], s[0:1], 0xb8
	s_mov_b32 s19, -1
	s_add_nc_u64 s[34:35], s[0:1], 0x190
	s_mov_b32 s65, 0
	s_wait_kmcnt 0x0
	s_add_co_i32 s14, s22, -2
	v_cvt_f32_u32_e32 v3, s8
	s_ashr_i32 s15, s14, 31
	s_add_co_i32 s20, s22, -3
	s_lshl_b64 s[12:13], s[14:15], 3
	s_ashr_i32 s23, s22, 31
	s_add_nc_u64 s[12:13], s[28:29], s[12:13]
	v_rcp_iflag_f32_e32 v3, v3
	s_load_b64 s[12:13], s[12:13], 0x8
	s_mul_i32 s24, s3, s2
	s_and_b32 s25, s20, 3
	s_lshl_b64 s[2:3], s[22:23], 3
	s_ashr_i32 s21, s20, 31
	s_and_b32 s14, s14, 3
	s_lshl_b32 s62, s24, 2
	s_cmp_lg_u32 s25, 3
	v_cmp_gt_i64_e64 s33, s[22:23], 2
	s_cselect_b32 s63, -1, 0
	s_cmp_gt_u32 s20, 2
	s_wait_alu 0xfffe
	s_add_nc_u64 s[22:23], s[0:1], s[2:3]
	s_add_nc_u64 s[24:25], s[28:29], s[2:3]
	s_cselect_b32 s64, -1, 0
	s_lshl_b64 s[2:3], s[20:21], 3
	s_mov_b32 s15, 0
	s_wait_alu 0xfffe
	s_add_nc_u64 s[30:31], s[0:1], s[2:3]
	s_add_nc_u64 s[2:3], s[28:29], s[2:3]
	s_mov_b64 s[26:27], s[14:15]
	s_add_nc_u64 s[28:29], s[30:31], 0xd0
	s_wait_kmcnt 0x0
	v_cvt_f32_u32_e32 v4, s12
	s_wait_alu 0xfffe
	s_add_nc_u64 s[30:31], s[2:3], 8
	s_ashr_i32 s36, s9, 31
	s_delay_alu instid0(VALU_DEP_1) | instskip(NEXT) | instid1(TRANS32_DEP_1)
	v_rcp_iflag_f32_e32 v4, v4
	v_dual_mul_f32 v3, 0x4f7ffffe, v3 :: v_dual_mul_f32 v4, 0x4f7ffffe, v4
	s_delay_alu instid0(VALU_DEP_1) | instskip(NEXT) | instid1(VALU_DEP_2)
	v_cvt_u32_f32_e32 v20, v3
	v_cvt_u32_f32_e32 v21, v4
	s_branch .LBB2_3
.LBB2_2:                                ;   in Loop: Header=BB2_3 Depth=1
	s_wait_alu 0xfffe
	s_or_b32 exec_lo, exec_lo, s37
	v_add_co_u32 v0, vcc_lo, v0, s62
	s_wait_alu 0xfffd
	v_add_co_ci_u32_e64 v1, null, 0, v1, vcc_lo
	s_delay_alu instid0(VALU_DEP_1) | instskip(SKIP_1) | instid1(SALU_CYCLE_1)
	v_cmp_le_i64_e32 vcc_lo, s[6:7], v[0:1]
	s_or_b32 s65, vcc_lo, s65
	s_and_not1_b32 exec_lo, exec_lo, s65
	s_cbranch_execz .LBB2_49
.LBB2_3:                                ; =>This Loop Header: Depth=1
                                        ;     Child Loop BB2_17 Depth 2
                                        ;     Child Loop BB2_22 Depth 2
	v_or_b32_e32 v3, s9, v1
                                        ; implicit-def: $vgpr6_vgpr7
	s_mov_b32 s0, exec_lo
	s_delay_alu instid0(VALU_DEP_1)
	v_cmpx_ne_u64_e32 0, v[2:3]
	s_wait_alu 0xfffe
	s_xor_b32 s1, exec_lo, s0
	s_cbranch_execz .LBB2_5
; %bb.4:                                ;   in Loop: Header=BB2_3 Depth=1
	s_mov_b32 s37, s36
	v_ashrrev_i32_e32 v9, 31, v1
	s_wait_alu 0xfffe
	s_add_nc_u64 s[2:3], s[8:9], s[36:37]
	s_wait_alu 0xfffe
	s_xor_b64 s[2:3], s[2:3], s[36:37]
	v_add_co_u32 v3, vcc_lo, v0, v9
	s_wait_alu 0xfffe
	s_cvt_f32_u32 s0, s2
	s_cvt_f32_u32 s14, s3
	s_sub_nc_u64 s[40:41], 0, s[2:3]
	s_wait_alu 0xfffd
	v_add_co_ci_u32_e64 v4, null, v1, v9, vcc_lo
	s_wait_alu 0xfffe
	s_fmamk_f32 s0, s14, 0x4f800000, s0
	v_xor_b32_e32 v10, v3, v9
	s_delay_alu instid0(VALU_DEP_2) | instskip(SKIP_2) | instid1(TRANS32_DEP_1)
	v_xor_b32_e32 v11, v4, v9
	s_wait_alu 0xfffe
	v_s_rcp_f32 s0, s0
	s_mul_f32 s0, s0, 0x5f7ffffc
	s_wait_alu 0xfffe
	s_delay_alu instid0(SALU_CYCLE_2) | instskip(SKIP_1) | instid1(SALU_CYCLE_2)
	s_mul_f32 s14, s0, 0x2f800000
	s_wait_alu 0xfffe
	s_trunc_f32 s14, s14
	s_wait_alu 0xfffe
	s_delay_alu instid0(SALU_CYCLE_2) | instskip(SKIP_2) | instid1(SALU_CYCLE_1)
	s_fmamk_f32 s0, s14, 0xcf800000, s0
	s_cvt_u32_f32 s39, s14
	s_wait_alu 0xfffe
	s_cvt_u32_f32 s38, s0
	s_wait_alu 0xfffe
	s_delay_alu instid0(SALU_CYCLE_2) | instskip(NEXT) | instid1(SALU_CYCLE_1)
	s_mul_u64 s[42:43], s[40:41], s[38:39]
	s_mul_hi_u32 s45, s38, s43
	s_mul_i32 s44, s38, s43
	s_mul_hi_u32 s14, s38, s42
	s_mul_i32 s37, s39, s42
	s_wait_alu 0xfffe
	s_add_nc_u64 s[44:45], s[14:15], s[44:45]
	s_mul_hi_u32 s0, s39, s42
	s_mul_hi_u32 s46, s39, s43
	s_wait_alu 0xfffe
	s_add_co_u32 s14, s44, s37
	s_add_co_ci_u32 s14, s45, s0
	s_mul_i32 s42, s39, s43
	s_add_co_ci_u32 s43, s46, 0
	s_wait_alu 0xfffe
	s_add_nc_u64 s[42:43], s[14:15], s[42:43]
	s_delay_alu instid0(SALU_CYCLE_1)
	s_add_co_u32 s38, s38, s42
	s_cselect_b32 s0, -1, 0
	s_wait_alu 0xfffe
	s_cmp_lg_u32 s0, 0
	s_add_co_ci_u32 s39, s39, s43
	s_wait_alu 0xfffe
	s_mul_u64 s[40:41], s[40:41], s[38:39]
	s_wait_alu 0xfffe
	s_mul_hi_u32 s43, s38, s41
	s_mul_i32 s42, s38, s41
	s_mul_hi_u32 s14, s38, s40
	s_mul_i32 s37, s39, s40
	s_wait_alu 0xfffe
	s_add_nc_u64 s[42:43], s[14:15], s[42:43]
	s_mul_hi_u32 s0, s39, s40
	s_mul_hi_u32 s44, s39, s41
	s_add_co_u32 s14, s42, s37
	s_wait_alu 0xfffe
	s_add_co_ci_u32 s14, s43, s0
	s_mul_i32 s40, s39, s41
	s_add_co_ci_u32 s41, s44, 0
	s_wait_alu 0xfffe
	s_add_nc_u64 s[40:41], s[14:15], s[40:41]
	s_wait_alu 0xfffe
	s_add_co_u32 s0, s38, s40
	s_cselect_b32 s14, -1, 0
	s_wait_alu 0xfffe
	v_mul_hi_u32 v12, v10, s0
	s_cmp_lg_u32 s14, 0
	v_mad_co_u64_u32 v[5:6], null, v11, s0, 0
	s_add_co_ci_u32 s14, s39, s41
	s_wait_alu 0xfffe
	v_mad_co_u64_u32 v[3:4], null, v10, s14, 0
	v_mad_co_u64_u32 v[7:8], null, v11, s14, 0
	s_delay_alu instid0(VALU_DEP_2) | instskip(SKIP_1) | instid1(VALU_DEP_3)
	v_add_co_u32 v3, vcc_lo, v12, v3
	s_wait_alu 0xfffd
	v_add_co_ci_u32_e64 v4, null, 0, v4, vcc_lo
	s_delay_alu instid0(VALU_DEP_2) | instskip(SKIP_1) | instid1(VALU_DEP_2)
	v_add_co_u32 v3, vcc_lo, v3, v5
	s_wait_alu 0xfffd
	v_add_co_ci_u32_e32 v3, vcc_lo, v4, v6, vcc_lo
	s_wait_alu 0xfffd
	v_add_co_ci_u32_e32 v4, vcc_lo, 0, v8, vcc_lo
	s_delay_alu instid0(VALU_DEP_2) | instskip(SKIP_1) | instid1(VALU_DEP_2)
	v_add_co_u32 v5, vcc_lo, v3, v7
	s_wait_alu 0xfffd
	v_add_co_ci_u32_e64 v6, null, 0, v4, vcc_lo
	s_delay_alu instid0(VALU_DEP_2) | instskip(SKIP_1) | instid1(VALU_DEP_3)
	v_mul_lo_u32 v7, s3, v5
	v_mad_co_u64_u32 v[3:4], null, s2, v5, 0
	v_mul_lo_u32 v8, s2, v6
	s_delay_alu instid0(VALU_DEP_2) | instskip(NEXT) | instid1(VALU_DEP_2)
	v_sub_co_u32 v3, vcc_lo, v10, v3
	v_add3_u32 v4, v4, v8, v7
	v_add_co_u32 v8, s0, v5, 2
	s_wait_alu 0xf1ff
	v_add_co_ci_u32_e64 v10, null, 0, v6, s0
	s_delay_alu instid0(VALU_DEP_3) | instskip(SKIP_3) | instid1(VALU_DEP_3)
	v_sub_nc_u32_e32 v7, v11, v4
	v_sub_co_u32 v12, s0, v3, s2
	s_wait_alu 0xfffd
	v_sub_co_ci_u32_e64 v4, null, v11, v4, vcc_lo
	v_subrev_co_ci_u32_e64 v7, null, s3, v7, vcc_lo
	s_delay_alu instid0(VALU_DEP_3) | instskip(SKIP_1) | instid1(VALU_DEP_2)
	v_cmp_le_u32_e32 vcc_lo, s2, v12
	s_wait_alu 0xf1ff
	v_subrev_co_ci_u32_e64 v7, null, 0, v7, s0
	s_wait_alu 0xfffd
	v_cndmask_b32_e64 v11, 0, -1, vcc_lo
	s_delay_alu instid0(VALU_DEP_2)
	v_cmp_le_u32_e32 vcc_lo, s3, v7
	s_wait_alu 0xfffd
	v_cndmask_b32_e64 v12, 0, -1, vcc_lo
	v_cmp_le_u32_e32 vcc_lo, s2, v3
	s_wait_alu 0xfffd
	v_cndmask_b32_e64 v3, 0, -1, vcc_lo
	;; [unrolled: 3-line block ×3, first 2 shown]
	v_cmp_eq_u32_e32 vcc_lo, s3, v7
	s_wait_alu 0xfffd
	v_cndmask_b32_e32 v7, v12, v11, vcc_lo
	v_add_co_u32 v11, vcc_lo, v5, 1
	s_wait_alu 0xfffd
	v_add_co_ci_u32_e64 v12, null, 0, v6, vcc_lo
	v_cmp_eq_u32_e32 vcc_lo, s3, v4
	s_wait_alu 0xfffd
	v_cndmask_b32_e32 v3, v13, v3, vcc_lo
	v_cmp_ne_u32_e32 vcc_lo, 0, v7
	v_xor_b32_e32 v7, s36, v9
	s_wait_alu 0xfffd
	v_cndmask_b32_e32 v4, v12, v10, vcc_lo
	v_cmp_ne_u32_e64 s0, 0, v3
	v_cndmask_b32_e32 v3, v11, v8, vcc_lo
	s_wait_alu 0xf1ff
	s_delay_alu instid0(VALU_DEP_2) | instskip(NEXT) | instid1(VALU_DEP_2)
	v_cndmask_b32_e64 v4, v6, v4, s0
	v_cndmask_b32_e64 v3, v5, v3, s0
	s_delay_alu instid0(VALU_DEP_2) | instskip(NEXT) | instid1(VALU_DEP_2)
	v_xor_b32_e32 v4, v4, v7
	v_xor_b32_e32 v3, v3, v7
	s_delay_alu instid0(VALU_DEP_1) | instskip(SKIP_1) | instid1(VALU_DEP_3)
	v_sub_co_u32 v6, vcc_lo, v3, v7
	s_wait_alu 0xfffd
	v_sub_co_ci_u32_e64 v7, null, v4, v7, vcc_lo
.LBB2_5:                                ;   in Loop: Header=BB2_3 Depth=1
	s_wait_alu 0xfffe
	s_and_not1_saveexec_b32 s0, s1
	s_cbranch_execz .LBB2_7
; %bb.6:                                ;   in Loop: Header=BB2_3 Depth=1
	s_sub_co_i32 s1, 0, s8
	v_mov_b32_e32 v7, v2
	s_wait_alu 0xfffe
	v_mul_lo_u32 v3, s1, v20
	s_delay_alu instid0(VALU_DEP_1) | instskip(NEXT) | instid1(VALU_DEP_1)
	v_mul_hi_u32 v3, v20, v3
	v_add_nc_u32_e32 v3, v20, v3
	s_delay_alu instid0(VALU_DEP_1) | instskip(NEXT) | instid1(VALU_DEP_1)
	v_mul_hi_u32 v3, v0, v3
	v_mul_lo_u32 v4, v3, s8
	s_delay_alu instid0(VALU_DEP_1) | instskip(NEXT) | instid1(VALU_DEP_1)
	v_sub_nc_u32_e32 v4, v0, v4
	v_subrev_nc_u32_e32 v6, s8, v4
	v_cmp_le_u32_e32 vcc_lo, s8, v4
	s_wait_alu 0xfffd
	s_delay_alu instid0(VALU_DEP_2) | instskip(NEXT) | instid1(VALU_DEP_1)
	v_dual_cndmask_b32 v4, v4, v6 :: v_dual_add_nc_u32 v5, 1, v3
	v_cndmask_b32_e32 v3, v3, v5, vcc_lo
	s_delay_alu instid0(VALU_DEP_2) | instskip(NEXT) | instid1(VALU_DEP_2)
	v_cmp_le_u32_e32 vcc_lo, s8, v4
	v_add_nc_u32_e32 v5, 1, v3
	s_wait_alu 0xfffd
	s_delay_alu instid0(VALU_DEP_1)
	v_cndmask_b32_e32 v6, v3, v5, vcc_lo
.LBB2_7:                                ;   in Loop: Header=BB2_3 Depth=1
	s_wait_alu 0xfffe
	s_or_b32 exec_lo, exec_lo, s0
	v_or_b32_e32 v3, s13, v7
                                        ; implicit-def: $vgpr10_vgpr11
	s_mov_b32 s0, exec_lo
	s_delay_alu instid0(VALU_DEP_1)
	v_cmpx_ne_u64_e32 0, v[2:3]
	s_wait_alu 0xfffe
	s_xor_b32 s1, exec_lo, s0
	s_cbranch_execz .LBB2_9
; %bb.8:                                ;   in Loop: Header=BB2_3 Depth=1
	s_ashr_i32 s2, s13, 31
	v_ashrrev_i32_e32 v5, 31, v7
	s_wait_alu 0xfffe
	s_mov_b32 s3, s2
	s_wait_alu 0xfffe
	s_add_nc_u64 s[38:39], s[12:13], s[2:3]
	v_add_co_u32 v3, vcc_lo, v6, v5
	s_wait_alu 0xfffe
	s_xor_b64 s[38:39], s[38:39], s[2:3]
	s_wait_alu 0xfffd
	v_add_co_ci_u32_e64 v4, null, v7, v5, vcc_lo
	s_wait_alu 0xfffe
	s_cvt_f32_u32 s0, s38
	s_cvt_f32_u32 s3, s39
	s_sub_nc_u64 s[42:43], 0, s[38:39]
	v_xor_b32_e32 v12, v3, v5
	v_xor_b32_e32 v13, v4, v5
	s_wait_alu 0xfffe
	s_fmamk_f32 s0, s3, 0x4f800000, s0
	v_xor_b32_e32 v5, s2, v5
	s_wait_alu 0xfffe
	s_delay_alu instid0(SALU_CYCLE_1) | instskip(NEXT) | instid1(TRANS32_DEP_1)
	v_s_rcp_f32 s0, s0
	s_mul_f32 s0, s0, 0x5f7ffffc
	s_wait_alu 0xfffe
	s_delay_alu instid0(SALU_CYCLE_2) | instskip(SKIP_1) | instid1(SALU_CYCLE_2)
	s_mul_f32 s3, s0, 0x2f800000
	s_wait_alu 0xfffe
	s_trunc_f32 s3, s3
	s_wait_alu 0xfffe
	s_delay_alu instid0(SALU_CYCLE_2) | instskip(SKIP_2) | instid1(SALU_CYCLE_1)
	s_fmamk_f32 s0, s3, 0xcf800000, s0
	s_cvt_u32_f32 s41, s3
	s_wait_alu 0xfffe
	s_cvt_u32_f32 s40, s0
	s_wait_alu 0xfffe
	s_delay_alu instid0(SALU_CYCLE_2)
	s_mul_u64 s[44:45], s[42:43], s[40:41]
	s_wait_alu 0xfffe
	s_mul_hi_u32 s47, s40, s45
	s_mul_i32 s46, s40, s45
	s_mul_hi_u32 s14, s40, s44
	s_mul_i32 s3, s41, s44
	s_wait_alu 0xfffe
	s_add_nc_u64 s[46:47], s[14:15], s[46:47]
	s_mul_hi_u32 s0, s41, s44
	s_mul_hi_u32 s37, s41, s45
	s_wait_alu 0xfffe
	s_add_co_u32 s3, s46, s3
	s_add_co_ci_u32 s14, s47, s0
	s_mul_i32 s44, s41, s45
	s_add_co_ci_u32 s45, s37, 0
	s_wait_alu 0xfffe
	s_add_nc_u64 s[44:45], s[14:15], s[44:45]
	s_wait_alu 0xfffe
	s_add_co_u32 s40, s40, s44
	s_cselect_b32 s0, -1, 0
	s_wait_alu 0xfffe
	s_cmp_lg_u32 s0, 0
	s_add_co_ci_u32 s41, s41, s45
	s_wait_alu 0xfffe
	s_mul_u64 s[42:43], s[42:43], s[40:41]
	s_delay_alu instid0(SALU_CYCLE_1)
	s_mul_hi_u32 s45, s40, s43
	s_mul_i32 s44, s40, s43
	s_mul_hi_u32 s14, s40, s42
	s_mul_i32 s3, s41, s42
	s_wait_alu 0xfffe
	s_add_nc_u64 s[44:45], s[14:15], s[44:45]
	s_mul_hi_u32 s0, s41, s42
	s_mul_hi_u32 s37, s41, s43
	s_wait_alu 0xfffe
	s_add_co_u32 s3, s44, s3
	s_add_co_ci_u32 s14, s45, s0
	s_mul_i32 s42, s41, s43
	s_add_co_ci_u32 s43, s37, 0
	s_wait_alu 0xfffe
	s_add_nc_u64 s[42:43], s[14:15], s[42:43]
	s_delay_alu instid0(SALU_CYCLE_1)
	s_add_co_u32 s0, s40, s42
	s_cselect_b32 s3, -1, 0
	s_wait_alu 0xfffe
	v_mul_hi_u32 v14, v12, s0
	s_cmp_lg_u32 s3, 0
	v_mad_co_u64_u32 v[8:9], null, v13, s0, 0
	s_add_co_ci_u32 s3, s41, s43
	s_wait_alu 0xfffe
	v_mad_co_u64_u32 v[3:4], null, v12, s3, 0
	v_mad_co_u64_u32 v[10:11], null, v13, s3, 0
	s_delay_alu instid0(VALU_DEP_2) | instskip(SKIP_1) | instid1(VALU_DEP_3)
	v_add_co_u32 v3, vcc_lo, v14, v3
	s_wait_alu 0xfffd
	v_add_co_ci_u32_e64 v4, null, 0, v4, vcc_lo
	s_delay_alu instid0(VALU_DEP_2) | instskip(SKIP_1) | instid1(VALU_DEP_2)
	v_add_co_u32 v3, vcc_lo, v3, v8
	s_wait_alu 0xfffd
	v_add_co_ci_u32_e32 v3, vcc_lo, v4, v9, vcc_lo
	s_wait_alu 0xfffd
	v_add_co_ci_u32_e32 v4, vcc_lo, 0, v11, vcc_lo
	s_delay_alu instid0(VALU_DEP_2) | instskip(SKIP_1) | instid1(VALU_DEP_2)
	v_add_co_u32 v8, vcc_lo, v3, v10
	s_wait_alu 0xfffd
	v_add_co_ci_u32_e64 v9, null, 0, v4, vcc_lo
	s_delay_alu instid0(VALU_DEP_2) | instskip(SKIP_1) | instid1(VALU_DEP_3)
	v_mul_lo_u32 v10, s39, v8
	v_mad_co_u64_u32 v[3:4], null, s38, v8, 0
	v_mul_lo_u32 v11, s38, v9
	s_delay_alu instid0(VALU_DEP_2) | instskip(NEXT) | instid1(VALU_DEP_2)
	v_sub_co_u32 v3, vcc_lo, v12, v3
	v_add3_u32 v4, v4, v11, v10
	v_add_co_u32 v11, s0, v8, 2
	s_wait_alu 0xf1ff
	v_add_co_ci_u32_e64 v12, null, 0, v9, s0
	s_delay_alu instid0(VALU_DEP_3) | instskip(SKIP_3) | instid1(VALU_DEP_3)
	v_sub_nc_u32_e32 v10, v13, v4
	v_sub_co_u32 v14, s0, v3, s38
	s_wait_alu 0xfffd
	v_sub_co_ci_u32_e64 v4, null, v13, v4, vcc_lo
	v_subrev_co_ci_u32_e64 v10, null, s39, v10, vcc_lo
	s_delay_alu instid0(VALU_DEP_3) | instskip(SKIP_1) | instid1(VALU_DEP_2)
	v_cmp_le_u32_e32 vcc_lo, s38, v14
	s_wait_alu 0xf1ff
	v_subrev_co_ci_u32_e64 v10, null, 0, v10, s0
	s_wait_alu 0xfffd
	v_cndmask_b32_e64 v13, 0, -1, vcc_lo
	s_delay_alu instid0(VALU_DEP_2)
	v_cmp_le_u32_e32 vcc_lo, s39, v10
	s_wait_alu 0xfffd
	v_cndmask_b32_e64 v14, 0, -1, vcc_lo
	v_cmp_le_u32_e32 vcc_lo, s38, v3
	s_wait_alu 0xfffd
	v_cndmask_b32_e64 v3, 0, -1, vcc_lo
	;; [unrolled: 3-line block ×3, first 2 shown]
	v_cmp_eq_u32_e32 vcc_lo, s39, v10
	s_wait_alu 0xfffd
	v_cndmask_b32_e32 v10, v14, v13, vcc_lo
	v_add_co_u32 v13, vcc_lo, v8, 1
	s_wait_alu 0xfffd
	v_add_co_ci_u32_e64 v14, null, 0, v9, vcc_lo
	v_cmp_eq_u32_e32 vcc_lo, s39, v4
	s_wait_alu 0xfffd
	v_cndmask_b32_e32 v3, v15, v3, vcc_lo
	v_cmp_ne_u32_e32 vcc_lo, 0, v10
	s_delay_alu instid0(VALU_DEP_2) | instskip(SKIP_3) | instid1(VALU_DEP_1)
	v_cmp_ne_u32_e64 s0, 0, v3
	s_wait_alu 0xfffd
	v_dual_cndmask_b32 v4, v14, v12 :: v_dual_cndmask_b32 v3, v13, v11
	s_wait_alu 0xf1ff
	v_cndmask_b32_e64 v4, v9, v4, s0
	s_delay_alu instid0(VALU_DEP_2) | instskip(NEXT) | instid1(VALU_DEP_2)
	v_cndmask_b32_e64 v3, v8, v3, s0
	v_xor_b32_e32 v4, v4, v5
	s_delay_alu instid0(VALU_DEP_2) | instskip(NEXT) | instid1(VALU_DEP_1)
	v_xor_b32_e32 v3, v3, v5
	v_sub_co_u32 v10, vcc_lo, v3, v5
	s_wait_alu 0xfffd
	s_delay_alu instid0(VALU_DEP_3)
	v_sub_co_ci_u32_e64 v11, null, v4, v5, vcc_lo
.LBB2_9:                                ;   in Loop: Header=BB2_3 Depth=1
	s_wait_alu 0xfffe
	s_and_not1_saveexec_b32 s0, s1
	s_cbranch_execz .LBB2_11
; %bb.10:                               ;   in Loop: Header=BB2_3 Depth=1
	s_sub_co_i32 s1, 0, s12
	v_mov_b32_e32 v11, v2
	s_wait_alu 0xfffe
	v_mul_lo_u32 v3, s1, v21
	s_delay_alu instid0(VALU_DEP_1) | instskip(NEXT) | instid1(VALU_DEP_1)
	v_mul_hi_u32 v3, v21, v3
	v_add_nc_u32_e32 v3, v21, v3
	s_delay_alu instid0(VALU_DEP_1) | instskip(NEXT) | instid1(VALU_DEP_1)
	v_mul_hi_u32 v3, v6, v3
	v_mul_lo_u32 v4, v3, s12
	v_add_nc_u32_e32 v5, 1, v3
	s_delay_alu instid0(VALU_DEP_2) | instskip(NEXT) | instid1(VALU_DEP_1)
	v_sub_nc_u32_e32 v4, v6, v4
	v_subrev_nc_u32_e32 v8, s12, v4
	v_cmp_le_u32_e32 vcc_lo, s12, v4
	s_wait_alu 0xfffd
	s_delay_alu instid0(VALU_DEP_2) | instskip(NEXT) | instid1(VALU_DEP_1)
	v_dual_cndmask_b32 v4, v4, v8 :: v_dual_cndmask_b32 v3, v3, v5
	v_cmp_le_u32_e32 vcc_lo, s12, v4
	s_delay_alu instid0(VALU_DEP_2) | instskip(SKIP_1) | instid1(VALU_DEP_1)
	v_add_nc_u32_e32 v5, 1, v3
	s_wait_alu 0xfffd
	v_cndmask_b32_e32 v10, v3, v5, vcc_lo
.LBB2_11:                               ;   in Loop: Header=BB2_3 Depth=1
	s_wait_alu 0xfffe
	s_or_b32 exec_lo, exec_lo, s0
	v_mul_lo_u32 v5, v7, s8
	v_mul_lo_u32 v12, v6, s9
	v_mad_co_u64_u32 v[3:4], null, v6, s8, 0
	v_mul_lo_u32 v13, v11, s12
	v_mul_lo_u32 v14, v10, s13
	v_mad_co_u64_u32 v[8:9], null, v10, s12, 0
	s_mov_b32 s37, exec_lo
	v_add3_u32 v5, v4, v12, v5
	v_sub_co_u32 v4, vcc_lo, v0, v3
	v_add3_u32 v9, v9, v14, v13
	s_wait_alu 0xfffd
	s_delay_alu instid0(VALU_DEP_3) | instskip(SKIP_3) | instid1(VALU_DEP_2)
	v_sub_co_ci_u32_e64 v5, null, v1, v5, vcc_lo
	v_sub_co_u32 v22, vcc_lo, v6, v8
	s_wait_alu 0xfffd
	v_sub_co_ci_u32_e64 v23, null, v7, v9, vcc_lo
	v_sub_co_u32 v6, vcc_lo, v4, v22
	s_wait_alu 0xfffd
	s_delay_alu instid0(VALU_DEP_2) | instskip(NEXT) | instid1(VALU_DEP_2)
	v_sub_co_ci_u32_e64 v7, null, v5, v23, vcc_lo
	v_add_co_u32 v8, vcc_lo, v6, 4
	s_wait_alu 0xfffd
	s_delay_alu instid0(VALU_DEP_2) | instskip(NEXT) | instid1(VALU_DEP_1)
	v_add_co_ci_u32_e64 v9, null, 0, v7, vcc_lo
	v_cmpx_lt_i64_e64 s[4:5], v[8:9]
	s_cbranch_execz .LBB2_2
; %bb.12:                               ;   in Loop: Header=BB2_3 Depth=1
	s_load_b128 s[0:3], s[22:23], 0xc0
	s_and_not1_b32 vcc_lo, exec_lo, s33
	s_wait_kmcnt 0x0
	v_mul_lo_u32 v3, s3, v4
	v_mul_lo_u32 v12, s2, v5
	v_mad_co_u64_u32 v[8:9], null, s2, v4, 0
	s_delay_alu instid0(VALU_DEP_1) | instskip(SKIP_2) | instid1(VALU_DEP_3)
	v_add3_u32 v9, v9, v12, v3
	v_mul_lo_u32 v3, s0, v23
	v_mul_lo_u32 v12, s1, v22
	v_mad_co_u64_u32 v[8:9], null, s0, v22, v[8:9]
	s_delay_alu instid0(VALU_DEP_1)
	v_add3_u32 v9, v12, v9, v3
	s_wait_alu 0xfffe
	s_cbranch_vccnz .LBB2_38
; %bb.13:                               ;   in Loop: Header=BB2_3 Depth=1
	s_mov_b64 s[38:39], s[26:27]
	s_mov_b64 s[40:41], s[30:31]
	s_and_not1_b32 vcc_lo, exec_lo, s63
	s_mov_b64 s[44:45], s[28:29]
	s_mov_b64 s[42:43], s[20:21]
	s_wait_alu 0xfffe
	s_cbranch_vccz .LBB2_17
.LBB2_14:                               ;   in Loop: Header=BB2_3 Depth=1
	s_and_not1_b32 vcc_lo, exec_lo, s64
	s_wait_alu 0xfffe
	s_cbranch_vccnz .LBB2_38
; %bb.15:                               ;   in Loop: Header=BB2_3 Depth=1
	s_lshl_b64 s[0:1], s[42:43], 3
	s_add_nc_u64 s[42:43], s[42:43], 1
	s_wait_alu 0xfffe
	s_add_nc_u64 s[38:39], s[16:17], s[0:1]
	s_add_nc_u64 s[40:41], s[34:35], s[0:1]
	s_branch .LBB2_22
.LBB2_16:                               ;   in Loop: Header=BB2_17 Depth=2
	s_wait_alu 0xfffe
	s_or_b32 exec_lo, exec_lo, s0
	s_load_b64 s[0:1], s[44:45], 0x0
	v_mul_lo_u32 v3, v13, s46
	v_mul_lo_u32 v16, v12, s47
	v_mad_co_u64_u32 v[14:15], null, v12, s46, 0
	s_add_nc_u64 s[38:39], s[38:39], -1
	s_add_nc_u64 s[42:43], s[42:43], -1
	;; [unrolled: 1-line block ×3, first 2 shown]
	s_wait_alu 0xfffe
	s_cmp_lg_u64 s[38:39], 0
	s_add_nc_u64 s[40:41], s[40:41], -8
	v_add3_u32 v3, v15, v16, v3
	v_sub_co_u32 v10, vcc_lo, v10, v14
	s_wait_alu 0xfffd
	s_delay_alu instid0(VALU_DEP_2) | instskip(SKIP_1) | instid1(VALU_DEP_2)
	v_sub_co_ci_u32_e64 v3, null, v11, v3, vcc_lo
	s_wait_kmcnt 0x0
	v_mul_lo_u32 v11, s1, v10
	s_delay_alu instid0(VALU_DEP_2) | instskip(SKIP_1) | instid1(VALU_DEP_1)
	v_mul_lo_u32 v3, s0, v3
	v_mad_co_u64_u32 v[8:9], null, s0, v10, v[8:9]
	v_add3_u32 v9, v11, v9, v3
	v_dual_mov_b32 v10, v12 :: v_dual_mov_b32 v11, v13
	s_cbranch_scc0 .LBB2_14
.LBB2_17:                               ;   Parent Loop BB2_3 Depth=1
                                        ; =>  This Inner Loop Header: Depth=2
	s_load_b64 s[46:47], s[40:41], 0x0
                                        ; implicit-def: $vgpr12_vgpr13
	s_mov_b32 s0, exec_lo
	s_wait_kmcnt 0x0
	v_or_b32_e32 v3, s47, v11
	s_delay_alu instid0(VALU_DEP_1)
	v_cmpx_ne_u64_e32 0, v[2:3]
	s_wait_alu 0xfffe
	s_xor_b32 s1, exec_lo, s0
	s_cbranch_execz .LBB2_19
; %bb.18:                               ;   in Loop: Header=BB2_17 Depth=2
	s_ashr_i32 s48, s47, 31
	v_ashrrev_i32_e32 v3, 31, v11
	s_wait_alu 0xfffe
	s_mov_b32 s49, s48
	s_wait_alu 0xfffe
	s_add_nc_u64 s[50:51], s[46:47], s[48:49]
	v_add_co_u32 v12, vcc_lo, v10, v3
	s_wait_alu 0xfffe
	s_xor_b64 s[50:51], s[50:51], s[48:49]
	s_wait_alu 0xfffd
	v_add_co_ci_u32_e64 v13, null, v11, v3, vcc_lo
	s_wait_alu 0xfffe
	s_cvt_f32_u32 s0, s50
	s_cvt_f32_u32 s14, s51
	s_sub_nc_u64 s[54:55], 0, s[50:51]
	v_xor_b32_e32 v18, v12, v3
	v_xor_b32_e32 v19, v13, v3
	s_wait_alu 0xfffe
	s_fmamk_f32 s0, s14, 0x4f800000, s0
	v_xor_b32_e32 v3, s48, v3
	s_wait_alu 0xfffe
	s_delay_alu instid0(SALU_CYCLE_1) | instskip(NEXT) | instid1(TRANS32_DEP_1)
	v_s_rcp_f32 s0, s0
	s_mul_f32 s0, s0, 0x5f7ffffc
	s_wait_alu 0xfffe
	s_delay_alu instid0(SALU_CYCLE_2) | instskip(SKIP_1) | instid1(SALU_CYCLE_2)
	s_mul_f32 s14, s0, 0x2f800000
	s_wait_alu 0xfffe
	s_trunc_f32 s14, s14
	s_wait_alu 0xfffe
	s_delay_alu instid0(SALU_CYCLE_2) | instskip(SKIP_2) | instid1(SALU_CYCLE_1)
	s_fmamk_f32 s0, s14, 0xcf800000, s0
	s_cvt_u32_f32 s53, s14
	s_wait_alu 0xfffe
	s_cvt_u32_f32 s52, s0
	s_wait_alu 0xfffe
	s_delay_alu instid0(SALU_CYCLE_2)
	s_mul_u64 s[56:57], s[54:55], s[52:53]
	s_wait_alu 0xfffe
	s_mul_hi_u32 s59, s52, s57
	s_mul_i32 s58, s52, s57
	s_mul_hi_u32 s14, s52, s56
	s_mul_i32 s49, s53, s56
	s_wait_alu 0xfffe
	s_add_nc_u64 s[58:59], s[14:15], s[58:59]
	s_mul_hi_u32 s0, s53, s56
	s_mul_hi_u32 s60, s53, s57
	s_wait_alu 0xfffe
	s_add_co_u32 s14, s58, s49
	s_add_co_ci_u32 s14, s59, s0
	s_mul_i32 s56, s53, s57
	s_add_co_ci_u32 s57, s60, 0
	s_wait_alu 0xfffe
	s_add_nc_u64 s[56:57], s[14:15], s[56:57]
	s_wait_alu 0xfffe
	s_add_co_u32 s52, s52, s56
	s_cselect_b32 s0, -1, 0
	s_wait_alu 0xfffe
	s_cmp_lg_u32 s0, 0
	s_add_co_ci_u32 s53, s53, s57
	s_wait_alu 0xfffe
	s_mul_u64 s[54:55], s[54:55], s[52:53]
	s_wait_alu 0xfffe
	s_mul_hi_u32 s57, s52, s55
	s_mul_i32 s56, s52, s55
	s_mul_hi_u32 s14, s52, s54
	s_mul_i32 s49, s53, s54
	s_wait_alu 0xfffe
	s_add_nc_u64 s[56:57], s[14:15], s[56:57]
	s_mul_hi_u32 s0, s53, s54
	s_mul_hi_u32 s58, s53, s55
	s_wait_alu 0xfffe
	s_add_co_u32 s14, s56, s49
	s_add_co_ci_u32 s14, s57, s0
	s_mul_i32 s54, s53, s55
	s_add_co_ci_u32 s55, s58, 0
	s_wait_alu 0xfffe
	s_add_nc_u64 s[54:55], s[14:15], s[54:55]
	s_wait_alu 0xfffe
	s_add_co_u32 s0, s52, s54
	s_cselect_b32 s14, -1, 0
	s_wait_alu 0xfffe
	v_mul_hi_u32 v24, v18, s0
	s_cmp_lg_u32 s14, 0
	v_mad_co_u64_u32 v[14:15], null, v19, s0, 0
	s_add_co_ci_u32 s14, s53, s55
	s_wait_alu 0xfffe
	v_mad_co_u64_u32 v[12:13], null, v18, s14, 0
	v_mad_co_u64_u32 v[16:17], null, v19, s14, 0
	s_delay_alu instid0(VALU_DEP_2) | instskip(SKIP_1) | instid1(VALU_DEP_3)
	v_add_co_u32 v12, vcc_lo, v24, v12
	s_wait_alu 0xfffd
	v_add_co_ci_u32_e64 v13, null, 0, v13, vcc_lo
	s_delay_alu instid0(VALU_DEP_2) | instskip(SKIP_1) | instid1(VALU_DEP_2)
	v_add_co_u32 v12, vcc_lo, v12, v14
	s_wait_alu 0xfffd
	v_add_co_ci_u32_e32 v12, vcc_lo, v13, v15, vcc_lo
	s_wait_alu 0xfffd
	v_add_co_ci_u32_e32 v13, vcc_lo, 0, v17, vcc_lo
	s_delay_alu instid0(VALU_DEP_2) | instskip(SKIP_1) | instid1(VALU_DEP_2)
	v_add_co_u32 v14, vcc_lo, v12, v16
	s_wait_alu 0xfffd
	v_add_co_ci_u32_e64 v15, null, 0, v13, vcc_lo
	s_delay_alu instid0(VALU_DEP_2) | instskip(SKIP_1) | instid1(VALU_DEP_3)
	v_mul_lo_u32 v16, s51, v14
	v_mad_co_u64_u32 v[12:13], null, s50, v14, 0
	v_mul_lo_u32 v17, s50, v15
	s_delay_alu instid0(VALU_DEP_2) | instskip(NEXT) | instid1(VALU_DEP_2)
	v_sub_co_u32 v12, vcc_lo, v18, v12
	v_add3_u32 v13, v13, v17, v16
	v_add_co_u32 v17, s0, v14, 2
	s_wait_alu 0xf1ff
	v_add_co_ci_u32_e64 v18, null, 0, v15, s0
	s_delay_alu instid0(VALU_DEP_3) | instskip(SKIP_3) | instid1(VALU_DEP_3)
	v_sub_nc_u32_e32 v16, v19, v13
	v_sub_co_u32 v24, s0, v12, s50
	s_wait_alu 0xfffd
	v_sub_co_ci_u32_e64 v13, null, v19, v13, vcc_lo
	v_subrev_co_ci_u32_e64 v16, null, s51, v16, vcc_lo
	s_delay_alu instid0(VALU_DEP_3) | instskip(SKIP_1) | instid1(VALU_DEP_2)
	v_cmp_le_u32_e32 vcc_lo, s50, v24
	s_wait_alu 0xf1ff
	v_subrev_co_ci_u32_e64 v16, null, 0, v16, s0
	s_wait_alu 0xfffd
	v_cndmask_b32_e64 v19, 0, -1, vcc_lo
	s_delay_alu instid0(VALU_DEP_2)
	v_cmp_le_u32_e32 vcc_lo, s51, v16
	s_wait_alu 0xfffd
	v_cndmask_b32_e64 v24, 0, -1, vcc_lo
	v_cmp_le_u32_e32 vcc_lo, s50, v12
	s_wait_alu 0xfffd
	v_cndmask_b32_e64 v12, 0, -1, vcc_lo
	;; [unrolled: 3-line block ×3, first 2 shown]
	v_cmp_eq_u32_e32 vcc_lo, s51, v16
	s_wait_alu 0xfffd
	v_cndmask_b32_e32 v16, v24, v19, vcc_lo
	v_add_co_u32 v19, vcc_lo, v14, 1
	s_wait_alu 0xfffd
	v_add_co_ci_u32_e64 v24, null, 0, v15, vcc_lo
	v_cmp_eq_u32_e32 vcc_lo, s51, v13
	s_wait_alu 0xfffd
	v_cndmask_b32_e32 v12, v25, v12, vcc_lo
	v_cmp_ne_u32_e32 vcc_lo, 0, v16
	s_wait_alu 0xfffd
	v_cndmask_b32_e32 v13, v24, v18, vcc_lo
	s_delay_alu instid0(VALU_DEP_3) | instskip(SKIP_2) | instid1(VALU_DEP_2)
	v_cmp_ne_u32_e64 s0, 0, v12
	v_cndmask_b32_e32 v12, v19, v17, vcc_lo
	s_wait_alu 0xf1ff
	v_cndmask_b32_e64 v13, v15, v13, s0
	s_delay_alu instid0(VALU_DEP_2) | instskip(NEXT) | instid1(VALU_DEP_2)
	v_cndmask_b32_e64 v12, v14, v12, s0
	v_xor_b32_e32 v13, v13, v3
	s_delay_alu instid0(VALU_DEP_2) | instskip(NEXT) | instid1(VALU_DEP_1)
	v_xor_b32_e32 v12, v12, v3
	v_sub_co_u32 v12, vcc_lo, v12, v3
	s_wait_alu 0xfffd
	s_delay_alu instid0(VALU_DEP_3)
	v_sub_co_ci_u32_e64 v13, null, v13, v3, vcc_lo
.LBB2_19:                               ;   in Loop: Header=BB2_17 Depth=2
	s_wait_alu 0xfffe
	s_and_not1_saveexec_b32 s0, s1
	s_cbranch_execz .LBB2_16
; %bb.20:                               ;   in Loop: Header=BB2_17 Depth=2
	v_cvt_f32_u32_e32 v3, s46
	s_sub_co_i32 s1, 0, s46
	s_delay_alu instid0(VALU_DEP_1) | instskip(NEXT) | instid1(TRANS32_DEP_1)
	v_rcp_iflag_f32_e32 v3, v3
	v_mul_f32_e32 v3, 0x4f7ffffe, v3
	s_delay_alu instid0(VALU_DEP_1) | instskip(SKIP_1) | instid1(VALU_DEP_1)
	v_cvt_u32_f32_e32 v3, v3
	s_wait_alu 0xfffe
	v_mul_lo_u32 v12, s1, v3
	s_delay_alu instid0(VALU_DEP_1) | instskip(NEXT) | instid1(VALU_DEP_1)
	v_mul_hi_u32 v12, v3, v12
	v_add_nc_u32_e32 v3, v3, v12
	s_delay_alu instid0(VALU_DEP_1) | instskip(NEXT) | instid1(VALU_DEP_1)
	v_mul_hi_u32 v3, v10, v3
	v_mul_lo_u32 v12, v3, s46
	v_add_nc_u32_e32 v13, 1, v3
	s_delay_alu instid0(VALU_DEP_2) | instskip(NEXT) | instid1(VALU_DEP_1)
	v_sub_nc_u32_e32 v12, v10, v12
	v_subrev_nc_u32_e32 v14, s46, v12
	v_cmp_le_u32_e32 vcc_lo, s46, v12
	s_wait_alu 0xfffd
	s_delay_alu instid0(VALU_DEP_2) | instskip(NEXT) | instid1(VALU_DEP_1)
	v_dual_cndmask_b32 v12, v12, v14 :: v_dual_cndmask_b32 v3, v3, v13
	v_cmp_le_u32_e32 vcc_lo, s46, v12
	s_delay_alu instid0(VALU_DEP_2) | instskip(SKIP_1) | instid1(VALU_DEP_1)
	v_add_nc_u32_e32 v13, 1, v3
	s_wait_alu 0xfffd
	v_dual_cndmask_b32 v12, v3, v13 :: v_dual_mov_b32 v13, v2
	s_branch .LBB2_16
.LBB2_21:                               ;   in Loop: Header=BB2_22 Depth=2
	s_wait_alu 0xfffe
	s_or_b32 exec_lo, exec_lo, s0
	v_mul_lo_u32 v3, v13, s44
	v_mul_lo_u32 v28, v12, s45
	v_mad_co_u64_u32 v[24:25], null, v12, s44, 0
	v_mul_lo_u32 v29, v15, s48
	v_mul_lo_u32 v30, v14, s49
	v_mad_co_u64_u32 v[26:27], null, v14, s48, 0
	s_load_b64 s[0:1], s[38:39], 0x0
	s_add_nc_u64 s[42:43], s[42:43], -4
	v_add3_u32 v3, v25, v28, v3
	v_sub_co_u32 v10, vcc_lo, v10, v24
	v_mul_lo_u32 v24, v17, s52
	v_add3_u32 v25, v27, v30, v29
	s_wait_alu 0xfffd
	v_sub_co_ci_u32_e64 v3, null, v11, v3, vcc_lo
	v_mul_lo_u32 v27, s47, v10
	v_mad_co_u64_u32 v[8:9], null, s46, v10, v[8:9]
	s_delay_alu instid0(VALU_DEP_3)
	v_mul_lo_u32 v3, s46, v3
	v_mul_lo_u32 v28, v16, s53
	v_mad_co_u64_u32 v[10:11], null, v16, s52, 0
	v_sub_co_u32 v12, vcc_lo, v12, v26
	s_wait_alu 0xfffd
	v_sub_co_ci_u32_e64 v13, null, v13, v25, vcc_lo
	v_add3_u32 v9, v27, v9, v3
	s_add_nc_u64 s[38:39], s[38:39], s[18:19]
	s_delay_alu instid0(VALU_DEP_4)
	v_add3_u32 v3, v11, v28, v24
	v_mul_lo_u32 v24, s51, v12
	v_mul_lo_u32 v13, s50, v13
	v_mad_co_u64_u32 v[8:9], null, s50, v12, v[8:9]
	v_sub_co_u32 v12, vcc_lo, v14, v10
	s_wait_alu 0xfffd
	v_sub_co_ci_u32_e64 v3, null, v15, v3, vcc_lo
	v_mul_lo_u32 v14, v19, s56
	v_mul_lo_u32 v15, v18, s57
	v_mad_co_u64_u32 v[10:11], null, v18, s56, 0
	v_add3_u32 v9, v24, v9, v13
	v_mul_lo_u32 v3, s54, v3
	s_cmp_eq_u64 s[42:43], 0
	s_add_nc_u64 s[40:41], s[40:41], s[18:19]
	s_delay_alu instid0(VALU_DEP_2) | instskip(SKIP_4) | instid1(VALU_DEP_2)
	v_mad_co_u64_u32 v[8:9], null, s54, v12, v[8:9]
	v_mul_lo_u32 v12, s55, v12
	v_add3_u32 v11, v11, v15, v14
	v_sub_co_u32 v10, vcc_lo, v16, v10
	s_wait_alu 0xfffd
	v_sub_co_ci_u32_e64 v11, null, v17, v11, vcc_lo
	s_delay_alu instid0(VALU_DEP_4) | instskip(SKIP_1) | instid1(VALU_DEP_2)
	v_add3_u32 v9, v12, v9, v3
	s_wait_kmcnt 0x0
	v_mul_lo_u32 v3, s0, v11
	v_mul_lo_u32 v11, s1, v10
	s_delay_alu instid0(VALU_DEP_3) | instskip(NEXT) | instid1(VALU_DEP_1)
	v_mad_co_u64_u32 v[8:9], null, s0, v10, v[8:9]
	v_add3_u32 v9, v11, v9, v3
	v_dual_mov_b32 v10, v18 :: v_dual_mov_b32 v11, v19
	s_cbranch_scc1 .LBB2_38
.LBB2_22:                               ;   Parent Loop BB2_3 Depth=1
                                        ; =>  This Inner Loop Header: Depth=2
	s_load_b64 s[44:45], s[40:41], 0x18
                                        ; implicit-def: $vgpr12_vgpr13
	s_mov_b32 s0, exec_lo
	s_wait_kmcnt 0x0
	v_or_b32_e32 v3, s45, v11
	s_delay_alu instid0(VALU_DEP_1)
	v_cmpx_ne_u64_e32 0, v[2:3]
	s_wait_alu 0xfffe
	s_xor_b32 s1, exec_lo, s0
	s_cbranch_execz .LBB2_24
; %bb.23:                               ;   in Loop: Header=BB2_22 Depth=2
	s_ashr_i32 s46, s45, 31
	v_ashrrev_i32_e32 v3, 31, v11
	s_wait_alu 0xfffe
	s_mov_b32 s47, s46
	s_wait_alu 0xfffe
	s_add_nc_u64 s[48:49], s[44:45], s[46:47]
	v_add_co_u32 v12, vcc_lo, v10, v3
	s_wait_alu 0xfffe
	s_xor_b64 s[48:49], s[48:49], s[46:47]
	s_wait_alu 0xfffd
	v_add_co_ci_u32_e64 v13, null, v11, v3, vcc_lo
	s_wait_alu 0xfffe
	s_cvt_f32_u32 s0, s48
	s_cvt_f32_u32 s14, s49
	s_sub_nc_u64 s[52:53], 0, s[48:49]
	v_xor_b32_e32 v18, v12, v3
	v_xor_b32_e32 v19, v13, v3
	s_wait_alu 0xfffe
	s_fmamk_f32 s0, s14, 0x4f800000, s0
	v_xor_b32_e32 v3, s46, v3
	s_wait_alu 0xfffe
	s_delay_alu instid0(SALU_CYCLE_1) | instskip(NEXT) | instid1(TRANS32_DEP_1)
	v_s_rcp_f32 s0, s0
	s_mul_f32 s0, s0, 0x5f7ffffc
	s_wait_alu 0xfffe
	s_delay_alu instid0(SALU_CYCLE_2) | instskip(SKIP_1) | instid1(SALU_CYCLE_2)
	s_mul_f32 s14, s0, 0x2f800000
	s_wait_alu 0xfffe
	s_trunc_f32 s14, s14
	s_wait_alu 0xfffe
	s_delay_alu instid0(SALU_CYCLE_2) | instskip(SKIP_2) | instid1(SALU_CYCLE_1)
	s_fmamk_f32 s0, s14, 0xcf800000, s0
	s_cvt_u32_f32 s51, s14
	s_wait_alu 0xfffe
	s_cvt_u32_f32 s50, s0
	s_wait_alu 0xfffe
	s_delay_alu instid0(SALU_CYCLE_2)
	s_mul_u64 s[54:55], s[52:53], s[50:51]
	s_wait_alu 0xfffe
	s_mul_hi_u32 s57, s50, s55
	s_mul_i32 s56, s50, s55
	s_mul_hi_u32 s14, s50, s54
	s_mul_i32 s47, s51, s54
	s_wait_alu 0xfffe
	s_add_nc_u64 s[56:57], s[14:15], s[56:57]
	s_mul_hi_u32 s0, s51, s54
	s_mul_hi_u32 s58, s51, s55
	s_wait_alu 0xfffe
	s_add_co_u32 s14, s56, s47
	s_add_co_ci_u32 s14, s57, s0
	s_mul_i32 s54, s51, s55
	s_add_co_ci_u32 s55, s58, 0
	s_wait_alu 0xfffe
	s_add_nc_u64 s[54:55], s[14:15], s[54:55]
	s_wait_alu 0xfffe
	s_add_co_u32 s50, s50, s54
	s_cselect_b32 s0, -1, 0
	s_wait_alu 0xfffe
	s_cmp_lg_u32 s0, 0
	s_add_co_ci_u32 s51, s51, s55
	s_wait_alu 0xfffe
	s_mul_u64 s[52:53], s[52:53], s[50:51]
	s_wait_alu 0xfffe
	s_mul_hi_u32 s55, s50, s53
	s_mul_i32 s54, s50, s53
	s_mul_hi_u32 s14, s50, s52
	s_mul_i32 s47, s51, s52
	s_wait_alu 0xfffe
	s_add_nc_u64 s[54:55], s[14:15], s[54:55]
	s_mul_hi_u32 s0, s51, s52
	s_mul_hi_u32 s56, s51, s53
	s_wait_alu 0xfffe
	s_add_co_u32 s14, s54, s47
	s_add_co_ci_u32 s14, s55, s0
	s_mul_i32 s52, s51, s53
	s_add_co_ci_u32 s53, s56, 0
	s_wait_alu 0xfffe
	s_add_nc_u64 s[52:53], s[14:15], s[52:53]
	s_wait_alu 0xfffe
	s_add_co_u32 s0, s50, s52
	s_cselect_b32 s14, -1, 0
	s_wait_alu 0xfffe
	v_mul_hi_u32 v24, v18, s0
	s_cmp_lg_u32 s14, 0
	v_mad_co_u64_u32 v[14:15], null, v19, s0, 0
	s_add_co_ci_u32 s14, s51, s53
	s_wait_alu 0xfffe
	v_mad_co_u64_u32 v[12:13], null, v18, s14, 0
	v_mad_co_u64_u32 v[16:17], null, v19, s14, 0
	s_delay_alu instid0(VALU_DEP_2) | instskip(SKIP_1) | instid1(VALU_DEP_3)
	v_add_co_u32 v12, vcc_lo, v24, v12
	s_wait_alu 0xfffd
	v_add_co_ci_u32_e64 v13, null, 0, v13, vcc_lo
	s_delay_alu instid0(VALU_DEP_2) | instskip(SKIP_1) | instid1(VALU_DEP_2)
	v_add_co_u32 v12, vcc_lo, v12, v14
	s_wait_alu 0xfffd
	v_add_co_ci_u32_e32 v12, vcc_lo, v13, v15, vcc_lo
	s_wait_alu 0xfffd
	v_add_co_ci_u32_e32 v13, vcc_lo, 0, v17, vcc_lo
	s_delay_alu instid0(VALU_DEP_2) | instskip(SKIP_1) | instid1(VALU_DEP_2)
	v_add_co_u32 v14, vcc_lo, v12, v16
	s_wait_alu 0xfffd
	v_add_co_ci_u32_e64 v15, null, 0, v13, vcc_lo
	s_delay_alu instid0(VALU_DEP_2) | instskip(SKIP_1) | instid1(VALU_DEP_3)
	v_mul_lo_u32 v16, s49, v14
	v_mad_co_u64_u32 v[12:13], null, s48, v14, 0
	v_mul_lo_u32 v17, s48, v15
	s_delay_alu instid0(VALU_DEP_2) | instskip(NEXT) | instid1(VALU_DEP_2)
	v_sub_co_u32 v12, vcc_lo, v18, v12
	v_add3_u32 v13, v13, v17, v16
	v_add_co_u32 v17, s0, v14, 2
	s_wait_alu 0xf1ff
	v_add_co_ci_u32_e64 v18, null, 0, v15, s0
	s_delay_alu instid0(VALU_DEP_3) | instskip(SKIP_3) | instid1(VALU_DEP_3)
	v_sub_nc_u32_e32 v16, v19, v13
	v_sub_co_u32 v24, s0, v12, s48
	s_wait_alu 0xfffd
	v_sub_co_ci_u32_e64 v13, null, v19, v13, vcc_lo
	v_subrev_co_ci_u32_e64 v16, null, s49, v16, vcc_lo
	s_delay_alu instid0(VALU_DEP_3) | instskip(SKIP_1) | instid1(VALU_DEP_2)
	v_cmp_le_u32_e32 vcc_lo, s48, v24
	s_wait_alu 0xf1ff
	v_subrev_co_ci_u32_e64 v16, null, 0, v16, s0
	s_wait_alu 0xfffd
	v_cndmask_b32_e64 v19, 0, -1, vcc_lo
	s_delay_alu instid0(VALU_DEP_2)
	v_cmp_le_u32_e32 vcc_lo, s49, v16
	s_wait_alu 0xfffd
	v_cndmask_b32_e64 v24, 0, -1, vcc_lo
	v_cmp_le_u32_e32 vcc_lo, s48, v12
	s_wait_alu 0xfffd
	v_cndmask_b32_e64 v12, 0, -1, vcc_lo
	;; [unrolled: 3-line block ×3, first 2 shown]
	v_cmp_eq_u32_e32 vcc_lo, s49, v16
	s_wait_alu 0xfffd
	v_cndmask_b32_e32 v16, v24, v19, vcc_lo
	v_add_co_u32 v19, vcc_lo, v14, 1
	s_wait_alu 0xfffd
	v_add_co_ci_u32_e64 v24, null, 0, v15, vcc_lo
	v_cmp_eq_u32_e32 vcc_lo, s49, v13
	s_wait_alu 0xfffd
	v_cndmask_b32_e32 v12, v25, v12, vcc_lo
	v_cmp_ne_u32_e32 vcc_lo, 0, v16
	s_wait_alu 0xfffd
	v_cndmask_b32_e32 v13, v24, v18, vcc_lo
	s_delay_alu instid0(VALU_DEP_3) | instskip(SKIP_2) | instid1(VALU_DEP_2)
	v_cmp_ne_u32_e64 s0, 0, v12
	v_cndmask_b32_e32 v12, v19, v17, vcc_lo
	s_wait_alu 0xf1ff
	v_cndmask_b32_e64 v13, v15, v13, s0
	s_delay_alu instid0(VALU_DEP_2) | instskip(NEXT) | instid1(VALU_DEP_2)
	v_cndmask_b32_e64 v12, v14, v12, s0
	v_xor_b32_e32 v13, v13, v3
	s_delay_alu instid0(VALU_DEP_2) | instskip(NEXT) | instid1(VALU_DEP_1)
	v_xor_b32_e32 v12, v12, v3
	v_sub_co_u32 v12, vcc_lo, v12, v3
	s_wait_alu 0xfffd
	s_delay_alu instid0(VALU_DEP_3)
	v_sub_co_ci_u32_e64 v13, null, v13, v3, vcc_lo
.LBB2_24:                               ;   in Loop: Header=BB2_22 Depth=2
	s_wait_alu 0xfffe
	s_and_not1_saveexec_b32 s0, s1
	s_cbranch_execz .LBB2_26
; %bb.25:                               ;   in Loop: Header=BB2_22 Depth=2
	v_cvt_f32_u32_e32 v3, s44
	s_sub_co_i32 s1, 0, s44
	s_delay_alu instid0(VALU_DEP_1) | instskip(NEXT) | instid1(TRANS32_DEP_1)
	v_rcp_iflag_f32_e32 v3, v3
	v_mul_f32_e32 v3, 0x4f7ffffe, v3
	s_delay_alu instid0(VALU_DEP_1) | instskip(SKIP_1) | instid1(VALU_DEP_1)
	v_cvt_u32_f32_e32 v3, v3
	s_wait_alu 0xfffe
	v_mul_lo_u32 v12, s1, v3
	s_delay_alu instid0(VALU_DEP_1) | instskip(NEXT) | instid1(VALU_DEP_1)
	v_mul_hi_u32 v12, v3, v12
	v_add_nc_u32_e32 v3, v3, v12
	s_delay_alu instid0(VALU_DEP_1) | instskip(NEXT) | instid1(VALU_DEP_1)
	v_mul_hi_u32 v3, v10, v3
	v_mul_lo_u32 v12, v3, s44
	v_add_nc_u32_e32 v13, 1, v3
	s_delay_alu instid0(VALU_DEP_2) | instskip(NEXT) | instid1(VALU_DEP_1)
	v_sub_nc_u32_e32 v12, v10, v12
	v_subrev_nc_u32_e32 v14, s44, v12
	v_cmp_le_u32_e32 vcc_lo, s44, v12
	s_wait_alu 0xfffd
	s_delay_alu instid0(VALU_DEP_2) | instskip(NEXT) | instid1(VALU_DEP_1)
	v_dual_cndmask_b32 v12, v12, v14 :: v_dual_cndmask_b32 v3, v3, v13
	v_cmp_le_u32_e32 vcc_lo, s44, v12
	s_delay_alu instid0(VALU_DEP_2) | instskip(SKIP_1) | instid1(VALU_DEP_1)
	v_add_nc_u32_e32 v13, 1, v3
	s_wait_alu 0xfffd
	v_dual_cndmask_b32 v12, v3, v13 :: v_dual_mov_b32 v13, v2
.LBB2_26:                               ;   in Loop: Header=BB2_22 Depth=2
	s_wait_alu 0xfffe
	s_or_b32 exec_lo, exec_lo, s0
	s_load_b64 s[48:49], s[40:41], 0x10
	s_load_b64 s[46:47], s[38:39], 0x18
                                        ; implicit-def: $vgpr14_vgpr15
	s_mov_b32 s0, exec_lo
	s_wait_kmcnt 0x0
	v_or_b32_e32 v3, s49, v13
	s_delay_alu instid0(VALU_DEP_1)
	v_cmpx_ne_u64_e32 0, v[2:3]
	s_wait_alu 0xfffe
	s_xor_b32 s1, exec_lo, s0
	s_cbranch_execz .LBB2_28
; %bb.27:                               ;   in Loop: Header=BB2_22 Depth=2
	s_ashr_i32 s50, s49, 31
	v_ashrrev_i32_e32 v3, 31, v13
	s_wait_alu 0xfffe
	s_mov_b32 s51, s50
	s_wait_alu 0xfffe
	s_add_nc_u64 s[52:53], s[48:49], s[50:51]
	v_add_co_u32 v14, vcc_lo, v12, v3
	s_wait_alu 0xfffe
	s_xor_b64 s[52:53], s[52:53], s[50:51]
	s_wait_alu 0xfffd
	v_add_co_ci_u32_e64 v15, null, v13, v3, vcc_lo
	s_wait_alu 0xfffe
	s_cvt_f32_u32 s0, s52
	s_cvt_f32_u32 s14, s53
	s_sub_nc_u64 s[56:57], 0, s[52:53]
	v_xor_b32_e32 v24, v14, v3
	v_xor_b32_e32 v25, v15, v3
	s_wait_alu 0xfffe
	s_fmamk_f32 s0, s14, 0x4f800000, s0
	v_xor_b32_e32 v3, s50, v3
	s_wait_alu 0xfffe
	s_delay_alu instid0(SALU_CYCLE_1) | instskip(NEXT) | instid1(TRANS32_DEP_1)
	v_s_rcp_f32 s0, s0
	s_mul_f32 s0, s0, 0x5f7ffffc
	s_wait_alu 0xfffe
	s_delay_alu instid0(SALU_CYCLE_2) | instskip(SKIP_1) | instid1(SALU_CYCLE_2)
	s_mul_f32 s14, s0, 0x2f800000
	s_wait_alu 0xfffe
	s_trunc_f32 s14, s14
	s_wait_alu 0xfffe
	s_delay_alu instid0(SALU_CYCLE_2) | instskip(SKIP_2) | instid1(SALU_CYCLE_1)
	s_fmamk_f32 s0, s14, 0xcf800000, s0
	s_cvt_u32_f32 s55, s14
	s_wait_alu 0xfffe
	s_cvt_u32_f32 s54, s0
	s_wait_alu 0xfffe
	s_delay_alu instid0(SALU_CYCLE_2)
	s_mul_u64 s[58:59], s[56:57], s[54:55]
	s_wait_alu 0xfffe
	s_mul_hi_u32 s61, s54, s59
	s_mul_i32 s60, s54, s59
	s_mul_hi_u32 s14, s54, s58
	s_mul_i32 s51, s55, s58
	s_wait_alu 0xfffe
	s_add_nc_u64 s[60:61], s[14:15], s[60:61]
	s_mul_hi_u32 s0, s55, s58
	s_mul_hi_u32 s66, s55, s59
	s_wait_alu 0xfffe
	s_add_co_u32 s14, s60, s51
	s_add_co_ci_u32 s14, s61, s0
	s_mul_i32 s58, s55, s59
	s_add_co_ci_u32 s59, s66, 0
	s_wait_alu 0xfffe
	s_add_nc_u64 s[58:59], s[14:15], s[58:59]
	s_wait_alu 0xfffe
	s_add_co_u32 s54, s54, s58
	s_cselect_b32 s0, -1, 0
	s_wait_alu 0xfffe
	s_cmp_lg_u32 s0, 0
	s_add_co_ci_u32 s55, s55, s59
	s_wait_alu 0xfffe
	s_mul_u64 s[56:57], s[56:57], s[54:55]
	s_wait_alu 0xfffe
	s_mul_hi_u32 s59, s54, s57
	s_mul_i32 s58, s54, s57
	s_mul_hi_u32 s14, s54, s56
	s_mul_i32 s51, s55, s56
	s_wait_alu 0xfffe
	s_add_nc_u64 s[58:59], s[14:15], s[58:59]
	s_mul_hi_u32 s0, s55, s56
	s_mul_hi_u32 s60, s55, s57
	s_wait_alu 0xfffe
	s_add_co_u32 s14, s58, s51
	s_add_co_ci_u32 s14, s59, s0
	s_mul_i32 s56, s55, s57
	s_add_co_ci_u32 s57, s60, 0
	s_wait_alu 0xfffe
	s_add_nc_u64 s[56:57], s[14:15], s[56:57]
	s_wait_alu 0xfffe
	s_add_co_u32 s0, s54, s56
	s_cselect_b32 s14, -1, 0
	s_wait_alu 0xfffe
	v_mul_hi_u32 v26, v24, s0
	s_cmp_lg_u32 s14, 0
	v_mad_co_u64_u32 v[16:17], null, v25, s0, 0
	s_add_co_ci_u32 s14, s55, s57
	s_wait_alu 0xfffe
	v_mad_co_u64_u32 v[14:15], null, v24, s14, 0
	v_mad_co_u64_u32 v[18:19], null, v25, s14, 0
	s_delay_alu instid0(VALU_DEP_2) | instskip(SKIP_1) | instid1(VALU_DEP_3)
	v_add_co_u32 v14, vcc_lo, v26, v14
	s_wait_alu 0xfffd
	v_add_co_ci_u32_e64 v15, null, 0, v15, vcc_lo
	s_delay_alu instid0(VALU_DEP_2) | instskip(SKIP_1) | instid1(VALU_DEP_2)
	v_add_co_u32 v14, vcc_lo, v14, v16
	s_wait_alu 0xfffd
	v_add_co_ci_u32_e32 v14, vcc_lo, v15, v17, vcc_lo
	s_wait_alu 0xfffd
	v_add_co_ci_u32_e32 v15, vcc_lo, 0, v19, vcc_lo
	s_delay_alu instid0(VALU_DEP_2) | instskip(SKIP_1) | instid1(VALU_DEP_2)
	v_add_co_u32 v16, vcc_lo, v14, v18
	s_wait_alu 0xfffd
	v_add_co_ci_u32_e64 v17, null, 0, v15, vcc_lo
	s_delay_alu instid0(VALU_DEP_2) | instskip(SKIP_1) | instid1(VALU_DEP_3)
	v_mul_lo_u32 v18, s53, v16
	v_mad_co_u64_u32 v[14:15], null, s52, v16, 0
	v_mul_lo_u32 v19, s52, v17
	s_delay_alu instid0(VALU_DEP_2) | instskip(NEXT) | instid1(VALU_DEP_2)
	v_sub_co_u32 v14, vcc_lo, v24, v14
	v_add3_u32 v15, v15, v19, v18
	v_add_co_u32 v19, s0, v16, 2
	s_wait_alu 0xf1ff
	v_add_co_ci_u32_e64 v24, null, 0, v17, s0
	s_delay_alu instid0(VALU_DEP_3) | instskip(SKIP_3) | instid1(VALU_DEP_3)
	v_sub_nc_u32_e32 v18, v25, v15
	v_sub_co_u32 v26, s0, v14, s52
	s_wait_alu 0xfffd
	v_sub_co_ci_u32_e64 v15, null, v25, v15, vcc_lo
	v_subrev_co_ci_u32_e64 v18, null, s53, v18, vcc_lo
	s_delay_alu instid0(VALU_DEP_3) | instskip(SKIP_1) | instid1(VALU_DEP_2)
	v_cmp_le_u32_e32 vcc_lo, s52, v26
	s_wait_alu 0xf1ff
	v_subrev_co_ci_u32_e64 v18, null, 0, v18, s0
	s_wait_alu 0xfffd
	v_cndmask_b32_e64 v25, 0, -1, vcc_lo
	s_delay_alu instid0(VALU_DEP_2)
	v_cmp_le_u32_e32 vcc_lo, s53, v18
	s_wait_alu 0xfffd
	v_cndmask_b32_e64 v26, 0, -1, vcc_lo
	v_cmp_le_u32_e32 vcc_lo, s52, v14
	s_wait_alu 0xfffd
	v_cndmask_b32_e64 v14, 0, -1, vcc_lo
	v_cmp_le_u32_e32 vcc_lo, s53, v15
	s_wait_alu 0xfffd
	v_cndmask_b32_e64 v27, 0, -1, vcc_lo
	v_cmp_eq_u32_e32 vcc_lo, s53, v18
	s_wait_alu 0xfffd
	v_cndmask_b32_e32 v18, v26, v25, vcc_lo
	v_add_co_u32 v25, vcc_lo, v16, 1
	s_wait_alu 0xfffd
	v_add_co_ci_u32_e64 v26, null, 0, v17, vcc_lo
	v_cmp_eq_u32_e32 vcc_lo, s53, v15
	s_wait_alu 0xfffd
	v_cndmask_b32_e32 v14, v27, v14, vcc_lo
	v_cmp_ne_u32_e32 vcc_lo, 0, v18
	s_wait_alu 0xfffd
	v_cndmask_b32_e32 v15, v26, v24, vcc_lo
	s_delay_alu instid0(VALU_DEP_3) | instskip(SKIP_2) | instid1(VALU_DEP_2)
	v_cmp_ne_u32_e64 s0, 0, v14
	v_cndmask_b32_e32 v14, v25, v19, vcc_lo
	s_wait_alu 0xf1ff
	v_cndmask_b32_e64 v15, v17, v15, s0
	s_delay_alu instid0(VALU_DEP_2) | instskip(NEXT) | instid1(VALU_DEP_2)
	v_cndmask_b32_e64 v14, v16, v14, s0
	v_xor_b32_e32 v15, v15, v3
	s_delay_alu instid0(VALU_DEP_2) | instskip(NEXT) | instid1(VALU_DEP_1)
	v_xor_b32_e32 v14, v14, v3
	v_sub_co_u32 v14, vcc_lo, v14, v3
	s_wait_alu 0xfffd
	s_delay_alu instid0(VALU_DEP_3)
	v_sub_co_ci_u32_e64 v15, null, v15, v3, vcc_lo
.LBB2_28:                               ;   in Loop: Header=BB2_22 Depth=2
	s_wait_alu 0xfffe
	s_and_not1_saveexec_b32 s0, s1
	s_cbranch_execz .LBB2_30
; %bb.29:                               ;   in Loop: Header=BB2_22 Depth=2
	v_cvt_f32_u32_e32 v3, s48
	s_sub_co_i32 s1, 0, s48
	s_delay_alu instid0(VALU_DEP_1) | instskip(NEXT) | instid1(TRANS32_DEP_1)
	v_rcp_iflag_f32_e32 v3, v3
	v_mul_f32_e32 v3, 0x4f7ffffe, v3
	s_delay_alu instid0(VALU_DEP_1) | instskip(SKIP_1) | instid1(VALU_DEP_1)
	v_cvt_u32_f32_e32 v3, v3
	s_wait_alu 0xfffe
	v_mul_lo_u32 v14, s1, v3
	s_delay_alu instid0(VALU_DEP_1) | instskip(NEXT) | instid1(VALU_DEP_1)
	v_mul_hi_u32 v14, v3, v14
	v_add_nc_u32_e32 v3, v3, v14
	s_delay_alu instid0(VALU_DEP_1) | instskip(NEXT) | instid1(VALU_DEP_1)
	v_mul_hi_u32 v3, v12, v3
	v_mul_lo_u32 v14, v3, s48
	v_add_nc_u32_e32 v15, 1, v3
	s_delay_alu instid0(VALU_DEP_2) | instskip(NEXT) | instid1(VALU_DEP_1)
	v_sub_nc_u32_e32 v14, v12, v14
	v_subrev_nc_u32_e32 v16, s48, v14
	v_cmp_le_u32_e32 vcc_lo, s48, v14
	s_wait_alu 0xfffd
	s_delay_alu instid0(VALU_DEP_2) | instskip(NEXT) | instid1(VALU_DEP_1)
	v_dual_cndmask_b32 v14, v14, v16 :: v_dual_cndmask_b32 v3, v3, v15
	v_cmp_le_u32_e32 vcc_lo, s48, v14
	s_delay_alu instid0(VALU_DEP_2) | instskip(SKIP_1) | instid1(VALU_DEP_1)
	v_add_nc_u32_e32 v15, 1, v3
	s_wait_alu 0xfffd
	v_dual_cndmask_b32 v14, v3, v15 :: v_dual_mov_b32 v15, v2
.LBB2_30:                               ;   in Loop: Header=BB2_22 Depth=2
	s_wait_alu 0xfffe
	s_or_b32 exec_lo, exec_lo, s0
	s_load_b64 s[52:53], s[40:41], 0x8
	s_load_b64 s[50:51], s[38:39], 0x10
                                        ; implicit-def: $vgpr16_vgpr17
	s_mov_b32 s0, exec_lo
	s_wait_kmcnt 0x0
	v_or_b32_e32 v3, s53, v15
	s_delay_alu instid0(VALU_DEP_1)
	v_cmpx_ne_u64_e32 0, v[2:3]
	s_wait_alu 0xfffe
	s_xor_b32 s1, exec_lo, s0
	s_cbranch_execz .LBB2_32
; %bb.31:                               ;   in Loop: Header=BB2_22 Depth=2
	s_ashr_i32 s54, s53, 31
	v_ashrrev_i32_e32 v3, 31, v15
	s_wait_alu 0xfffe
	s_mov_b32 s55, s54
	s_wait_alu 0xfffe
	s_add_nc_u64 s[56:57], s[52:53], s[54:55]
	v_add_co_u32 v16, vcc_lo, v14, v3
	s_wait_alu 0xfffe
	s_xor_b64 s[56:57], s[56:57], s[54:55]
	s_wait_alu 0xfffd
	v_add_co_ci_u32_e64 v17, null, v15, v3, vcc_lo
	s_wait_alu 0xfffe
	s_cvt_f32_u32 s0, s56
	s_cvt_f32_u32 s14, s57
	s_sub_nc_u64 s[60:61], 0, s[56:57]
	v_xor_b32_e32 v26, v16, v3
	v_xor_b32_e32 v27, v17, v3
	s_wait_alu 0xfffe
	s_fmamk_f32 s0, s14, 0x4f800000, s0
	v_xor_b32_e32 v3, s54, v3
	s_wait_alu 0xfffe
	s_delay_alu instid0(SALU_CYCLE_1) | instskip(NEXT) | instid1(TRANS32_DEP_1)
	v_s_rcp_f32 s0, s0
	s_mul_f32 s0, s0, 0x5f7ffffc
	s_wait_alu 0xfffe
	s_delay_alu instid0(SALU_CYCLE_2) | instskip(SKIP_1) | instid1(SALU_CYCLE_2)
	s_mul_f32 s14, s0, 0x2f800000
	s_wait_alu 0xfffe
	s_trunc_f32 s14, s14
	s_wait_alu 0xfffe
	s_delay_alu instid0(SALU_CYCLE_2) | instskip(SKIP_2) | instid1(SALU_CYCLE_1)
	s_fmamk_f32 s0, s14, 0xcf800000, s0
	s_cvt_u32_f32 s59, s14
	s_wait_alu 0xfffe
	s_cvt_u32_f32 s58, s0
	s_wait_alu 0xfffe
	s_delay_alu instid0(SALU_CYCLE_2) | instskip(NEXT) | instid1(SALU_CYCLE_1)
	s_mul_u64 s[66:67], s[60:61], s[58:59]
	s_mul_hi_u32 s69, s58, s67
	s_mul_i32 s68, s58, s67
	s_mul_hi_u32 s14, s58, s66
	s_mul_i32 s55, s59, s66
	s_wait_alu 0xfffe
	s_add_nc_u64 s[68:69], s[14:15], s[68:69]
	s_mul_hi_u32 s0, s59, s66
	s_mul_hi_u32 s70, s59, s67
	s_add_co_u32 s14, s68, s55
	s_wait_alu 0xfffe
	s_add_co_ci_u32 s14, s69, s0
	s_mul_i32 s66, s59, s67
	s_add_co_ci_u32 s67, s70, 0
	s_wait_alu 0xfffe
	s_add_nc_u64 s[66:67], s[14:15], s[66:67]
	s_delay_alu instid0(SALU_CYCLE_1)
	s_add_co_u32 s58, s58, s66
	s_cselect_b32 s0, -1, 0
	s_wait_alu 0xfffe
	s_cmp_lg_u32 s0, 0
	s_add_co_ci_u32 s59, s59, s67
	s_wait_alu 0xfffe
	s_mul_u64 s[60:61], s[60:61], s[58:59]
	s_wait_alu 0xfffe
	s_mul_hi_u32 s67, s58, s61
	s_mul_i32 s66, s58, s61
	s_mul_hi_u32 s14, s58, s60
	s_mul_i32 s55, s59, s60
	s_wait_alu 0xfffe
	s_add_nc_u64 s[66:67], s[14:15], s[66:67]
	s_mul_hi_u32 s0, s59, s60
	s_mul_hi_u32 s68, s59, s61
	s_add_co_u32 s14, s66, s55
	s_wait_alu 0xfffe
	s_add_co_ci_u32 s14, s67, s0
	s_mul_i32 s60, s59, s61
	s_add_co_ci_u32 s61, s68, 0
	s_wait_alu 0xfffe
	s_add_nc_u64 s[60:61], s[14:15], s[60:61]
	s_wait_alu 0xfffe
	s_add_co_u32 s0, s58, s60
	s_cselect_b32 s14, -1, 0
	s_wait_alu 0xfffe
	v_mul_hi_u32 v28, v26, s0
	s_cmp_lg_u32 s14, 0
	v_mad_co_u64_u32 v[18:19], null, v27, s0, 0
	s_add_co_ci_u32 s14, s59, s61
	s_wait_alu 0xfffe
	v_mad_co_u64_u32 v[16:17], null, v26, s14, 0
	v_mad_co_u64_u32 v[24:25], null, v27, s14, 0
	s_delay_alu instid0(VALU_DEP_2) | instskip(SKIP_1) | instid1(VALU_DEP_3)
	v_add_co_u32 v16, vcc_lo, v28, v16
	s_wait_alu 0xfffd
	v_add_co_ci_u32_e64 v17, null, 0, v17, vcc_lo
	s_delay_alu instid0(VALU_DEP_2) | instskip(SKIP_1) | instid1(VALU_DEP_2)
	v_add_co_u32 v16, vcc_lo, v16, v18
	s_wait_alu 0xfffd
	v_add_co_ci_u32_e32 v16, vcc_lo, v17, v19, vcc_lo
	s_wait_alu 0xfffd
	v_add_co_ci_u32_e32 v17, vcc_lo, 0, v25, vcc_lo
	s_delay_alu instid0(VALU_DEP_2) | instskip(SKIP_1) | instid1(VALU_DEP_2)
	v_add_co_u32 v18, vcc_lo, v16, v24
	s_wait_alu 0xfffd
	v_add_co_ci_u32_e64 v19, null, 0, v17, vcc_lo
	s_delay_alu instid0(VALU_DEP_2) | instskip(SKIP_1) | instid1(VALU_DEP_3)
	v_mul_lo_u32 v24, s57, v18
	v_mad_co_u64_u32 v[16:17], null, s56, v18, 0
	v_mul_lo_u32 v25, s56, v19
	s_delay_alu instid0(VALU_DEP_2) | instskip(NEXT) | instid1(VALU_DEP_2)
	v_sub_co_u32 v16, vcc_lo, v26, v16
	v_add3_u32 v17, v17, v25, v24
	v_add_co_u32 v25, s0, v18, 2
	s_wait_alu 0xf1ff
	v_add_co_ci_u32_e64 v26, null, 0, v19, s0
	s_delay_alu instid0(VALU_DEP_3) | instskip(SKIP_3) | instid1(VALU_DEP_3)
	v_sub_nc_u32_e32 v24, v27, v17
	v_sub_co_u32 v28, s0, v16, s56
	s_wait_alu 0xfffd
	v_sub_co_ci_u32_e64 v17, null, v27, v17, vcc_lo
	v_subrev_co_ci_u32_e64 v24, null, s57, v24, vcc_lo
	s_delay_alu instid0(VALU_DEP_3) | instskip(SKIP_1) | instid1(VALU_DEP_2)
	v_cmp_le_u32_e32 vcc_lo, s56, v28
	s_wait_alu 0xf1ff
	v_subrev_co_ci_u32_e64 v24, null, 0, v24, s0
	s_wait_alu 0xfffd
	v_cndmask_b32_e64 v27, 0, -1, vcc_lo
	s_delay_alu instid0(VALU_DEP_2)
	v_cmp_le_u32_e32 vcc_lo, s57, v24
	s_wait_alu 0xfffd
	v_cndmask_b32_e64 v28, 0, -1, vcc_lo
	v_cmp_le_u32_e32 vcc_lo, s56, v16
	s_wait_alu 0xfffd
	v_cndmask_b32_e64 v16, 0, -1, vcc_lo
	;; [unrolled: 3-line block ×3, first 2 shown]
	v_cmp_eq_u32_e32 vcc_lo, s57, v24
	s_wait_alu 0xfffd
	v_cndmask_b32_e32 v24, v28, v27, vcc_lo
	v_add_co_u32 v27, vcc_lo, v18, 1
	s_wait_alu 0xfffd
	v_add_co_ci_u32_e64 v28, null, 0, v19, vcc_lo
	v_cmp_eq_u32_e32 vcc_lo, s57, v17
	s_wait_alu 0xfffd
	v_cndmask_b32_e32 v16, v29, v16, vcc_lo
	v_cmp_ne_u32_e32 vcc_lo, 0, v24
	s_wait_alu 0xfffd
	v_cndmask_b32_e32 v17, v28, v26, vcc_lo
	s_delay_alu instid0(VALU_DEP_3) | instskip(SKIP_2) | instid1(VALU_DEP_2)
	v_cmp_ne_u32_e64 s0, 0, v16
	v_cndmask_b32_e32 v16, v27, v25, vcc_lo
	s_wait_alu 0xf1ff
	v_cndmask_b32_e64 v17, v19, v17, s0
	s_delay_alu instid0(VALU_DEP_2) | instskip(NEXT) | instid1(VALU_DEP_2)
	v_cndmask_b32_e64 v16, v18, v16, s0
	v_xor_b32_e32 v17, v17, v3
	s_delay_alu instid0(VALU_DEP_2) | instskip(NEXT) | instid1(VALU_DEP_1)
	v_xor_b32_e32 v16, v16, v3
	v_sub_co_u32 v16, vcc_lo, v16, v3
	s_wait_alu 0xfffd
	s_delay_alu instid0(VALU_DEP_3)
	v_sub_co_ci_u32_e64 v17, null, v17, v3, vcc_lo
.LBB2_32:                               ;   in Loop: Header=BB2_22 Depth=2
	s_wait_alu 0xfffe
	s_and_not1_saveexec_b32 s0, s1
	s_cbranch_execz .LBB2_34
; %bb.33:                               ;   in Loop: Header=BB2_22 Depth=2
	v_cvt_f32_u32_e32 v3, s52
	s_sub_co_i32 s1, 0, s52
	s_delay_alu instid0(VALU_DEP_1) | instskip(NEXT) | instid1(TRANS32_DEP_1)
	v_rcp_iflag_f32_e32 v3, v3
	v_mul_f32_e32 v3, 0x4f7ffffe, v3
	s_delay_alu instid0(VALU_DEP_1) | instskip(SKIP_1) | instid1(VALU_DEP_1)
	v_cvt_u32_f32_e32 v3, v3
	s_wait_alu 0xfffe
	v_mul_lo_u32 v16, s1, v3
	s_delay_alu instid0(VALU_DEP_1) | instskip(NEXT) | instid1(VALU_DEP_1)
	v_mul_hi_u32 v16, v3, v16
	v_add_nc_u32_e32 v3, v3, v16
	s_delay_alu instid0(VALU_DEP_1) | instskip(NEXT) | instid1(VALU_DEP_1)
	v_mul_hi_u32 v3, v14, v3
	v_mul_lo_u32 v16, v3, s52
	v_add_nc_u32_e32 v17, 1, v3
	s_delay_alu instid0(VALU_DEP_2) | instskip(NEXT) | instid1(VALU_DEP_1)
	v_sub_nc_u32_e32 v16, v14, v16
	v_subrev_nc_u32_e32 v18, s52, v16
	v_cmp_le_u32_e32 vcc_lo, s52, v16
	s_wait_alu 0xfffd
	s_delay_alu instid0(VALU_DEP_2) | instskip(NEXT) | instid1(VALU_DEP_1)
	v_dual_cndmask_b32 v16, v16, v18 :: v_dual_cndmask_b32 v3, v3, v17
	v_cmp_le_u32_e32 vcc_lo, s52, v16
	s_delay_alu instid0(VALU_DEP_2) | instskip(SKIP_1) | instid1(VALU_DEP_1)
	v_add_nc_u32_e32 v17, 1, v3
	s_wait_alu 0xfffd
	v_dual_cndmask_b32 v16, v3, v17 :: v_dual_mov_b32 v17, v2
.LBB2_34:                               ;   in Loop: Header=BB2_22 Depth=2
	s_wait_alu 0xfffe
	s_or_b32 exec_lo, exec_lo, s0
	s_load_b64 s[56:57], s[40:41], 0x0
	s_load_b64 s[54:55], s[38:39], 0x8
                                        ; implicit-def: $vgpr18_vgpr19
	s_mov_b32 s0, exec_lo
	s_wait_kmcnt 0x0
	v_or_b32_e32 v3, s57, v17
	s_delay_alu instid0(VALU_DEP_1)
	v_cmpx_ne_u64_e32 0, v[2:3]
	s_wait_alu 0xfffe
	s_xor_b32 s1, exec_lo, s0
	s_cbranch_execz .LBB2_36
; %bb.35:                               ;   in Loop: Header=BB2_22 Depth=2
	s_ashr_i32 s58, s57, 31
	v_ashrrev_i32_e32 v3, 31, v17
	s_wait_alu 0xfffe
	s_mov_b32 s59, s58
	s_wait_alu 0xfffe
	s_add_nc_u64 s[60:61], s[56:57], s[58:59]
	v_add_co_u32 v18, vcc_lo, v16, v3
	s_wait_alu 0xfffe
	s_xor_b64 s[60:61], s[60:61], s[58:59]
	s_wait_alu 0xfffd
	v_add_co_ci_u32_e64 v19, null, v17, v3, vcc_lo
	s_wait_alu 0xfffe
	s_cvt_f32_u32 s0, s60
	s_cvt_f32_u32 s14, s61
	s_sub_nc_u64 s[68:69], 0, s[60:61]
	v_xor_b32_e32 v28, v18, v3
	v_xor_b32_e32 v29, v19, v3
	s_wait_alu 0xfffe
	s_fmamk_f32 s0, s14, 0x4f800000, s0
	v_xor_b32_e32 v3, s58, v3
	s_wait_alu 0xfffe
	s_delay_alu instid0(SALU_CYCLE_1) | instskip(NEXT) | instid1(TRANS32_DEP_1)
	v_s_rcp_f32 s0, s0
	s_mul_f32 s0, s0, 0x5f7ffffc
	s_wait_alu 0xfffe
	s_delay_alu instid0(SALU_CYCLE_2) | instskip(SKIP_1) | instid1(SALU_CYCLE_2)
	s_mul_f32 s14, s0, 0x2f800000
	s_wait_alu 0xfffe
	s_trunc_f32 s14, s14
	s_wait_alu 0xfffe
	s_delay_alu instid0(SALU_CYCLE_2) | instskip(SKIP_2) | instid1(SALU_CYCLE_1)
	s_fmamk_f32 s0, s14, 0xcf800000, s0
	s_cvt_u32_f32 s67, s14
	s_wait_alu 0xfffe
	s_cvt_u32_f32 s66, s0
	s_delay_alu instid0(SALU_CYCLE_3) | instskip(NEXT) | instid1(SALU_CYCLE_1)
	s_mul_u64 s[70:71], s[68:69], s[66:67]
	s_mul_hi_u32 s73, s66, s71
	s_mul_i32 s72, s66, s71
	s_mul_hi_u32 s14, s66, s70
	s_mul_i32 s59, s67, s70
	s_wait_alu 0xfffe
	s_add_nc_u64 s[72:73], s[14:15], s[72:73]
	s_mul_hi_u32 s0, s67, s70
	s_mul_hi_u32 s74, s67, s71
	s_add_co_u32 s14, s72, s59
	s_wait_alu 0xfffe
	s_add_co_ci_u32 s14, s73, s0
	s_mul_i32 s70, s67, s71
	s_add_co_ci_u32 s71, s74, 0
	s_wait_alu 0xfffe
	s_add_nc_u64 s[70:71], s[14:15], s[70:71]
	s_delay_alu instid0(SALU_CYCLE_1) | instskip(SKIP_4) | instid1(SALU_CYCLE_1)
	s_add_co_u32 s66, s66, s70
	s_cselect_b32 s0, -1, 0
	s_wait_alu 0xfffe
	s_cmp_lg_u32 s0, 0
	s_add_co_ci_u32 s67, s67, s71
	s_mul_u64 s[68:69], s[68:69], s[66:67]
	s_delay_alu instid0(SALU_CYCLE_1)
	s_mul_hi_u32 s71, s66, s69
	s_mul_i32 s70, s66, s69
	s_mul_hi_u32 s14, s66, s68
	s_mul_i32 s59, s67, s68
	s_wait_alu 0xfffe
	s_add_nc_u64 s[70:71], s[14:15], s[70:71]
	s_mul_hi_u32 s0, s67, s68
	s_mul_hi_u32 s72, s67, s69
	s_add_co_u32 s14, s70, s59
	s_wait_alu 0xfffe
	s_add_co_ci_u32 s14, s71, s0
	s_mul_i32 s68, s67, s69
	s_add_co_ci_u32 s69, s72, 0
	s_wait_alu 0xfffe
	s_add_nc_u64 s[68:69], s[14:15], s[68:69]
	s_delay_alu instid0(SALU_CYCLE_1)
	s_add_co_u32 s0, s66, s68
	s_cselect_b32 s14, -1, 0
	s_wait_alu 0xfffe
	v_mul_hi_u32 v30, v28, s0
	s_cmp_lg_u32 s14, 0
	v_mad_co_u64_u32 v[24:25], null, v29, s0, 0
	s_add_co_ci_u32 s14, s67, s69
	s_wait_alu 0xfffe
	v_mad_co_u64_u32 v[18:19], null, v28, s14, 0
	v_mad_co_u64_u32 v[26:27], null, v29, s14, 0
	s_delay_alu instid0(VALU_DEP_2) | instskip(SKIP_1) | instid1(VALU_DEP_3)
	v_add_co_u32 v18, vcc_lo, v30, v18
	s_wait_alu 0xfffd
	v_add_co_ci_u32_e64 v19, null, 0, v19, vcc_lo
	s_delay_alu instid0(VALU_DEP_2) | instskip(SKIP_1) | instid1(VALU_DEP_2)
	v_add_co_u32 v18, vcc_lo, v18, v24
	s_wait_alu 0xfffd
	v_add_co_ci_u32_e32 v18, vcc_lo, v19, v25, vcc_lo
	s_wait_alu 0xfffd
	v_add_co_ci_u32_e32 v19, vcc_lo, 0, v27, vcc_lo
	s_delay_alu instid0(VALU_DEP_2) | instskip(SKIP_1) | instid1(VALU_DEP_2)
	v_add_co_u32 v24, vcc_lo, v18, v26
	s_wait_alu 0xfffd
	v_add_co_ci_u32_e64 v25, null, 0, v19, vcc_lo
	s_delay_alu instid0(VALU_DEP_2) | instskip(SKIP_1) | instid1(VALU_DEP_3)
	v_mul_lo_u32 v26, s61, v24
	v_mad_co_u64_u32 v[18:19], null, s60, v24, 0
	v_mul_lo_u32 v27, s60, v25
	s_delay_alu instid0(VALU_DEP_2) | instskip(NEXT) | instid1(VALU_DEP_2)
	v_sub_co_u32 v18, vcc_lo, v28, v18
	v_add3_u32 v19, v19, v27, v26
	v_add_co_u32 v27, s0, v24, 2
	s_wait_alu 0xf1ff
	v_add_co_ci_u32_e64 v28, null, 0, v25, s0
	s_delay_alu instid0(VALU_DEP_3) | instskip(SKIP_3) | instid1(VALU_DEP_3)
	v_sub_nc_u32_e32 v26, v29, v19
	v_sub_co_u32 v30, s0, v18, s60
	s_wait_alu 0xfffd
	v_sub_co_ci_u32_e64 v19, null, v29, v19, vcc_lo
	v_subrev_co_ci_u32_e64 v26, null, s61, v26, vcc_lo
	s_delay_alu instid0(VALU_DEP_3) | instskip(SKIP_1) | instid1(VALU_DEP_2)
	v_cmp_le_u32_e32 vcc_lo, s60, v30
	s_wait_alu 0xf1ff
	v_subrev_co_ci_u32_e64 v26, null, 0, v26, s0
	s_wait_alu 0xfffd
	v_cndmask_b32_e64 v29, 0, -1, vcc_lo
	s_delay_alu instid0(VALU_DEP_2)
	v_cmp_le_u32_e32 vcc_lo, s61, v26
	s_wait_alu 0xfffd
	v_cndmask_b32_e64 v30, 0, -1, vcc_lo
	v_cmp_le_u32_e32 vcc_lo, s60, v18
	s_wait_alu 0xfffd
	v_cndmask_b32_e64 v18, 0, -1, vcc_lo
	;; [unrolled: 3-line block ×3, first 2 shown]
	v_cmp_eq_u32_e32 vcc_lo, s61, v26
	s_wait_alu 0xfffd
	v_cndmask_b32_e32 v26, v30, v29, vcc_lo
	v_add_co_u32 v29, vcc_lo, v24, 1
	s_wait_alu 0xfffd
	v_add_co_ci_u32_e64 v30, null, 0, v25, vcc_lo
	v_cmp_eq_u32_e32 vcc_lo, s61, v19
	s_wait_alu 0xfffd
	v_cndmask_b32_e32 v18, v31, v18, vcc_lo
	v_cmp_ne_u32_e32 vcc_lo, 0, v26
	s_wait_alu 0xfffd
	v_cndmask_b32_e32 v19, v30, v28, vcc_lo
	s_delay_alu instid0(VALU_DEP_3) | instskip(SKIP_2) | instid1(VALU_DEP_2)
	v_cmp_ne_u32_e64 s0, 0, v18
	v_cndmask_b32_e32 v18, v29, v27, vcc_lo
	s_wait_alu 0xf1ff
	v_cndmask_b32_e64 v19, v25, v19, s0
	s_delay_alu instid0(VALU_DEP_2) | instskip(NEXT) | instid1(VALU_DEP_2)
	v_cndmask_b32_e64 v18, v24, v18, s0
	v_xor_b32_e32 v19, v19, v3
	s_delay_alu instid0(VALU_DEP_2) | instskip(NEXT) | instid1(VALU_DEP_1)
	v_xor_b32_e32 v18, v18, v3
	v_sub_co_u32 v18, vcc_lo, v18, v3
	s_wait_alu 0xfffd
	s_delay_alu instid0(VALU_DEP_3)
	v_sub_co_ci_u32_e64 v19, null, v19, v3, vcc_lo
.LBB2_36:                               ;   in Loop: Header=BB2_22 Depth=2
	s_wait_alu 0xfffe
	s_and_not1_saveexec_b32 s0, s1
	s_cbranch_execz .LBB2_21
; %bb.37:                               ;   in Loop: Header=BB2_22 Depth=2
	v_cvt_f32_u32_e32 v3, s56
	s_sub_co_i32 s1, 0, s56
	s_delay_alu instid0(VALU_DEP_1) | instskip(NEXT) | instid1(TRANS32_DEP_1)
	v_rcp_iflag_f32_e32 v3, v3
	v_mul_f32_e32 v3, 0x4f7ffffe, v3
	s_delay_alu instid0(VALU_DEP_1) | instskip(SKIP_1) | instid1(VALU_DEP_1)
	v_cvt_u32_f32_e32 v3, v3
	s_wait_alu 0xfffe
	v_mul_lo_u32 v18, s1, v3
	s_delay_alu instid0(VALU_DEP_1) | instskip(NEXT) | instid1(VALU_DEP_1)
	v_mul_hi_u32 v18, v3, v18
	v_add_nc_u32_e32 v3, v3, v18
	s_delay_alu instid0(VALU_DEP_1) | instskip(NEXT) | instid1(VALU_DEP_1)
	v_mul_hi_u32 v3, v16, v3
	v_mul_lo_u32 v18, v3, s56
	v_add_nc_u32_e32 v19, 1, v3
	s_delay_alu instid0(VALU_DEP_2) | instskip(NEXT) | instid1(VALU_DEP_1)
	v_sub_nc_u32_e32 v18, v16, v18
	v_subrev_nc_u32_e32 v24, s56, v18
	v_cmp_le_u32_e32 vcc_lo, s56, v18
	s_wait_alu 0xfffd
	s_delay_alu instid0(VALU_DEP_2) | instskip(NEXT) | instid1(VALU_DEP_1)
	v_dual_cndmask_b32 v18, v18, v24 :: v_dual_cndmask_b32 v3, v3, v19
	v_cmp_le_u32_e32 vcc_lo, s56, v18
	s_delay_alu instid0(VALU_DEP_2) | instskip(SKIP_1) | instid1(VALU_DEP_1)
	v_add_nc_u32_e32 v19, 1, v3
	s_wait_alu 0xfffd
	v_dual_cndmask_b32 v18, v3, v19 :: v_dual_mov_b32 v19, v2
	s_branch .LBB2_21
.LBB2_38:                               ;   in Loop: Header=BB2_3 Depth=1
	s_load_b64 s[38:39], s[24:25], 0x0
	s_wait_kmcnt 0x0
	v_cmp_gt_i64_e32 vcc_lo, s[38:39], v[4:5]
	s_and_b32 exec_lo, exec_lo, vcc_lo
	s_cbranch_execz .LBB2_2
; %bb.39:                               ;   in Loop: Header=BB2_3 Depth=1
	v_cmp_lt_i64_e32 vcc_lo, s[4:5], v[6:7]
	v_add_co_u32 v6, s0, s10, v8
	s_wait_alu 0xf1ff
	v_add_co_ci_u32_e64 v7, null, s11, v9, s0
	s_and_saveexec_b32 s0, vcc_lo
	s_cbranch_execz .LBB2_41
; %bb.40:                               ;   in Loop: Header=BB2_3 Depth=1
	global_store_b8 v[6:7], v2, off
.LBB2_41:                               ;   in Loop: Header=BB2_3 Depth=1
	s_wait_alu 0xfffe
	s_or_b32 exec_lo, exec_lo, s0
	v_add_co_u32 v8, vcc_lo, v4, 1
	s_wait_alu 0xfffd
	v_add_co_ci_u32_e64 v9, null, 0, v5, vcc_lo
	s_delay_alu instid0(VALU_DEP_1)
	v_cmp_gt_i64_e32 vcc_lo, s[38:39], v[8:9]
	s_and_b32 exec_lo, exec_lo, vcc_lo
	s_cbranch_execz .LBB2_2
; %bb.42:                               ;   in Loop: Header=BB2_3 Depth=1
	v_sub_co_u32 v8, vcc_lo, v8, v22
	s_wait_alu 0xfffd
	v_sub_co_ci_u32_e64 v9, null, v9, v23, vcc_lo
	s_mov_b32 s0, exec_lo
	v_cmpx_lt_i64_e64 s[4:5], v[8:9]
	s_cbranch_execz .LBB2_44
; %bb.43:                               ;   in Loop: Header=BB2_3 Depth=1
	v_add_co_u32 v8, vcc_lo, v6, s2
	s_wait_alu 0xfffd
	v_add_co_ci_u32_e64 v9, null, s3, v7, vcc_lo
	global_store_b8 v[8:9], v2, off
.LBB2_44:                               ;   in Loop: Header=BB2_3 Depth=1
	s_wait_alu 0xfffe
	s_or_b32 exec_lo, exec_lo, s0
	v_add_co_u32 v8, vcc_lo, v4, 2
	s_wait_alu 0xfffd
	v_add_co_ci_u32_e64 v9, null, 0, v5, vcc_lo
	s_delay_alu instid0(VALU_DEP_1)
	v_cmp_gt_i64_e32 vcc_lo, s[38:39], v[8:9]
	s_and_b32 exec_lo, exec_lo, vcc_lo
	s_cbranch_execz .LBB2_2
; %bb.45:                               ;   in Loop: Header=BB2_3 Depth=1
	v_sub_co_u32 v8, vcc_lo, v8, v22
	s_wait_alu 0xfffd
	v_sub_co_ci_u32_e64 v9, null, v9, v23, vcc_lo
	s_mov_b32 s0, exec_lo
	v_cmpx_lt_i64_e64 s[4:5], v[8:9]
	s_cbranch_execz .LBB2_47
; %bb.46:                               ;   in Loop: Header=BB2_3 Depth=1
	s_lshl_b64 s[40:41], s[2:3], 1
	s_wait_alu 0xfffe
	v_add_co_u32 v8, vcc_lo, v6, s40
	s_wait_alu 0xfffd
	v_add_co_ci_u32_e64 v9, null, s41, v7, vcc_lo
	global_store_b8 v[8:9], v2, off
.LBB2_47:                               ;   in Loop: Header=BB2_3 Depth=1
	s_wait_alu 0xfffe
	s_or_b32 exec_lo, exec_lo, s0
	v_add_co_u32 v3, vcc_lo, v4, 3
	s_wait_alu 0xfffd
	v_add_co_ci_u32_e64 v4, null, 0, v5, vcc_lo
	s_delay_alu instid0(VALU_DEP_2) | instskip(SKIP_1) | instid1(VALU_DEP_2)
	v_sub_co_u32 v8, vcc_lo, v3, v22
	s_wait_alu 0xfffd
	v_sub_co_ci_u32_e64 v9, null, v4, v23, vcc_lo
	v_cmp_gt_i64_e32 vcc_lo, s[38:39], v[3:4]
	s_delay_alu instid0(VALU_DEP_2)
	v_cmp_lt_i64_e64 s0, s[4:5], v[8:9]
	s_and_b32 s0, vcc_lo, s0
	s_wait_alu 0xfffe
	s_and_b32 exec_lo, exec_lo, s0
	s_cbranch_execz .LBB2_2
; %bb.48:                               ;   in Loop: Header=BB2_3 Depth=1
	v_mad_co_u64_u32 v[3:4], null, s2, 3, v[6:7]
	s_delay_alu instid0(VALU_DEP_1)
	v_mad_co_u64_u32 v[4:5], null, s3, 3, v[4:5]
	global_store_b8 v[3:4], v2, off
	s_branch .LBB2_2
.LBB2_49:
	s_endpgm
	.section	.rodata,"a",@progbits
	.p2align	6, 0x0
	.amdhsa_kernel _ZN2at6native16triu_tril_kernelIhlLb0ELi4ELb1EEEvNS_4cuda6detail10TensorInfoIT_T0_EENS4_IKS5_S6_EEllS6_
		.amdhsa_group_segment_fixed_size 0
		.amdhsa_private_segment_fixed_size 0
		.amdhsa_kernarg_size 1112
		.amdhsa_user_sgpr_count 2
		.amdhsa_user_sgpr_dispatch_ptr 0
		.amdhsa_user_sgpr_queue_ptr 0
		.amdhsa_user_sgpr_kernarg_segment_ptr 1
		.amdhsa_user_sgpr_dispatch_id 0
		.amdhsa_user_sgpr_private_segment_size 0
		.amdhsa_wavefront_size32 1
		.amdhsa_uses_dynamic_stack 0
		.amdhsa_enable_private_segment 0
		.amdhsa_system_sgpr_workgroup_id_x 1
		.amdhsa_system_sgpr_workgroup_id_y 0
		.amdhsa_system_sgpr_workgroup_id_z 0
		.amdhsa_system_sgpr_workgroup_info 0
		.amdhsa_system_vgpr_workitem_id 0
		.amdhsa_next_free_vgpr 32
		.amdhsa_next_free_sgpr 75
		.amdhsa_reserve_vcc 1
		.amdhsa_float_round_mode_32 0
		.amdhsa_float_round_mode_16_64 0
		.amdhsa_float_denorm_mode_32 3
		.amdhsa_float_denorm_mode_16_64 3
		.amdhsa_fp16_overflow 0
		.amdhsa_workgroup_processor_mode 1
		.amdhsa_memory_ordered 1
		.amdhsa_forward_progress 1
		.amdhsa_inst_pref_size 68
		.amdhsa_round_robin_scheduling 0
		.amdhsa_exception_fp_ieee_invalid_op 0
		.amdhsa_exception_fp_denorm_src 0
		.amdhsa_exception_fp_ieee_div_zero 0
		.amdhsa_exception_fp_ieee_overflow 0
		.amdhsa_exception_fp_ieee_underflow 0
		.amdhsa_exception_fp_ieee_inexact 0
		.amdhsa_exception_int_div_zero 0
	.end_amdhsa_kernel
	.section	.text._ZN2at6native16triu_tril_kernelIhlLb0ELi4ELb1EEEvNS_4cuda6detail10TensorInfoIT_T0_EENS4_IKS5_S6_EEllS6_,"axG",@progbits,_ZN2at6native16triu_tril_kernelIhlLb0ELi4ELb1EEEvNS_4cuda6detail10TensorInfoIT_T0_EENS4_IKS5_S6_EEllS6_,comdat
.Lfunc_end2:
	.size	_ZN2at6native16triu_tril_kernelIhlLb0ELi4ELb1EEEvNS_4cuda6detail10TensorInfoIT_T0_EENS4_IKS5_S6_EEllS6_, .Lfunc_end2-_ZN2at6native16triu_tril_kernelIhlLb0ELi4ELb1EEEvNS_4cuda6detail10TensorInfoIT_T0_EENS4_IKS5_S6_EEllS6_
                                        ; -- End function
	.set _ZN2at6native16triu_tril_kernelIhlLb0ELi4ELb1EEEvNS_4cuda6detail10TensorInfoIT_T0_EENS4_IKS5_S6_EEllS6_.num_vgpr, 32
	.set _ZN2at6native16triu_tril_kernelIhlLb0ELi4ELb1EEEvNS_4cuda6detail10TensorInfoIT_T0_EENS4_IKS5_S6_EEllS6_.num_agpr, 0
	.set _ZN2at6native16triu_tril_kernelIhlLb0ELi4ELb1EEEvNS_4cuda6detail10TensorInfoIT_T0_EENS4_IKS5_S6_EEllS6_.numbered_sgpr, 75
	.set _ZN2at6native16triu_tril_kernelIhlLb0ELi4ELb1EEEvNS_4cuda6detail10TensorInfoIT_T0_EENS4_IKS5_S6_EEllS6_.num_named_barrier, 0
	.set _ZN2at6native16triu_tril_kernelIhlLb0ELi4ELb1EEEvNS_4cuda6detail10TensorInfoIT_T0_EENS4_IKS5_S6_EEllS6_.private_seg_size, 0
	.set _ZN2at6native16triu_tril_kernelIhlLb0ELi4ELb1EEEvNS_4cuda6detail10TensorInfoIT_T0_EENS4_IKS5_S6_EEllS6_.uses_vcc, 1
	.set _ZN2at6native16triu_tril_kernelIhlLb0ELi4ELb1EEEvNS_4cuda6detail10TensorInfoIT_T0_EENS4_IKS5_S6_EEllS6_.uses_flat_scratch, 0
	.set _ZN2at6native16triu_tril_kernelIhlLb0ELi4ELb1EEEvNS_4cuda6detail10TensorInfoIT_T0_EENS4_IKS5_S6_EEllS6_.has_dyn_sized_stack, 0
	.set _ZN2at6native16triu_tril_kernelIhlLb0ELi4ELb1EEEvNS_4cuda6detail10TensorInfoIT_T0_EENS4_IKS5_S6_EEllS6_.has_recursion, 0
	.set _ZN2at6native16triu_tril_kernelIhlLb0ELi4ELb1EEEvNS_4cuda6detail10TensorInfoIT_T0_EENS4_IKS5_S6_EEllS6_.has_indirect_call, 0
	.section	.AMDGPU.csdata,"",@progbits
; Kernel info:
; codeLenInByte = 8588
; TotalNumSgprs: 77
; NumVgprs: 32
; ScratchSize: 0
; MemoryBound: 0
; FloatMode: 240
; IeeeMode: 1
; LDSByteSize: 0 bytes/workgroup (compile time only)
; SGPRBlocks: 0
; VGPRBlocks: 3
; NumSGPRsForWavesPerEU: 77
; NumVGPRsForWavesPerEU: 32
; Occupancy: 16
; WaveLimiterHint : 0
; COMPUTE_PGM_RSRC2:SCRATCH_EN: 0
; COMPUTE_PGM_RSRC2:USER_SGPR: 2
; COMPUTE_PGM_RSRC2:TRAP_HANDLER: 0
; COMPUTE_PGM_RSRC2:TGID_X_EN: 1
; COMPUTE_PGM_RSRC2:TGID_Y_EN: 0
; COMPUTE_PGM_RSRC2:TGID_Z_EN: 0
; COMPUTE_PGM_RSRC2:TIDIG_COMP_CNT: 0
	.section	.text._ZN2at6native16triu_tril_kernelIhlLb0ELi4ELb0EEEvNS_4cuda6detail10TensorInfoIT_T0_EENS4_IKS5_S6_EEllS6_,"axG",@progbits,_ZN2at6native16triu_tril_kernelIhlLb0ELi4ELb0EEEvNS_4cuda6detail10TensorInfoIT_T0_EENS4_IKS5_S6_EEllS6_,comdat
	.protected	_ZN2at6native16triu_tril_kernelIhlLb0ELi4ELb0EEEvNS_4cuda6detail10TensorInfoIT_T0_EENS4_IKS5_S6_EEllS6_ ; -- Begin function _ZN2at6native16triu_tril_kernelIhlLb0ELi4ELb0EEEvNS_4cuda6detail10TensorInfoIT_T0_EENS4_IKS5_S6_EEllS6_
	.globl	_ZN2at6native16triu_tril_kernelIhlLb0ELi4ELb0EEEvNS_4cuda6detail10TensorInfoIT_T0_EENS4_IKS5_S6_EEllS6_
	.p2align	8
	.type	_ZN2at6native16triu_tril_kernelIhlLb0ELi4ELb0EEEvNS_4cuda6detail10TensorInfoIT_T0_EENS4_IKS5_S6_EEllS6_,@function
_ZN2at6native16triu_tril_kernelIhlLb0ELi4ELb0EEEvNS_4cuda6detail10TensorInfoIT_T0_EENS4_IKS5_S6_EEllS6_: ; @_ZN2at6native16triu_tril_kernelIhlLb0ELi4ELb0EEEvNS_4cuda6detail10TensorInfoIT_T0_EENS4_IKS5_S6_EEllS6_
; %bb.0:
	s_clause 0x1
	s_load_b32 s2, s[0:1], 0x364
	s_load_b128 s[4:7], s[0:1], 0x340
	v_mov_b32_e32 v2, 0
	s_delay_alu instid0(VALU_DEP_1) | instskip(SKIP_3) | instid1(VALU_DEP_1)
	v_mov_b32_e32 v1, v2
	s_wait_kmcnt 0x0
	s_and_b32 s16, s2, 0xffff
	s_mov_b32 s2, exec_lo
	v_mad_co_u64_u32 v[0:1], null, s16, ttmp9, v[0:1]
	s_delay_alu instid0(VALU_DEP_1) | instskip(NEXT) | instid1(VALU_DEP_1)
	v_lshlrev_b64_e32 v[0:1], 2, v[0:1]
	v_cmpx_gt_i64_e64 s[6:7], v[0:1]
	s_cbranch_execz .LBB3_44
; %bb.1:
	s_clause 0x1
	s_load_b32 s42, s[0:1], 0x338
	s_load_b64 s[2:3], s[0:1], 0x1a0
	s_add_nc_u64 s[20:21], s[0:1], 0x1a0
	s_load_b64 s[22:23], s[0:1], 0x350
	s_add_nc_u64 s[14:15], s[0:1], 0x358
	s_mov_b32 s27, 0
	s_mov_b32 s28, s4
	;; [unrolled: 1-line block ×6, first 2 shown]
	s_wait_kmcnt 0x0
	s_ashr_i32 s43, s42, 31
	s_add_co_i32 s34, s42, -3
	s_lshl_b64 s[18:19], s[42:43], 3
	s_ashr_i32 s35, s34, 31
	s_add_nc_u64 s[12:13], s[20:21], s[18:19]
	v_cmp_gt_i64_e64 s66, s[42:43], 2
	s_add_nc_u64 s[8:9], s[12:13], -8
	s_add_nc_u64 s[36:37], s[34:35], -1
	s_load_b128 s[8:11], s[8:9], 0x0
	s_load_b32 s17, s[14:15], 0x0
	s_clause 0x1
	s_load_b64 s[24:25], s[0:1], 0x0
	s_load_b128 s[12:15], s[12:13], 0xc0
	v_cvt_f32_u32_e32 v3, s22
	s_add_nc_u64 s[42:43], s[0:1], 0xc8
	s_delay_alu instid0(VALU_DEP_1)
	v_rcp_iflag_f32_e32 v3, v3
	s_wait_kmcnt 0x0
	v_cvt_f32_u32_e32 v4, s8
	s_mul_i32 s26, s17, s16
	s_add_nc_u64 s[16:17], s[0:1], s[18:19]
	s_lshl_b32 s33, s26, 2
	s_load_b128 s[16:19], s[16:17], 0xc0
	v_rcp_iflag_f32_e32 v4, v4
	s_delay_alu instid0(TRANS32_DEP_2)
	v_mul_f32_e32 v3, 0x4f7ffffe, v3
	s_bitcmp0_b32 s34, 0
	s_cselect_b32 s64, -1, 0
	s_lshl_b64 s[40:41], s[34:35], 3
	s_cmp_lg_u32 s34, 0
	s_add_nc_u64 s[38:39], s[20:21], s[40:41]
	s_add_nc_u64 s[40:41], s[0:1], s[40:41]
	s_cselect_b32 s65, -1, 0
	s_delay_alu instid0(TRANS32_DEP_1) | instskip(SKIP_2) | instid1(VALU_DEP_2)
	v_mul_f32_e32 v4, 0x4f7ffffe, v4
	v_cvt_u32_f32_e32 v16, v3
	s_ashr_i32 s44, s23, 31
	v_cvt_u32_f32_e32 v17, v4
	s_branch .LBB3_3
.LBB3_2:                                ;   in Loop: Header=BB3_3 Depth=1
	s_wait_alu 0xfffe
	s_or_b32 exec_lo, exec_lo, s0
	v_add_co_u32 v0, vcc_lo, v0, s33
	s_wait_alu 0xfffd
	v_add_co_ci_u32_e64 v1, null, 0, v1, vcc_lo
	s_delay_alu instid0(VALU_DEP_1) | instskip(SKIP_1) | instid1(SALU_CYCLE_1)
	v_cmp_le_i64_e32 vcc_lo, s[6:7], v[0:1]
	s_or_b32 s67, vcc_lo, s67
	s_and_not1_b32 exec_lo, exec_lo, s67
	s_cbranch_execz .LBB3_44
.LBB3_3:                                ; =>This Loop Header: Depth=1
                                        ;     Child Loop BB3_21 Depth 2
	v_or_b32_e32 v3, s23, v1
                                        ; implicit-def: $vgpr6_vgpr7
	s_mov_b32 s0, exec_lo
	s_delay_alu instid0(VALU_DEP_1)
	v_cmpx_ne_u64_e32 0, v[2:3]
	s_wait_alu 0xfffe
	s_xor_b32 s1, exec_lo, s0
	s_cbranch_execz .LBB3_5
; %bb.4:                                ;   in Loop: Header=BB3_3 Depth=1
	s_mov_b32 s45, s44
	v_ashrrev_i32_e32 v9, 31, v1
	s_wait_alu 0xfffe
	s_add_nc_u64 s[46:47], s[22:23], s[44:45]
	s_wait_alu 0xfffe
	s_xor_b64 s[46:47], s[46:47], s[44:45]
	v_add_co_u32 v3, vcc_lo, v0, v9
	s_wait_alu 0xfffe
	s_cvt_f32_u32 s0, s46
	s_cvt_f32_u32 s26, s47
	s_sub_nc_u64 s[50:51], 0, s[46:47]
	s_wait_alu 0xfffd
	v_add_co_ci_u32_e64 v4, null, v1, v9, vcc_lo
	s_wait_alu 0xfffe
	s_fmamk_f32 s0, s26, 0x4f800000, s0
	v_xor_b32_e32 v10, v3, v9
	s_delay_alu instid0(VALU_DEP_2) | instskip(SKIP_2) | instid1(TRANS32_DEP_1)
	v_xor_b32_e32 v11, v4, v9
	s_wait_alu 0xfffe
	v_s_rcp_f32 s0, s0
	s_mul_f32 s0, s0, 0x5f7ffffc
	s_wait_alu 0xfffe
	s_delay_alu instid0(SALU_CYCLE_2) | instskip(SKIP_1) | instid1(SALU_CYCLE_2)
	s_mul_f32 s26, s0, 0x2f800000
	s_wait_alu 0xfffe
	s_trunc_f32 s26, s26
	s_wait_alu 0xfffe
	s_delay_alu instid0(SALU_CYCLE_2) | instskip(SKIP_2) | instid1(SALU_CYCLE_1)
	s_fmamk_f32 s0, s26, 0xcf800000, s0
	s_cvt_u32_f32 s49, s26
	s_wait_alu 0xfffe
	s_cvt_u32_f32 s48, s0
	s_wait_alu 0xfffe
	s_delay_alu instid0(SALU_CYCLE_2)
	s_mul_u64 s[52:53], s[50:51], s[48:49]
	s_wait_alu 0xfffe
	s_mul_hi_u32 s55, s48, s53
	s_mul_i32 s54, s48, s53
	s_mul_hi_u32 s26, s48, s52
	s_mul_i32 s45, s49, s52
	s_wait_alu 0xfffe
	s_add_nc_u64 s[54:55], s[26:27], s[54:55]
	s_mul_hi_u32 s0, s49, s52
	s_mul_hi_u32 s56, s49, s53
	s_wait_alu 0xfffe
	s_add_co_u32 s26, s54, s45
	s_add_co_ci_u32 s26, s55, s0
	s_mul_i32 s52, s49, s53
	s_add_co_ci_u32 s53, s56, 0
	s_wait_alu 0xfffe
	s_add_nc_u64 s[52:53], s[26:27], s[52:53]
	s_wait_alu 0xfffe
	s_add_co_u32 s48, s48, s52
	s_cselect_b32 s0, -1, 0
	s_wait_alu 0xfffe
	s_cmp_lg_u32 s0, 0
	s_add_co_ci_u32 s49, s49, s53
	s_wait_alu 0xfffe
	s_mul_u64 s[50:51], s[50:51], s[48:49]
	s_wait_alu 0xfffe
	s_mul_hi_u32 s53, s48, s51
	s_mul_i32 s52, s48, s51
	s_mul_hi_u32 s26, s48, s50
	s_mul_i32 s45, s49, s50
	s_wait_alu 0xfffe
	s_add_nc_u64 s[52:53], s[26:27], s[52:53]
	s_mul_hi_u32 s0, s49, s50
	s_mul_hi_u32 s54, s49, s51
	s_wait_alu 0xfffe
	s_add_co_u32 s26, s52, s45
	s_add_co_ci_u32 s26, s53, s0
	s_mul_i32 s50, s49, s51
	s_add_co_ci_u32 s51, s54, 0
	s_wait_alu 0xfffe
	s_add_nc_u64 s[50:51], s[26:27], s[50:51]
	s_wait_alu 0xfffe
	s_add_co_u32 s0, s48, s50
	s_cselect_b32 s26, -1, 0
	s_wait_alu 0xfffe
	v_mul_hi_u32 v12, v10, s0
	s_cmp_lg_u32 s26, 0
	v_mad_co_u64_u32 v[5:6], null, v11, s0, 0
	s_add_co_ci_u32 s26, s49, s51
	s_wait_alu 0xfffe
	v_mad_co_u64_u32 v[3:4], null, v10, s26, 0
	v_mad_co_u64_u32 v[7:8], null, v11, s26, 0
	s_delay_alu instid0(VALU_DEP_2) | instskip(SKIP_1) | instid1(VALU_DEP_3)
	v_add_co_u32 v3, vcc_lo, v12, v3
	s_wait_alu 0xfffd
	v_add_co_ci_u32_e64 v4, null, 0, v4, vcc_lo
	s_delay_alu instid0(VALU_DEP_2) | instskip(SKIP_1) | instid1(VALU_DEP_2)
	v_add_co_u32 v3, vcc_lo, v3, v5
	s_wait_alu 0xfffd
	v_add_co_ci_u32_e32 v3, vcc_lo, v4, v6, vcc_lo
	s_wait_alu 0xfffd
	v_add_co_ci_u32_e32 v4, vcc_lo, 0, v8, vcc_lo
	s_delay_alu instid0(VALU_DEP_2) | instskip(SKIP_1) | instid1(VALU_DEP_2)
	v_add_co_u32 v5, vcc_lo, v3, v7
	s_wait_alu 0xfffd
	v_add_co_ci_u32_e64 v6, null, 0, v4, vcc_lo
	s_delay_alu instid0(VALU_DEP_2) | instskip(SKIP_1) | instid1(VALU_DEP_3)
	v_mul_lo_u32 v7, s47, v5
	v_mad_co_u64_u32 v[3:4], null, s46, v5, 0
	v_mul_lo_u32 v8, s46, v6
	s_delay_alu instid0(VALU_DEP_2) | instskip(NEXT) | instid1(VALU_DEP_2)
	v_sub_co_u32 v3, vcc_lo, v10, v3
	v_add3_u32 v4, v4, v8, v7
	v_add_co_u32 v8, s0, v5, 2
	s_wait_alu 0xf1ff
	v_add_co_ci_u32_e64 v10, null, 0, v6, s0
	s_delay_alu instid0(VALU_DEP_3) | instskip(SKIP_3) | instid1(VALU_DEP_3)
	v_sub_nc_u32_e32 v7, v11, v4
	v_sub_co_u32 v12, s0, v3, s46
	s_wait_alu 0xfffd
	v_sub_co_ci_u32_e64 v4, null, v11, v4, vcc_lo
	v_subrev_co_ci_u32_e64 v7, null, s47, v7, vcc_lo
	s_delay_alu instid0(VALU_DEP_3) | instskip(SKIP_1) | instid1(VALU_DEP_2)
	v_cmp_le_u32_e32 vcc_lo, s46, v12
	s_wait_alu 0xf1ff
	v_subrev_co_ci_u32_e64 v7, null, 0, v7, s0
	s_wait_alu 0xfffd
	v_cndmask_b32_e64 v11, 0, -1, vcc_lo
	s_delay_alu instid0(VALU_DEP_2)
	v_cmp_le_u32_e32 vcc_lo, s47, v7
	s_wait_alu 0xfffd
	v_cndmask_b32_e64 v12, 0, -1, vcc_lo
	v_cmp_le_u32_e32 vcc_lo, s46, v3
	s_wait_alu 0xfffd
	v_cndmask_b32_e64 v3, 0, -1, vcc_lo
	v_cmp_le_u32_e32 vcc_lo, s47, v4
	s_wait_alu 0xfffd
	v_cndmask_b32_e64 v13, 0, -1, vcc_lo
	v_cmp_eq_u32_e32 vcc_lo, s47, v7
	s_wait_alu 0xfffd
	v_cndmask_b32_e32 v7, v12, v11, vcc_lo
	v_add_co_u32 v11, vcc_lo, v5, 1
	s_wait_alu 0xfffd
	v_add_co_ci_u32_e64 v12, null, 0, v6, vcc_lo
	v_cmp_eq_u32_e32 vcc_lo, s47, v4
	s_wait_alu 0xfffd
	v_cndmask_b32_e32 v3, v13, v3, vcc_lo
	v_cmp_ne_u32_e32 vcc_lo, 0, v7
	v_xor_b32_e32 v7, s44, v9
	s_wait_alu 0xfffd
	v_cndmask_b32_e32 v4, v12, v10, vcc_lo
	v_cmp_ne_u32_e64 s0, 0, v3
	v_cndmask_b32_e32 v3, v11, v8, vcc_lo
	s_wait_alu 0xf1ff
	s_delay_alu instid0(VALU_DEP_2) | instskip(NEXT) | instid1(VALU_DEP_2)
	v_cndmask_b32_e64 v4, v6, v4, s0
	v_cndmask_b32_e64 v3, v5, v3, s0
	s_delay_alu instid0(VALU_DEP_2) | instskip(NEXT) | instid1(VALU_DEP_2)
	v_xor_b32_e32 v4, v4, v7
	v_xor_b32_e32 v3, v3, v7
	s_delay_alu instid0(VALU_DEP_1) | instskip(SKIP_1) | instid1(VALU_DEP_3)
	v_sub_co_u32 v6, vcc_lo, v3, v7
	s_wait_alu 0xfffd
	v_sub_co_ci_u32_e64 v7, null, v4, v7, vcc_lo
.LBB3_5:                                ;   in Loop: Header=BB3_3 Depth=1
	s_wait_alu 0xfffe
	s_and_not1_saveexec_b32 s0, s1
	s_cbranch_execz .LBB3_7
; %bb.6:                                ;   in Loop: Header=BB3_3 Depth=1
	s_sub_co_i32 s1, 0, s22
	v_mov_b32_e32 v7, v2
	s_wait_alu 0xfffe
	v_mul_lo_u32 v3, s1, v16
	s_delay_alu instid0(VALU_DEP_1) | instskip(NEXT) | instid1(VALU_DEP_1)
	v_mul_hi_u32 v3, v16, v3
	v_add_nc_u32_e32 v3, v16, v3
	s_delay_alu instid0(VALU_DEP_1) | instskip(NEXT) | instid1(VALU_DEP_1)
	v_mul_hi_u32 v3, v0, v3
	v_mul_lo_u32 v4, v3, s22
	s_delay_alu instid0(VALU_DEP_1) | instskip(NEXT) | instid1(VALU_DEP_1)
	v_sub_nc_u32_e32 v4, v0, v4
	v_subrev_nc_u32_e32 v6, s22, v4
	v_cmp_le_u32_e32 vcc_lo, s22, v4
	s_wait_alu 0xfffd
	s_delay_alu instid0(VALU_DEP_2) | instskip(NEXT) | instid1(VALU_DEP_1)
	v_dual_cndmask_b32 v4, v4, v6 :: v_dual_add_nc_u32 v5, 1, v3
	v_cndmask_b32_e32 v3, v3, v5, vcc_lo
	s_delay_alu instid0(VALU_DEP_2) | instskip(NEXT) | instid1(VALU_DEP_2)
	v_cmp_le_u32_e32 vcc_lo, s22, v4
	v_add_nc_u32_e32 v5, 1, v3
	s_wait_alu 0xfffd
	s_delay_alu instid0(VALU_DEP_1)
	v_cndmask_b32_e32 v6, v3, v5, vcc_lo
.LBB3_7:                                ;   in Loop: Header=BB3_3 Depth=1
	s_wait_alu 0xfffe
	s_or_b32 exec_lo, exec_lo, s0
	v_or_b32_e32 v3, s9, v7
                                        ; implicit-def: $vgpr10_vgpr11
	s_mov_b32 s0, exec_lo
	s_delay_alu instid0(VALU_DEP_1)
	v_cmpx_ne_u64_e32 0, v[2:3]
	s_wait_alu 0xfffe
	s_xor_b32 s1, exec_lo, s0
	s_cbranch_execz .LBB3_9
; %bb.8:                                ;   in Loop: Header=BB3_3 Depth=1
	s_ashr_i32 s46, s9, 31
	v_ashrrev_i32_e32 v5, 31, v7
	s_wait_alu 0xfffe
	s_mov_b32 s47, s46
	s_wait_alu 0xfffe
	s_add_nc_u64 s[48:49], s[8:9], s[46:47]
	v_add_co_u32 v3, vcc_lo, v6, v5
	s_wait_alu 0xfffe
	s_xor_b64 s[48:49], s[48:49], s[46:47]
	s_wait_alu 0xfffd
	v_add_co_ci_u32_e64 v4, null, v7, v5, vcc_lo
	s_wait_alu 0xfffe
	s_cvt_f32_u32 s0, s48
	s_cvt_f32_u32 s26, s49
	s_sub_nc_u64 s[52:53], 0, s[48:49]
	v_xor_b32_e32 v12, v3, v5
	v_xor_b32_e32 v13, v4, v5
	s_wait_alu 0xfffe
	s_fmamk_f32 s0, s26, 0x4f800000, s0
	v_xor_b32_e32 v5, s46, v5
	s_wait_alu 0xfffe
	s_delay_alu instid0(SALU_CYCLE_1) | instskip(NEXT) | instid1(TRANS32_DEP_1)
	v_s_rcp_f32 s0, s0
	s_mul_f32 s0, s0, 0x5f7ffffc
	s_wait_alu 0xfffe
	s_delay_alu instid0(SALU_CYCLE_2) | instskip(SKIP_1) | instid1(SALU_CYCLE_2)
	s_mul_f32 s26, s0, 0x2f800000
	s_wait_alu 0xfffe
	s_trunc_f32 s26, s26
	s_wait_alu 0xfffe
	s_delay_alu instid0(SALU_CYCLE_2) | instskip(SKIP_2) | instid1(SALU_CYCLE_1)
	s_fmamk_f32 s0, s26, 0xcf800000, s0
	s_cvt_u32_f32 s51, s26
	s_wait_alu 0xfffe
	s_cvt_u32_f32 s50, s0
	s_wait_alu 0xfffe
	s_delay_alu instid0(SALU_CYCLE_2)
	s_mul_u64 s[54:55], s[52:53], s[50:51]
	s_wait_alu 0xfffe
	s_mul_hi_u32 s57, s50, s55
	s_mul_i32 s56, s50, s55
	s_mul_hi_u32 s26, s50, s54
	s_mul_i32 s45, s51, s54
	s_wait_alu 0xfffe
	s_add_nc_u64 s[56:57], s[26:27], s[56:57]
	s_mul_hi_u32 s0, s51, s54
	s_mul_hi_u32 s47, s51, s55
	s_wait_alu 0xfffe
	s_add_co_u32 s26, s56, s45
	s_add_co_ci_u32 s26, s57, s0
	s_mul_i32 s54, s51, s55
	s_add_co_ci_u32 s55, s47, 0
	s_wait_alu 0xfffe
	s_add_nc_u64 s[54:55], s[26:27], s[54:55]
	s_wait_alu 0xfffe
	s_add_co_u32 s50, s50, s54
	s_cselect_b32 s0, -1, 0
	s_wait_alu 0xfffe
	s_cmp_lg_u32 s0, 0
	s_add_co_ci_u32 s51, s51, s55
	s_wait_alu 0xfffe
	s_mul_u64 s[52:53], s[52:53], s[50:51]
	s_wait_alu 0xfffe
	s_mul_hi_u32 s55, s50, s53
	s_mul_i32 s54, s50, s53
	s_mul_hi_u32 s26, s50, s52
	s_mul_i32 s45, s51, s52
	s_wait_alu 0xfffe
	s_add_nc_u64 s[54:55], s[26:27], s[54:55]
	s_mul_hi_u32 s0, s51, s52
	s_mul_hi_u32 s47, s51, s53
	s_wait_alu 0xfffe
	s_add_co_u32 s26, s54, s45
	s_add_co_ci_u32 s26, s55, s0
	s_mul_i32 s52, s51, s53
	s_add_co_ci_u32 s53, s47, 0
	s_wait_alu 0xfffe
	s_add_nc_u64 s[52:53], s[26:27], s[52:53]
	s_wait_alu 0xfffe
	s_add_co_u32 s0, s50, s52
	s_cselect_b32 s26, -1, 0
	s_wait_alu 0xfffe
	v_mul_hi_u32 v14, v12, s0
	s_cmp_lg_u32 s26, 0
	v_mad_co_u64_u32 v[8:9], null, v13, s0, 0
	s_add_co_ci_u32 s26, s51, s53
	s_wait_alu 0xfffe
	v_mad_co_u64_u32 v[3:4], null, v12, s26, 0
	v_mad_co_u64_u32 v[10:11], null, v13, s26, 0
	s_delay_alu instid0(VALU_DEP_2) | instskip(SKIP_1) | instid1(VALU_DEP_3)
	v_add_co_u32 v3, vcc_lo, v14, v3
	s_wait_alu 0xfffd
	v_add_co_ci_u32_e64 v4, null, 0, v4, vcc_lo
	s_delay_alu instid0(VALU_DEP_2) | instskip(SKIP_1) | instid1(VALU_DEP_2)
	v_add_co_u32 v3, vcc_lo, v3, v8
	s_wait_alu 0xfffd
	v_add_co_ci_u32_e32 v3, vcc_lo, v4, v9, vcc_lo
	s_wait_alu 0xfffd
	v_add_co_ci_u32_e32 v4, vcc_lo, 0, v11, vcc_lo
	s_delay_alu instid0(VALU_DEP_2) | instskip(SKIP_1) | instid1(VALU_DEP_2)
	v_add_co_u32 v8, vcc_lo, v3, v10
	s_wait_alu 0xfffd
	v_add_co_ci_u32_e64 v9, null, 0, v4, vcc_lo
	s_delay_alu instid0(VALU_DEP_2) | instskip(SKIP_1) | instid1(VALU_DEP_3)
	v_mul_lo_u32 v10, s49, v8
	v_mad_co_u64_u32 v[3:4], null, s48, v8, 0
	v_mul_lo_u32 v11, s48, v9
	s_delay_alu instid0(VALU_DEP_2) | instskip(NEXT) | instid1(VALU_DEP_2)
	v_sub_co_u32 v3, vcc_lo, v12, v3
	v_add3_u32 v4, v4, v11, v10
	v_add_co_u32 v11, s0, v8, 2
	s_wait_alu 0xf1ff
	v_add_co_ci_u32_e64 v12, null, 0, v9, s0
	s_delay_alu instid0(VALU_DEP_3) | instskip(SKIP_3) | instid1(VALU_DEP_3)
	v_sub_nc_u32_e32 v10, v13, v4
	v_sub_co_u32 v14, s0, v3, s48
	s_wait_alu 0xfffd
	v_sub_co_ci_u32_e64 v4, null, v13, v4, vcc_lo
	v_subrev_co_ci_u32_e64 v10, null, s49, v10, vcc_lo
	s_delay_alu instid0(VALU_DEP_3) | instskip(SKIP_1) | instid1(VALU_DEP_2)
	v_cmp_le_u32_e32 vcc_lo, s48, v14
	s_wait_alu 0xf1ff
	v_subrev_co_ci_u32_e64 v10, null, 0, v10, s0
	s_wait_alu 0xfffd
	v_cndmask_b32_e64 v13, 0, -1, vcc_lo
	s_delay_alu instid0(VALU_DEP_2)
	v_cmp_le_u32_e32 vcc_lo, s49, v10
	s_wait_alu 0xfffd
	v_cndmask_b32_e64 v14, 0, -1, vcc_lo
	v_cmp_le_u32_e32 vcc_lo, s48, v3
	s_wait_alu 0xfffd
	v_cndmask_b32_e64 v3, 0, -1, vcc_lo
	;; [unrolled: 3-line block ×3, first 2 shown]
	v_cmp_eq_u32_e32 vcc_lo, s49, v10
	s_wait_alu 0xfffd
	v_cndmask_b32_e32 v10, v14, v13, vcc_lo
	v_add_co_u32 v13, vcc_lo, v8, 1
	s_wait_alu 0xfffd
	v_add_co_ci_u32_e64 v14, null, 0, v9, vcc_lo
	v_cmp_eq_u32_e32 vcc_lo, s49, v4
	s_wait_alu 0xfffd
	v_cndmask_b32_e32 v3, v15, v3, vcc_lo
	v_cmp_ne_u32_e32 vcc_lo, 0, v10
	s_delay_alu instid0(VALU_DEP_2) | instskip(SKIP_3) | instid1(VALU_DEP_1)
	v_cmp_ne_u32_e64 s0, 0, v3
	s_wait_alu 0xfffd
	v_dual_cndmask_b32 v4, v14, v12 :: v_dual_cndmask_b32 v3, v13, v11
	s_wait_alu 0xf1ff
	v_cndmask_b32_e64 v4, v9, v4, s0
	s_delay_alu instid0(VALU_DEP_2) | instskip(NEXT) | instid1(VALU_DEP_2)
	v_cndmask_b32_e64 v3, v8, v3, s0
	v_xor_b32_e32 v4, v4, v5
	s_delay_alu instid0(VALU_DEP_2) | instskip(NEXT) | instid1(VALU_DEP_1)
	v_xor_b32_e32 v3, v3, v5
	v_sub_co_u32 v10, vcc_lo, v3, v5
	s_wait_alu 0xfffd
	s_delay_alu instid0(VALU_DEP_3)
	v_sub_co_ci_u32_e64 v11, null, v4, v5, vcc_lo
.LBB3_9:                                ;   in Loop: Header=BB3_3 Depth=1
	s_wait_alu 0xfffe
	s_and_not1_saveexec_b32 s0, s1
	s_cbranch_execz .LBB3_11
; %bb.10:                               ;   in Loop: Header=BB3_3 Depth=1
	s_sub_co_i32 s1, 0, s8
	v_mov_b32_e32 v11, v2
	s_wait_alu 0xfffe
	v_mul_lo_u32 v3, s1, v17
	s_delay_alu instid0(VALU_DEP_1) | instskip(NEXT) | instid1(VALU_DEP_1)
	v_mul_hi_u32 v3, v17, v3
	v_add_nc_u32_e32 v3, v17, v3
	s_delay_alu instid0(VALU_DEP_1) | instskip(NEXT) | instid1(VALU_DEP_1)
	v_mul_hi_u32 v3, v6, v3
	v_mul_lo_u32 v4, v3, s8
	v_add_nc_u32_e32 v5, 1, v3
	s_delay_alu instid0(VALU_DEP_2) | instskip(NEXT) | instid1(VALU_DEP_1)
	v_sub_nc_u32_e32 v4, v6, v4
	v_subrev_nc_u32_e32 v8, s8, v4
	v_cmp_le_u32_e32 vcc_lo, s8, v4
	s_wait_alu 0xfffd
	s_delay_alu instid0(VALU_DEP_2) | instskip(NEXT) | instid1(VALU_DEP_1)
	v_dual_cndmask_b32 v4, v4, v8 :: v_dual_cndmask_b32 v3, v3, v5
	v_cmp_le_u32_e32 vcc_lo, s8, v4
	s_delay_alu instid0(VALU_DEP_2) | instskip(SKIP_1) | instid1(VALU_DEP_1)
	v_add_nc_u32_e32 v5, 1, v3
	s_wait_alu 0xfffd
	v_cndmask_b32_e32 v10, v3, v5, vcc_lo
.LBB3_11:                               ;   in Loop: Header=BB3_3 Depth=1
	s_wait_alu 0xfffe
	s_or_b32 exec_lo, exec_lo, s0
	v_mul_lo_u32 v5, v7, s22
	v_mul_lo_u32 v12, v6, s23
	v_mad_co_u64_u32 v[3:4], null, v6, s22, 0
	v_mul_lo_u32 v13, v11, s8
	v_mul_lo_u32 v14, v10, s9
	v_mad_co_u64_u32 v[8:9], null, v10, s8, 0
	s_delay_alu instid0(VALU_DEP_4) | instskip(SKIP_1) | instid1(VALU_DEP_3)
	v_add3_u32 v5, v4, v12, v5
	v_sub_co_u32 v4, vcc_lo, v0, v3
	v_add3_u32 v3, v9, v14, v13
	s_wait_alu 0xfffd
	s_delay_alu instid0(VALU_DEP_3) | instskip(NEXT) | instid1(VALU_DEP_3)
	v_sub_co_ci_u32_e64 v5, null, v1, v5, vcc_lo
	v_mul_lo_u32 v9, s15, v4
	v_mad_co_u64_u32 v[12:13], null, s14, v4, 0
	s_wait_kmcnt 0x0
	v_mul_lo_u32 v20, s19, v4
	v_mul_lo_u32 v21, s14, v5
	v_mul_lo_u32 v22, s18, v5
	v_mad_co_u64_u32 v[14:15], null, s18, v4, 0
	v_sub_co_u32 v18, vcc_lo, v6, v8
	s_wait_alu 0xfffd
	v_sub_co_ci_u32_e64 v19, null, v7, v3, vcc_lo
	v_add3_u32 v13, v13, v21, v9
	s_delay_alu instid0(VALU_DEP_3) | instskip(SKIP_1) | instid1(VALU_DEP_4)
	v_mul_lo_u32 v3, s13, v18
	v_add3_u32 v15, v15, v22, v20
	v_mul_lo_u32 v21, s12, v19
	s_and_not1_b32 vcc_lo, exec_lo, s66
	v_mad_co_u64_u32 v[8:9], null, s12, v18, v[12:13]
	v_mul_lo_u32 v12, s16, v19
	v_mul_lo_u32 v13, s17, v18
	v_mad_co_u64_u32 v[6:7], null, s16, v18, v[14:15]
	s_delay_alu instid0(VALU_DEP_4) | instskip(NEXT) | instid1(VALU_DEP_2)
	v_add3_u32 v9, v3, v9, v21
	v_add3_u32 v7, v13, v7, v12
	s_wait_alu 0xfffe
	s_cbranch_vccnz .LBB3_29
; %bb.12:                               ;   in Loop: Header=BB3_3 Depth=1
	s_and_not1_b32 vcc_lo, exec_lo, s64
	s_wait_alu 0xfffe
	s_cbranch_vccnz .LBB3_18
; %bb.13:                               ;   in Loop: Header=BB3_3 Depth=1
	s_load_b64 s[46:47], s[38:39], 0x8
                                        ; implicit-def: $vgpr12_vgpr13
	s_mov_b32 s0, exec_lo
	s_wait_kmcnt 0x0
	v_or_b32_e32 v3, s47, v11
	s_delay_alu instid0(VALU_DEP_1)
	v_cmpx_ne_u64_e32 0, v[2:3]
	s_wait_alu 0xfffe
	s_xor_b32 s1, exec_lo, s0
	s_cbranch_execz .LBB3_15
; %bb.14:                               ;   in Loop: Header=BB3_3 Depth=1
	s_ashr_i32 s48, s47, 31
	v_ashrrev_i32_e32 v3, 31, v11
	s_wait_alu 0xfffe
	s_mov_b32 s49, s48
	s_wait_alu 0xfffe
	s_add_nc_u64 s[50:51], s[46:47], s[48:49]
	v_add_co_u32 v12, vcc_lo, v10, v3
	s_wait_alu 0xfffe
	s_xor_b64 s[50:51], s[50:51], s[48:49]
	s_wait_alu 0xfffd
	v_add_co_ci_u32_e64 v13, null, v11, v3, vcc_lo
	s_wait_alu 0xfffe
	s_cvt_f32_u32 s0, s50
	s_cvt_f32_u32 s26, s51
	s_sub_nc_u64 s[54:55], 0, s[50:51]
	v_xor_b32_e32 v22, v12, v3
	v_xor_b32_e32 v23, v13, v3
	s_wait_alu 0xfffe
	s_fmamk_f32 s0, s26, 0x4f800000, s0
	v_xor_b32_e32 v3, s48, v3
	s_wait_alu 0xfffe
	s_delay_alu instid0(SALU_CYCLE_1) | instskip(NEXT) | instid1(TRANS32_DEP_1)
	v_s_rcp_f32 s0, s0
	s_mul_f32 s0, s0, 0x5f7ffffc
	s_wait_alu 0xfffe
	s_delay_alu instid0(SALU_CYCLE_2) | instskip(SKIP_1) | instid1(SALU_CYCLE_2)
	s_mul_f32 s26, s0, 0x2f800000
	s_wait_alu 0xfffe
	s_trunc_f32 s26, s26
	s_wait_alu 0xfffe
	s_delay_alu instid0(SALU_CYCLE_2) | instskip(SKIP_2) | instid1(SALU_CYCLE_1)
	s_fmamk_f32 s0, s26, 0xcf800000, s0
	s_cvt_u32_f32 s53, s26
	s_wait_alu 0xfffe
	s_cvt_u32_f32 s52, s0
	s_wait_alu 0xfffe
	s_delay_alu instid0(SALU_CYCLE_2)
	s_mul_u64 s[56:57], s[54:55], s[52:53]
	s_wait_alu 0xfffe
	s_mul_hi_u32 s59, s52, s57
	s_mul_i32 s58, s52, s57
	s_mul_hi_u32 s26, s52, s56
	s_mul_i32 s45, s53, s56
	s_wait_alu 0xfffe
	s_add_nc_u64 s[58:59], s[26:27], s[58:59]
	s_mul_hi_u32 s0, s53, s56
	s_mul_hi_u32 s49, s53, s57
	s_wait_alu 0xfffe
	s_add_co_u32 s26, s58, s45
	s_add_co_ci_u32 s26, s59, s0
	s_mul_i32 s56, s53, s57
	s_add_co_ci_u32 s57, s49, 0
	s_wait_alu 0xfffe
	s_add_nc_u64 s[56:57], s[26:27], s[56:57]
	s_wait_alu 0xfffe
	s_add_co_u32 s52, s52, s56
	s_cselect_b32 s0, -1, 0
	s_wait_alu 0xfffe
	s_cmp_lg_u32 s0, 0
	s_add_co_ci_u32 s53, s53, s57
	s_wait_alu 0xfffe
	s_mul_u64 s[54:55], s[54:55], s[52:53]
	s_wait_alu 0xfffe
	s_mul_hi_u32 s57, s52, s55
	s_mul_i32 s56, s52, s55
	s_mul_hi_u32 s26, s52, s54
	s_mul_i32 s45, s53, s54
	s_wait_alu 0xfffe
	s_add_nc_u64 s[56:57], s[26:27], s[56:57]
	s_mul_hi_u32 s0, s53, s54
	s_mul_hi_u32 s49, s53, s55
	s_wait_alu 0xfffe
	s_add_co_u32 s26, s56, s45
	s_add_co_ci_u32 s26, s57, s0
	s_mul_i32 s54, s53, s55
	s_add_co_ci_u32 s55, s49, 0
	s_wait_alu 0xfffe
	s_add_nc_u64 s[54:55], s[26:27], s[54:55]
	s_wait_alu 0xfffe
	s_add_co_u32 s0, s52, s54
	s_cselect_b32 s26, -1, 0
	s_wait_alu 0xfffe
	v_mul_hi_u32 v24, v22, s0
	s_cmp_lg_u32 s26, 0
	v_mad_co_u64_u32 v[14:15], null, v23, s0, 0
	s_add_co_ci_u32 s26, s53, s55
	s_wait_alu 0xfffe
	v_mad_co_u64_u32 v[12:13], null, v22, s26, 0
	v_mad_co_u64_u32 v[20:21], null, v23, s26, 0
	s_delay_alu instid0(VALU_DEP_2) | instskip(SKIP_1) | instid1(VALU_DEP_3)
	v_add_co_u32 v12, vcc_lo, v24, v12
	s_wait_alu 0xfffd
	v_add_co_ci_u32_e64 v13, null, 0, v13, vcc_lo
	s_delay_alu instid0(VALU_DEP_2) | instskip(SKIP_1) | instid1(VALU_DEP_2)
	v_add_co_u32 v12, vcc_lo, v12, v14
	s_wait_alu 0xfffd
	v_add_co_ci_u32_e32 v12, vcc_lo, v13, v15, vcc_lo
	s_wait_alu 0xfffd
	v_add_co_ci_u32_e32 v13, vcc_lo, 0, v21, vcc_lo
	s_delay_alu instid0(VALU_DEP_2) | instskip(SKIP_1) | instid1(VALU_DEP_2)
	v_add_co_u32 v14, vcc_lo, v12, v20
	s_wait_alu 0xfffd
	v_add_co_ci_u32_e64 v15, null, 0, v13, vcc_lo
	s_delay_alu instid0(VALU_DEP_2) | instskip(SKIP_1) | instid1(VALU_DEP_3)
	v_mul_lo_u32 v20, s51, v14
	v_mad_co_u64_u32 v[12:13], null, s50, v14, 0
	v_mul_lo_u32 v21, s50, v15
	s_delay_alu instid0(VALU_DEP_2) | instskip(NEXT) | instid1(VALU_DEP_2)
	v_sub_co_u32 v12, vcc_lo, v22, v12
	v_add3_u32 v13, v13, v21, v20
	v_add_co_u32 v21, s0, v14, 2
	s_wait_alu 0xf1ff
	v_add_co_ci_u32_e64 v22, null, 0, v15, s0
	s_delay_alu instid0(VALU_DEP_3) | instskip(SKIP_3) | instid1(VALU_DEP_3)
	v_sub_nc_u32_e32 v20, v23, v13
	v_sub_co_u32 v24, s0, v12, s50
	s_wait_alu 0xfffd
	v_sub_co_ci_u32_e64 v13, null, v23, v13, vcc_lo
	v_subrev_co_ci_u32_e64 v20, null, s51, v20, vcc_lo
	s_delay_alu instid0(VALU_DEP_3) | instskip(SKIP_1) | instid1(VALU_DEP_2)
	v_cmp_le_u32_e32 vcc_lo, s50, v24
	s_wait_alu 0xf1ff
	v_subrev_co_ci_u32_e64 v20, null, 0, v20, s0
	s_wait_alu 0xfffd
	v_cndmask_b32_e64 v23, 0, -1, vcc_lo
	s_delay_alu instid0(VALU_DEP_2)
	v_cmp_le_u32_e32 vcc_lo, s51, v20
	s_wait_alu 0xfffd
	v_cndmask_b32_e64 v24, 0, -1, vcc_lo
	v_cmp_le_u32_e32 vcc_lo, s50, v12
	s_wait_alu 0xfffd
	v_cndmask_b32_e64 v12, 0, -1, vcc_lo
	;; [unrolled: 3-line block ×3, first 2 shown]
	v_cmp_eq_u32_e32 vcc_lo, s51, v20
	s_wait_alu 0xfffd
	v_cndmask_b32_e32 v20, v24, v23, vcc_lo
	v_add_co_u32 v23, vcc_lo, v14, 1
	s_wait_alu 0xfffd
	v_add_co_ci_u32_e64 v24, null, 0, v15, vcc_lo
	v_cmp_eq_u32_e32 vcc_lo, s51, v13
	s_wait_alu 0xfffd
	v_cndmask_b32_e32 v12, v25, v12, vcc_lo
	v_cmp_ne_u32_e32 vcc_lo, 0, v20
	s_wait_alu 0xfffd
	v_cndmask_b32_e32 v13, v24, v22, vcc_lo
	s_delay_alu instid0(VALU_DEP_3) | instskip(SKIP_2) | instid1(VALU_DEP_2)
	v_cmp_ne_u32_e64 s0, 0, v12
	v_cndmask_b32_e32 v12, v23, v21, vcc_lo
	s_wait_alu 0xf1ff
	v_cndmask_b32_e64 v13, v15, v13, s0
	s_delay_alu instid0(VALU_DEP_2) | instskip(NEXT) | instid1(VALU_DEP_2)
	v_cndmask_b32_e64 v12, v14, v12, s0
	v_xor_b32_e32 v13, v13, v3
	s_delay_alu instid0(VALU_DEP_2) | instskip(NEXT) | instid1(VALU_DEP_1)
	v_xor_b32_e32 v12, v12, v3
	v_sub_co_u32 v12, vcc_lo, v12, v3
	s_wait_alu 0xfffd
	s_delay_alu instid0(VALU_DEP_3)
	v_sub_co_ci_u32_e64 v13, null, v13, v3, vcc_lo
.LBB3_15:                               ;   in Loop: Header=BB3_3 Depth=1
	s_wait_alu 0xfffe
	s_and_not1_saveexec_b32 s0, s1
	s_cbranch_execz .LBB3_17
; %bb.16:                               ;   in Loop: Header=BB3_3 Depth=1
	v_cvt_f32_u32_e32 v3, s46
	s_sub_co_i32 s1, 0, s46
	s_delay_alu instid0(VALU_DEP_1) | instskip(NEXT) | instid1(TRANS32_DEP_1)
	v_rcp_iflag_f32_e32 v3, v3
	v_mul_f32_e32 v3, 0x4f7ffffe, v3
	s_delay_alu instid0(VALU_DEP_1) | instskip(SKIP_1) | instid1(VALU_DEP_1)
	v_cvt_u32_f32_e32 v3, v3
	s_wait_alu 0xfffe
	v_mul_lo_u32 v12, s1, v3
	s_delay_alu instid0(VALU_DEP_1) | instskip(NEXT) | instid1(VALU_DEP_1)
	v_mul_hi_u32 v12, v3, v12
	v_add_nc_u32_e32 v3, v3, v12
	s_delay_alu instid0(VALU_DEP_1) | instskip(NEXT) | instid1(VALU_DEP_1)
	v_mul_hi_u32 v3, v10, v3
	v_mul_lo_u32 v12, v3, s46
	v_add_nc_u32_e32 v13, 1, v3
	s_delay_alu instid0(VALU_DEP_2) | instskip(NEXT) | instid1(VALU_DEP_1)
	v_sub_nc_u32_e32 v12, v10, v12
	v_subrev_nc_u32_e32 v14, s46, v12
	v_cmp_le_u32_e32 vcc_lo, s46, v12
	s_wait_alu 0xfffd
	s_delay_alu instid0(VALU_DEP_2) | instskip(NEXT) | instid1(VALU_DEP_1)
	v_dual_cndmask_b32 v12, v12, v14 :: v_dual_cndmask_b32 v3, v3, v13
	v_cmp_le_u32_e32 vcc_lo, s46, v12
	s_delay_alu instid0(VALU_DEP_2) | instskip(SKIP_1) | instid1(VALU_DEP_1)
	v_add_nc_u32_e32 v13, 1, v3
	s_wait_alu 0xfffd
	v_dual_cndmask_b32 v12, v3, v13 :: v_dual_mov_b32 v13, v2
.LBB3_17:                               ;   in Loop: Header=BB3_3 Depth=1
	s_wait_alu 0xfffe
	s_or_b32 exec_lo, exec_lo, s0
	s_delay_alu instid0(VALU_DEP_1) | instskip(NEXT) | instid1(VALU_DEP_2)
	v_mul_lo_u32 v3, v13, s46
	v_mul_lo_u32 v20, v12, s47
	s_load_b64 s[0:1], s[38:39], 0xd0
	v_mad_co_u64_u32 v[14:15], null, v12, s46, 0
	s_load_b64 s[46:47], s[40:41], 0xd0
	v_add3_u32 v3, v15, v20, v3
	v_sub_co_u32 v10, vcc_lo, v10, v14
	s_wait_alu 0xfffd
	s_delay_alu instid0(VALU_DEP_2) | instskip(SKIP_1) | instid1(VALU_DEP_1)
	v_sub_co_ci_u32_e64 v3, null, v11, v3, vcc_lo
	s_wait_kmcnt 0x0
	v_mul_lo_u32 v11, s0, v3
	v_mul_lo_u32 v14, s1, v10
	v_mad_co_u64_u32 v[8:9], null, s0, v10, v[8:9]
	v_mul_lo_u32 v3, s46, v3
	v_mul_lo_u32 v15, s47, v10
	v_mad_co_u64_u32 v[6:7], null, s46, v10, v[6:7]
	s_mov_b64 s[0:1], s[36:37]
	v_add3_u32 v9, v14, v9, v11
	v_dual_mov_b32 v10, v12 :: v_dual_mov_b32 v11, v13
	v_add3_u32 v7, v15, v7, v3
	s_and_not1_b32 vcc_lo, exec_lo, s65
	s_wait_alu 0xfffe
	s_cbranch_vccz .LBB3_19
	s_branch .LBB3_29
.LBB3_18:                               ;   in Loop: Header=BB3_3 Depth=1
	s_mov_b64 s[0:1], s[34:35]
	s_and_not1_b32 vcc_lo, exec_lo, s65
	s_wait_alu 0xfffe
	s_cbranch_vccnz .LBB3_29
.LBB3_19:                               ;   in Loop: Header=BB3_3 Depth=1
	s_lshl_b64 s[48:49], s[0:1], 3
	s_add_nc_u64 s[50:51], s[0:1], 1
	s_wait_alu 0xfffe
	s_add_nc_u64 s[46:47], s[42:43], s[48:49]
	s_add_nc_u64 s[48:49], s[20:21], s[48:49]
	s_branch .LBB3_21
.LBB3_20:                               ;   in Loop: Header=BB3_21 Depth=2
	s_wait_alu 0xfffe
	s_or_b32 exec_lo, exec_lo, s0
	v_mul_lo_u32 v3, v13, s52
	v_mul_lo_u32 v24, v12, s53
	v_mad_co_u64_u32 v[20:21], null, v12, s52, 0
	s_load_b64 s[0:1], s[48:49], 0xc8
	s_load_b64 s[52:53], s[46:47], 0x0
	v_mul_lo_u32 v25, v15, s58
	v_mul_lo_u32 v26, v14, s59
	v_mad_co_u64_u32 v[22:23], null, v14, s58, 0
	v_add3_u32 v3, v21, v24, v3
	v_sub_co_u32 v10, vcc_lo, v10, v20
	s_add_nc_u64 s[50:51], s[50:51], -2
	s_add_nc_u64 s[46:47], s[46:47], -16
	s_wait_alu 0xfffd
	v_sub_co_ci_u32_e64 v3, null, v11, v3, vcc_lo
	v_mul_lo_u32 v11, s57, v10
	v_mad_co_u64_u32 v[8:9], null, s56, v10, v[8:9]
	s_delay_alu instid0(VALU_DEP_3)
	v_mul_lo_u32 v20, s56, v3
	v_mul_lo_u32 v21, s55, v10
	v_mad_co_u64_u32 v[6:7], null, s54, v10, v[6:7]
	v_mul_lo_u32 v3, s54, v3
	v_add3_u32 v10, v23, v26, v25
	s_wait_alu 0xfffe
	s_cmp_eq_u64 s[50:51], 0
	s_add_nc_u64 s[48:49], s[48:49], -16
	v_add3_u32 v9, v11, v9, v20
	v_sub_co_u32 v11, vcc_lo, v12, v22
	s_wait_alu 0xfffd
	v_sub_co_ci_u32_e64 v10, null, v13, v10, vcc_lo
	v_add3_u32 v7, v21, v7, v3
	s_wait_kmcnt 0x0
	v_mad_co_u64_u32 v[8:9], null, s0, v11, v[8:9]
	s_delay_alu instid0(VALU_DEP_3) | instskip(SKIP_4) | instid1(VALU_DEP_4)
	v_mul_lo_u32 v3, s0, v10
	v_mul_lo_u32 v12, s1, v11
	;; [unrolled: 1-line block ×4, first 2 shown]
	v_mad_co_u64_u32 v[6:7], null, s52, v11, v[6:7]
	v_add3_u32 v9, v12, v9, v3
	s_delay_alu instid0(VALU_DEP_2)
	v_add3_u32 v7, v13, v7, v10
	v_dual_mov_b32 v10, v14 :: v_dual_mov_b32 v11, v15
	s_cbranch_scc1 .LBB3_29
.LBB3_21:                               ;   Parent Loop BB3_3 Depth=1
                                        ; =>  This Inner Loop Header: Depth=2
	s_load_b64 s[52:53], s[48:49], 0x8
                                        ; implicit-def: $vgpr12_vgpr13
	s_mov_b32 s0, exec_lo
	s_wait_kmcnt 0x0
	v_or_b32_e32 v3, s53, v11
	s_delay_alu instid0(VALU_DEP_1)
	v_cmpx_ne_u64_e32 0, v[2:3]
	s_wait_alu 0xfffe
	s_xor_b32 s1, exec_lo, s0
	s_cbranch_execz .LBB3_23
; %bb.22:                               ;   in Loop: Header=BB3_21 Depth=2
	s_ashr_i32 s54, s53, 31
	v_ashrrev_i32_e32 v3, 31, v11
	s_wait_alu 0xfffe
	s_mov_b32 s55, s54
	s_wait_alu 0xfffe
	s_add_nc_u64 s[56:57], s[52:53], s[54:55]
	v_add_co_u32 v12, vcc_lo, v10, v3
	s_wait_alu 0xfffe
	s_xor_b64 s[56:57], s[56:57], s[54:55]
	s_wait_alu 0xfffd
	v_add_co_ci_u32_e64 v13, null, v11, v3, vcc_lo
	s_wait_alu 0xfffe
	s_cvt_f32_u32 s0, s56
	s_cvt_f32_u32 s26, s57
	s_sub_nc_u64 s[60:61], 0, s[56:57]
	v_xor_b32_e32 v22, v12, v3
	v_xor_b32_e32 v23, v13, v3
	s_wait_alu 0xfffe
	s_fmamk_f32 s0, s26, 0x4f800000, s0
	v_xor_b32_e32 v3, s54, v3
	s_wait_alu 0xfffe
	s_delay_alu instid0(SALU_CYCLE_1) | instskip(NEXT) | instid1(TRANS32_DEP_1)
	v_s_rcp_f32 s0, s0
	s_mul_f32 s0, s0, 0x5f7ffffc
	s_wait_alu 0xfffe
	s_delay_alu instid0(SALU_CYCLE_2) | instskip(SKIP_1) | instid1(SALU_CYCLE_2)
	s_mul_f32 s26, s0, 0x2f800000
	s_wait_alu 0xfffe
	s_trunc_f32 s26, s26
	s_wait_alu 0xfffe
	s_delay_alu instid0(SALU_CYCLE_2) | instskip(SKIP_2) | instid1(SALU_CYCLE_1)
	s_fmamk_f32 s0, s26, 0xcf800000, s0
	s_cvt_u32_f32 s59, s26
	s_wait_alu 0xfffe
	s_cvt_u32_f32 s58, s0
	s_wait_alu 0xfffe
	s_delay_alu instid0(SALU_CYCLE_2)
	s_mul_u64 s[62:63], s[60:61], s[58:59]
	s_wait_alu 0xfffe
	s_mul_hi_u32 s69, s58, s63
	s_mul_i32 s68, s58, s63
	s_mul_hi_u32 s26, s58, s62
	s_mul_i32 s45, s59, s62
	s_wait_alu 0xfffe
	s_add_nc_u64 s[68:69], s[26:27], s[68:69]
	s_mul_hi_u32 s0, s59, s62
	s_mul_hi_u32 s55, s59, s63
	s_add_co_u32 s26, s68, s45
	s_wait_alu 0xfffe
	s_add_co_ci_u32 s26, s69, s0
	s_mul_i32 s62, s59, s63
	s_add_co_ci_u32 s63, s55, 0
	s_wait_alu 0xfffe
	s_add_nc_u64 s[62:63], s[26:27], s[62:63]
	s_wait_alu 0xfffe
	s_add_co_u32 s58, s58, s62
	s_cselect_b32 s0, -1, 0
	s_wait_alu 0xfffe
	s_cmp_lg_u32 s0, 0
	s_add_co_ci_u32 s59, s59, s63
	s_wait_alu 0xfffe
	s_mul_u64 s[60:61], s[60:61], s[58:59]
	s_wait_alu 0xfffe
	s_mul_hi_u32 s63, s58, s61
	s_mul_i32 s62, s58, s61
	s_mul_hi_u32 s26, s58, s60
	s_mul_i32 s45, s59, s60
	s_wait_alu 0xfffe
	s_add_nc_u64 s[62:63], s[26:27], s[62:63]
	s_mul_hi_u32 s0, s59, s60
	s_mul_hi_u32 s55, s59, s61
	s_wait_alu 0xfffe
	s_add_co_u32 s26, s62, s45
	s_add_co_ci_u32 s26, s63, s0
	s_mul_i32 s60, s59, s61
	s_add_co_ci_u32 s61, s55, 0
	s_wait_alu 0xfffe
	s_add_nc_u64 s[60:61], s[26:27], s[60:61]
	s_wait_alu 0xfffe
	s_add_co_u32 s0, s58, s60
	s_cselect_b32 s26, -1, 0
	s_wait_alu 0xfffe
	v_mul_hi_u32 v24, v22, s0
	s_cmp_lg_u32 s26, 0
	v_mad_co_u64_u32 v[14:15], null, v23, s0, 0
	s_add_co_ci_u32 s26, s59, s61
	s_wait_alu 0xfffe
	v_mad_co_u64_u32 v[12:13], null, v22, s26, 0
	v_mad_co_u64_u32 v[20:21], null, v23, s26, 0
	s_delay_alu instid0(VALU_DEP_2) | instskip(SKIP_1) | instid1(VALU_DEP_3)
	v_add_co_u32 v12, vcc_lo, v24, v12
	s_wait_alu 0xfffd
	v_add_co_ci_u32_e64 v13, null, 0, v13, vcc_lo
	s_delay_alu instid0(VALU_DEP_2) | instskip(SKIP_1) | instid1(VALU_DEP_2)
	v_add_co_u32 v12, vcc_lo, v12, v14
	s_wait_alu 0xfffd
	v_add_co_ci_u32_e32 v12, vcc_lo, v13, v15, vcc_lo
	s_wait_alu 0xfffd
	v_add_co_ci_u32_e32 v13, vcc_lo, 0, v21, vcc_lo
	s_delay_alu instid0(VALU_DEP_2) | instskip(SKIP_1) | instid1(VALU_DEP_2)
	v_add_co_u32 v14, vcc_lo, v12, v20
	s_wait_alu 0xfffd
	v_add_co_ci_u32_e64 v15, null, 0, v13, vcc_lo
	s_delay_alu instid0(VALU_DEP_2) | instskip(SKIP_1) | instid1(VALU_DEP_3)
	v_mul_lo_u32 v20, s57, v14
	v_mad_co_u64_u32 v[12:13], null, s56, v14, 0
	v_mul_lo_u32 v21, s56, v15
	s_delay_alu instid0(VALU_DEP_2) | instskip(NEXT) | instid1(VALU_DEP_2)
	v_sub_co_u32 v12, vcc_lo, v22, v12
	v_add3_u32 v13, v13, v21, v20
	v_add_co_u32 v21, s0, v14, 2
	s_wait_alu 0xf1ff
	v_add_co_ci_u32_e64 v22, null, 0, v15, s0
	s_delay_alu instid0(VALU_DEP_3) | instskip(SKIP_3) | instid1(VALU_DEP_3)
	v_sub_nc_u32_e32 v20, v23, v13
	v_sub_co_u32 v24, s0, v12, s56
	s_wait_alu 0xfffd
	v_sub_co_ci_u32_e64 v13, null, v23, v13, vcc_lo
	v_subrev_co_ci_u32_e64 v20, null, s57, v20, vcc_lo
	s_delay_alu instid0(VALU_DEP_3) | instskip(SKIP_1) | instid1(VALU_DEP_2)
	v_cmp_le_u32_e32 vcc_lo, s56, v24
	s_wait_alu 0xf1ff
	v_subrev_co_ci_u32_e64 v20, null, 0, v20, s0
	s_wait_alu 0xfffd
	v_cndmask_b32_e64 v23, 0, -1, vcc_lo
	s_delay_alu instid0(VALU_DEP_2)
	v_cmp_le_u32_e32 vcc_lo, s57, v20
	s_wait_alu 0xfffd
	v_cndmask_b32_e64 v24, 0, -1, vcc_lo
	v_cmp_le_u32_e32 vcc_lo, s56, v12
	s_wait_alu 0xfffd
	v_cndmask_b32_e64 v12, 0, -1, vcc_lo
	;; [unrolled: 3-line block ×3, first 2 shown]
	v_cmp_eq_u32_e32 vcc_lo, s57, v20
	s_wait_alu 0xfffd
	v_cndmask_b32_e32 v20, v24, v23, vcc_lo
	v_add_co_u32 v23, vcc_lo, v14, 1
	s_wait_alu 0xfffd
	v_add_co_ci_u32_e64 v24, null, 0, v15, vcc_lo
	v_cmp_eq_u32_e32 vcc_lo, s57, v13
	s_wait_alu 0xfffd
	v_cndmask_b32_e32 v12, v25, v12, vcc_lo
	v_cmp_ne_u32_e32 vcc_lo, 0, v20
	s_wait_alu 0xfffd
	v_cndmask_b32_e32 v13, v24, v22, vcc_lo
	s_delay_alu instid0(VALU_DEP_3) | instskip(SKIP_2) | instid1(VALU_DEP_2)
	v_cmp_ne_u32_e64 s0, 0, v12
	v_cndmask_b32_e32 v12, v23, v21, vcc_lo
	s_wait_alu 0xf1ff
	v_cndmask_b32_e64 v13, v15, v13, s0
	s_delay_alu instid0(VALU_DEP_2) | instskip(NEXT) | instid1(VALU_DEP_2)
	v_cndmask_b32_e64 v12, v14, v12, s0
	v_xor_b32_e32 v13, v13, v3
	s_delay_alu instid0(VALU_DEP_2) | instskip(NEXT) | instid1(VALU_DEP_1)
	v_xor_b32_e32 v12, v12, v3
	v_sub_co_u32 v12, vcc_lo, v12, v3
	s_wait_alu 0xfffd
	s_delay_alu instid0(VALU_DEP_3)
	v_sub_co_ci_u32_e64 v13, null, v13, v3, vcc_lo
.LBB3_23:                               ;   in Loop: Header=BB3_21 Depth=2
	s_wait_alu 0xfffe
	s_and_not1_saveexec_b32 s0, s1
	s_cbranch_execz .LBB3_25
; %bb.24:                               ;   in Loop: Header=BB3_21 Depth=2
	v_cvt_f32_u32_e32 v3, s52
	s_sub_co_i32 s1, 0, s52
	s_delay_alu instid0(VALU_DEP_1) | instskip(NEXT) | instid1(TRANS32_DEP_1)
	v_rcp_iflag_f32_e32 v3, v3
	v_mul_f32_e32 v3, 0x4f7ffffe, v3
	s_delay_alu instid0(VALU_DEP_1) | instskip(SKIP_1) | instid1(VALU_DEP_1)
	v_cvt_u32_f32_e32 v3, v3
	s_wait_alu 0xfffe
	v_mul_lo_u32 v12, s1, v3
	s_delay_alu instid0(VALU_DEP_1) | instskip(NEXT) | instid1(VALU_DEP_1)
	v_mul_hi_u32 v12, v3, v12
	v_add_nc_u32_e32 v3, v3, v12
	s_delay_alu instid0(VALU_DEP_1) | instskip(NEXT) | instid1(VALU_DEP_1)
	v_mul_hi_u32 v3, v10, v3
	v_mul_lo_u32 v12, v3, s52
	v_add_nc_u32_e32 v13, 1, v3
	s_delay_alu instid0(VALU_DEP_2) | instskip(NEXT) | instid1(VALU_DEP_1)
	v_sub_nc_u32_e32 v12, v10, v12
	v_subrev_nc_u32_e32 v14, s52, v12
	v_cmp_le_u32_e32 vcc_lo, s52, v12
	s_wait_alu 0xfffd
	s_delay_alu instid0(VALU_DEP_2) | instskip(NEXT) | instid1(VALU_DEP_1)
	v_dual_cndmask_b32 v12, v12, v14 :: v_dual_cndmask_b32 v3, v3, v13
	v_cmp_le_u32_e32 vcc_lo, s52, v12
	s_delay_alu instid0(VALU_DEP_2) | instskip(SKIP_1) | instid1(VALU_DEP_1)
	v_add_nc_u32_e32 v13, 1, v3
	s_wait_alu 0xfffd
	v_dual_cndmask_b32 v12, v3, v13 :: v_dual_mov_b32 v13, v2
.LBB3_25:                               ;   in Loop: Header=BB3_21 Depth=2
	s_wait_alu 0xfffe
	s_or_b32 exec_lo, exec_lo, s0
	s_clause 0x1
	s_load_b64 s[58:59], s[48:49], 0x0
	s_load_b64 s[56:57], s[48:49], 0xd0
	;; [unrolled: 1-line block ×3, first 2 shown]
                                        ; implicit-def: $vgpr14_vgpr15
	s_mov_b32 s0, exec_lo
	s_wait_kmcnt 0x0
	v_or_b32_e32 v3, s59, v13
	s_delay_alu instid0(VALU_DEP_1)
	v_cmpx_ne_u64_e32 0, v[2:3]
	s_wait_alu 0xfffe
	s_xor_b32 s1, exec_lo, s0
	s_cbranch_execz .LBB3_27
; %bb.26:                               ;   in Loop: Header=BB3_21 Depth=2
	s_ashr_i32 s60, s59, 31
	v_ashrrev_i32_e32 v3, 31, v13
	s_wait_alu 0xfffe
	s_mov_b32 s61, s60
	s_wait_alu 0xfffe
	s_add_nc_u64 s[62:63], s[58:59], s[60:61]
	v_add_co_u32 v14, vcc_lo, v12, v3
	s_wait_alu 0xfffe
	s_xor_b64 s[62:63], s[62:63], s[60:61]
	s_wait_alu 0xfffd
	v_add_co_ci_u32_e64 v15, null, v13, v3, vcc_lo
	s_wait_alu 0xfffe
	s_cvt_f32_u32 s0, s62
	s_cvt_f32_u32 s26, s63
	s_sub_nc_u64 s[70:71], 0, s[62:63]
	v_xor_b32_e32 v24, v14, v3
	v_xor_b32_e32 v25, v15, v3
	s_wait_alu 0xfffe
	s_fmamk_f32 s0, s26, 0x4f800000, s0
	v_xor_b32_e32 v3, s60, v3
	s_wait_alu 0xfffe
	s_delay_alu instid0(SALU_CYCLE_1) | instskip(NEXT) | instid1(TRANS32_DEP_1)
	v_s_rcp_f32 s0, s0
	s_mul_f32 s0, s0, 0x5f7ffffc
	s_wait_alu 0xfffe
	s_delay_alu instid0(SALU_CYCLE_2) | instskip(SKIP_1) | instid1(SALU_CYCLE_2)
	s_mul_f32 s26, s0, 0x2f800000
	s_wait_alu 0xfffe
	s_trunc_f32 s26, s26
	s_wait_alu 0xfffe
	s_delay_alu instid0(SALU_CYCLE_2) | instskip(SKIP_2) | instid1(SALU_CYCLE_1)
	s_fmamk_f32 s0, s26, 0xcf800000, s0
	s_cvt_u32_f32 s69, s26
	s_wait_alu 0xfffe
	s_cvt_u32_f32 s68, s0
	s_delay_alu instid0(SALU_CYCLE_3) | instskip(NEXT) | instid1(SALU_CYCLE_1)
	s_mul_u64 s[72:73], s[70:71], s[68:69]
	s_mul_hi_u32 s75, s68, s73
	s_mul_i32 s74, s68, s73
	s_mul_hi_u32 s26, s68, s72
	s_mul_i32 s45, s69, s72
	s_wait_alu 0xfffe
	s_add_nc_u64 s[74:75], s[26:27], s[74:75]
	s_mul_hi_u32 s0, s69, s72
	s_mul_hi_u32 s61, s69, s73
	s_add_co_u32 s26, s74, s45
	s_wait_alu 0xfffe
	s_add_co_ci_u32 s26, s75, s0
	s_mul_i32 s72, s69, s73
	s_add_co_ci_u32 s73, s61, 0
	s_wait_alu 0xfffe
	s_add_nc_u64 s[72:73], s[26:27], s[72:73]
	s_delay_alu instid0(SALU_CYCLE_1) | instskip(SKIP_4) | instid1(SALU_CYCLE_1)
	s_add_co_u32 s68, s68, s72
	s_cselect_b32 s0, -1, 0
	s_wait_alu 0xfffe
	s_cmp_lg_u32 s0, 0
	s_add_co_ci_u32 s69, s69, s73
	s_mul_u64 s[70:71], s[70:71], s[68:69]
	s_delay_alu instid0(SALU_CYCLE_1)
	s_mul_hi_u32 s73, s68, s71
	s_mul_i32 s72, s68, s71
	s_mul_hi_u32 s26, s68, s70
	s_mul_i32 s45, s69, s70
	s_wait_alu 0xfffe
	s_add_nc_u64 s[72:73], s[26:27], s[72:73]
	s_mul_hi_u32 s0, s69, s70
	s_mul_hi_u32 s61, s69, s71
	s_add_co_u32 s26, s72, s45
	s_wait_alu 0xfffe
	s_add_co_ci_u32 s26, s73, s0
	s_mul_i32 s70, s69, s71
	s_add_co_ci_u32 s71, s61, 0
	s_wait_alu 0xfffe
	s_add_nc_u64 s[70:71], s[26:27], s[70:71]
	s_delay_alu instid0(SALU_CYCLE_1)
	s_add_co_u32 s0, s68, s70
	s_cselect_b32 s26, -1, 0
	s_wait_alu 0xfffe
	v_mul_hi_u32 v26, v24, s0
	s_cmp_lg_u32 s26, 0
	v_mad_co_u64_u32 v[20:21], null, v25, s0, 0
	s_add_co_ci_u32 s26, s69, s71
	s_wait_alu 0xfffe
	v_mad_co_u64_u32 v[14:15], null, v24, s26, 0
	v_mad_co_u64_u32 v[22:23], null, v25, s26, 0
	s_delay_alu instid0(VALU_DEP_2) | instskip(SKIP_1) | instid1(VALU_DEP_3)
	v_add_co_u32 v14, vcc_lo, v26, v14
	s_wait_alu 0xfffd
	v_add_co_ci_u32_e64 v15, null, 0, v15, vcc_lo
	s_delay_alu instid0(VALU_DEP_2) | instskip(SKIP_1) | instid1(VALU_DEP_2)
	v_add_co_u32 v14, vcc_lo, v14, v20
	s_wait_alu 0xfffd
	v_add_co_ci_u32_e32 v14, vcc_lo, v15, v21, vcc_lo
	s_wait_alu 0xfffd
	v_add_co_ci_u32_e32 v15, vcc_lo, 0, v23, vcc_lo
	s_delay_alu instid0(VALU_DEP_2) | instskip(SKIP_1) | instid1(VALU_DEP_2)
	v_add_co_u32 v20, vcc_lo, v14, v22
	s_wait_alu 0xfffd
	v_add_co_ci_u32_e64 v21, null, 0, v15, vcc_lo
	s_delay_alu instid0(VALU_DEP_2) | instskip(SKIP_1) | instid1(VALU_DEP_3)
	v_mul_lo_u32 v22, s63, v20
	v_mad_co_u64_u32 v[14:15], null, s62, v20, 0
	v_mul_lo_u32 v23, s62, v21
	s_delay_alu instid0(VALU_DEP_2) | instskip(NEXT) | instid1(VALU_DEP_2)
	v_sub_co_u32 v14, vcc_lo, v24, v14
	v_add3_u32 v15, v15, v23, v22
	v_add_co_u32 v23, s0, v20, 2
	s_wait_alu 0xf1ff
	v_add_co_ci_u32_e64 v24, null, 0, v21, s0
	s_delay_alu instid0(VALU_DEP_3) | instskip(SKIP_3) | instid1(VALU_DEP_3)
	v_sub_nc_u32_e32 v22, v25, v15
	v_sub_co_u32 v26, s0, v14, s62
	s_wait_alu 0xfffd
	v_sub_co_ci_u32_e64 v15, null, v25, v15, vcc_lo
	v_subrev_co_ci_u32_e64 v22, null, s63, v22, vcc_lo
	s_delay_alu instid0(VALU_DEP_3) | instskip(SKIP_1) | instid1(VALU_DEP_2)
	v_cmp_le_u32_e32 vcc_lo, s62, v26
	s_wait_alu 0xf1ff
	v_subrev_co_ci_u32_e64 v22, null, 0, v22, s0
	s_wait_alu 0xfffd
	v_cndmask_b32_e64 v25, 0, -1, vcc_lo
	s_delay_alu instid0(VALU_DEP_2)
	v_cmp_le_u32_e32 vcc_lo, s63, v22
	s_wait_alu 0xfffd
	v_cndmask_b32_e64 v26, 0, -1, vcc_lo
	v_cmp_le_u32_e32 vcc_lo, s62, v14
	s_wait_alu 0xfffd
	v_cndmask_b32_e64 v14, 0, -1, vcc_lo
	;; [unrolled: 3-line block ×3, first 2 shown]
	v_cmp_eq_u32_e32 vcc_lo, s63, v22
	s_wait_alu 0xfffd
	v_cndmask_b32_e32 v22, v26, v25, vcc_lo
	v_add_co_u32 v25, vcc_lo, v20, 1
	s_wait_alu 0xfffd
	v_add_co_ci_u32_e64 v26, null, 0, v21, vcc_lo
	v_cmp_eq_u32_e32 vcc_lo, s63, v15
	s_wait_alu 0xfffd
	v_cndmask_b32_e32 v14, v27, v14, vcc_lo
	v_cmp_ne_u32_e32 vcc_lo, 0, v22
	s_wait_alu 0xfffd
	v_cndmask_b32_e32 v15, v26, v24, vcc_lo
	s_delay_alu instid0(VALU_DEP_3) | instskip(SKIP_2) | instid1(VALU_DEP_2)
	v_cmp_ne_u32_e64 s0, 0, v14
	v_cndmask_b32_e32 v14, v25, v23, vcc_lo
	s_wait_alu 0xf1ff
	v_cndmask_b32_e64 v15, v21, v15, s0
	s_delay_alu instid0(VALU_DEP_2) | instskip(NEXT) | instid1(VALU_DEP_2)
	v_cndmask_b32_e64 v14, v20, v14, s0
	v_xor_b32_e32 v15, v15, v3
	s_delay_alu instid0(VALU_DEP_2) | instskip(NEXT) | instid1(VALU_DEP_1)
	v_xor_b32_e32 v14, v14, v3
	v_sub_co_u32 v14, vcc_lo, v14, v3
	s_wait_alu 0xfffd
	s_delay_alu instid0(VALU_DEP_3)
	v_sub_co_ci_u32_e64 v15, null, v15, v3, vcc_lo
.LBB3_27:                               ;   in Loop: Header=BB3_21 Depth=2
	s_wait_alu 0xfffe
	s_and_not1_saveexec_b32 s0, s1
	s_cbranch_execz .LBB3_20
; %bb.28:                               ;   in Loop: Header=BB3_21 Depth=2
	v_cvt_f32_u32_e32 v3, s58
	s_sub_co_i32 s1, 0, s58
	s_delay_alu instid0(VALU_DEP_1) | instskip(NEXT) | instid1(TRANS32_DEP_1)
	v_rcp_iflag_f32_e32 v3, v3
	v_mul_f32_e32 v3, 0x4f7ffffe, v3
	s_delay_alu instid0(VALU_DEP_1) | instskip(SKIP_1) | instid1(VALU_DEP_1)
	v_cvt_u32_f32_e32 v3, v3
	s_wait_alu 0xfffe
	v_mul_lo_u32 v14, s1, v3
	s_delay_alu instid0(VALU_DEP_1) | instskip(NEXT) | instid1(VALU_DEP_1)
	v_mul_hi_u32 v14, v3, v14
	v_add_nc_u32_e32 v3, v3, v14
	s_delay_alu instid0(VALU_DEP_1) | instskip(NEXT) | instid1(VALU_DEP_1)
	v_mul_hi_u32 v3, v12, v3
	v_mul_lo_u32 v14, v3, s58
	v_add_nc_u32_e32 v15, 1, v3
	s_delay_alu instid0(VALU_DEP_2) | instskip(NEXT) | instid1(VALU_DEP_1)
	v_sub_nc_u32_e32 v14, v12, v14
	v_subrev_nc_u32_e32 v20, s58, v14
	v_cmp_le_u32_e32 vcc_lo, s58, v14
	s_wait_alu 0xfffd
	s_delay_alu instid0(VALU_DEP_2) | instskip(NEXT) | instid1(VALU_DEP_1)
	v_dual_cndmask_b32 v14, v14, v20 :: v_dual_cndmask_b32 v3, v3, v15
	v_cmp_le_u32_e32 vcc_lo, s58, v14
	s_delay_alu instid0(VALU_DEP_2) | instskip(SKIP_1) | instid1(VALU_DEP_1)
	v_add_nc_u32_e32 v15, 1, v3
	s_wait_alu 0xfffd
	v_dual_cndmask_b32 v14, v3, v15 :: v_dual_mov_b32 v15, v2
	s_branch .LBB3_20
.LBB3_29:                               ;   in Loop: Header=BB3_3 Depth=1
	v_sub_co_u32 v10, vcc_lo, v4, v18
	s_wait_alu 0xfffd
	v_sub_co_ci_u32_e64 v11, null, v5, v19, vcc_lo
	v_mov_b32_e32 v12, 0
	s_mov_b32 s0, exec_lo
	s_delay_alu instid0(VALU_DEP_2)
	v_cmpx_ge_i64_e64 s[4:5], v[10:11]
	s_cbranch_execz .LBB3_39
; %bb.30:                               ;   in Loop: Header=BB3_3 Depth=1
	v_mov_b32_e32 v3, 0
	s_mov_b32 s1, exec_lo
	v_cmpx_gt_i64_e64 s[10:11], v[4:5]
	s_cbranch_execz .LBB3_38
; %bb.31:                               ;   in Loop: Header=BB3_3 Depth=1
	v_add_co_u32 v8, vcc_lo, s2, v8
	s_wait_alu 0xfffd
	v_add_co_ci_u32_e64 v9, null, s3, v9, vcc_lo
	v_add_co_u32 v12, vcc_lo, v4, 1
	s_wait_alu 0xfffd
	v_add_co_ci_u32_e64 v13, null, 0, v5, vcc_lo
	global_load_u8 v3, v[8:9], off
	s_mov_b32 s26, exec_lo
	v_cmpx_gt_i64_e64 s[10:11], v[12:13]
	s_wait_alu 0xfffe
	s_xor_b32 s26, exec_lo, s26
	s_cbranch_execz .LBB3_37
; %bb.32:                               ;   in Loop: Header=BB3_3 Depth=1
	v_add_co_u32 v8, vcc_lo, v8, s14
	s_wait_alu 0xfffd
	v_add_co_ci_u32_e64 v9, null, s15, v9, vcc_lo
	s_mov_b32 s45, exec_lo
	global_load_u8 v12, v[8:9], off
	s_wait_loadcnt 0x0
	v_lshlrev_b16 v14, 8, v12
	v_add_co_u32 v12, vcc_lo, v4, 2
	s_wait_alu 0xfffd
	v_add_co_ci_u32_e64 v13, null, 0, v5, vcc_lo
	s_delay_alu instid0(VALU_DEP_3) | instskip(NEXT) | instid1(VALU_DEP_1)
	v_or_b32_e32 v3, v3, v14
	v_and_b32_e32 v3, 0xffff, v3
	s_delay_alu instid0(VALU_DEP_3)
	v_cmpx_gt_i64_e64 s[10:11], v[12:13]
	s_wait_alu 0xfffe
	s_xor_b32 s45, exec_lo, s45
	s_cbranch_execz .LBB3_36
; %bb.33:                               ;   in Loop: Header=BB3_3 Depth=1
	v_add_co_u32 v8, vcc_lo, v8, s14
	s_wait_alu 0xfffd
	v_add_co_ci_u32_e64 v9, null, s15, v9, vcc_lo
	v_add_co_u32 v12, vcc_lo, v4, 3
	s_wait_alu 0xfffd
	v_add_co_ci_u32_e64 v13, null, 0, v5, vcc_lo
	global_load_u8 v14, v[8:9], off
	s_mov_b32 s46, exec_lo
	s_wait_loadcnt 0x0
	v_lshl_or_b32 v3, v14, 16, v3
	v_cmpx_gt_i64_e64 s[10:11], v[12:13]
	s_wait_alu 0xfffe
	s_xor_b32 s46, exec_lo, s46
	s_cbranch_execz .LBB3_35
; %bb.34:                               ;   in Loop: Header=BB3_3 Depth=1
	v_add_co_u32 v8, vcc_lo, v8, s14
	s_wait_alu 0xfffd
	v_add_co_ci_u32_e64 v9, null, s15, v9, vcc_lo
	global_load_u8 v8, v[8:9], off
	v_lshrrev_b32_e32 v9, 16, v3
	s_wait_loadcnt 0x0
	v_lshlrev_b16 v8, 8, v8
	s_delay_alu instid0(VALU_DEP_1) | instskip(NEXT) | instid1(VALU_DEP_1)
	v_or_b32_e32 v8, v9, v8
	v_lshlrev_b32_e32 v8, 16, v8
	s_delay_alu instid0(VALU_DEP_1)
	v_and_or_b32 v3, 0xffff, v3, v8
.LBB3_35:                               ;   in Loop: Header=BB3_3 Depth=1
	s_wait_alu 0xfffe
	s_or_b32 exec_lo, exec_lo, s46
.LBB3_36:                               ;   in Loop: Header=BB3_3 Depth=1
	s_wait_alu 0xfffe
	s_or_b32 exec_lo, exec_lo, s45
.LBB3_37:                               ;   in Loop: Header=BB3_3 Depth=1
	s_wait_alu 0xfffe
	s_or_b32 exec_lo, exec_lo, s26
.LBB3_38:                               ;   in Loop: Header=BB3_3 Depth=1
	s_wait_alu 0xfffe
	s_or_b32 exec_lo, exec_lo, s1
	v_add_co_u32 v8, vcc_lo, v10, 1
	s_wait_alu 0xfffd
	v_add_co_ci_u32_e64 v9, null, 0, v11, vcc_lo
	v_add_co_u32 v12, vcc_lo, v10, 3
	s_wait_alu 0xfffd
	v_add_co_ci_u32_e64 v13, null, 0, v11, vcc_lo
	;; [unrolled: 3-line block ×3, first 2 shown]
	v_cmp_ge_i64_e32 vcc_lo, s[4:5], v[8:9]
	s_wait_loadcnt 0x0
	v_lshrrev_b32_e32 v15, 8, v3
	v_lshrrev_b32_e32 v18, 24, v3
	;; [unrolled: 1-line block ×3, first 2 shown]
	v_and_b32_e32 v3, 0xff, v3
	s_wait_alu 0xfffd
	v_cndmask_b32_e32 v8, 0, v15, vcc_lo
	v_cmp_ge_i64_e32 vcc_lo, s[30:31], v[12:13]
	s_wait_alu 0xfffd
	v_cndmask_b32_e32 v9, 0, v18, vcc_lo
	v_cmp_ge_i64_e32 vcc_lo, s[28:29], v[10:11]
	v_lshlrev_b16 v8, 8, v8
	s_delay_alu instid0(VALU_DEP_3) | instskip(SKIP_2) | instid1(VALU_DEP_3)
	v_lshlrev_b16 v9, 8, v9
	s_wait_alu 0xfffd
	v_cndmask_b32_e32 v10, 0, v14, vcc_lo
	v_or_b32_e32 v3, v3, v8
	s_delay_alu instid0(VALU_DEP_2) | instskip(NEXT) | instid1(VALU_DEP_2)
	v_and_b32_e32 v10, 0xff, v10
	v_and_b32_e32 v3, 0xffff, v3
	s_delay_alu instid0(VALU_DEP_2) | instskip(NEXT) | instid1(VALU_DEP_1)
	v_or_b32_e32 v8, v10, v9
	v_lshlrev_b32_e32 v8, 16, v8
	s_delay_alu instid0(VALU_DEP_1)
	v_or_b32_e32 v12, v3, v8
.LBB3_39:                               ;   in Loop: Header=BB3_3 Depth=1
	s_wait_alu 0xfffe
	s_or_b32 exec_lo, exec_lo, s0
	s_delay_alu instid0(SALU_CYCLE_1)
	s_mov_b32 s0, exec_lo
	v_cmpx_gt_i64_e64 s[10:11], v[4:5]
	s_cbranch_execz .LBB3_2
; %bb.40:                               ;   in Loop: Header=BB3_3 Depth=1
	v_add_co_u32 v8, vcc_lo, v4, 1
	s_wait_alu 0xfffd
	v_add_co_ci_u32_e64 v9, null, 0, v5, vcc_lo
	v_add_co_u32 v6, vcc_lo, s24, v6
	s_wait_alu 0xfffd
	v_add_co_ci_u32_e64 v7, null, s25, v7, vcc_lo
	s_mov_b32 s1, exec_lo
	global_store_b8 v[6:7], v12, off
	v_cmpx_gt_i64_e64 s[10:11], v[8:9]
	s_wait_alu 0xfffe
	s_xor_b32 s1, exec_lo, s1
	s_cbranch_execz .LBB3_2
; %bb.41:                               ;   in Loop: Header=BB3_3 Depth=1
	v_add_co_u32 v8, vcc_lo, v4, 2
	s_wait_alu 0xfffd
	v_add_co_ci_u32_e64 v9, null, 0, v5, vcc_lo
	v_add_co_u32 v6, vcc_lo, v6, s18
	v_lshrrev_b32_e32 v3, 8, v12
	s_wait_alu 0xfffd
	v_add_co_ci_u32_e64 v7, null, s19, v7, vcc_lo
	s_mov_b32 s1, exec_lo
	global_store_b8 v[6:7], v3, off
	v_cmpx_gt_i64_e64 s[10:11], v[8:9]
	s_wait_alu 0xfffe
	s_xor_b32 s1, exec_lo, s1
	s_cbranch_execz .LBB3_2
; %bb.42:                               ;   in Loop: Header=BB3_3 Depth=1
	v_add_co_u32 v8, vcc_lo, v4, 3
	s_wait_alu 0xfffd
	v_add_co_ci_u32_e64 v9, null, 0, v5, vcc_lo
	v_add_co_u32 v3, vcc_lo, v6, s18
	s_wait_alu 0xfffd
	v_add_co_ci_u32_e64 v4, null, s19, v7, vcc_lo
	s_mov_b32 s1, exec_lo
	global_store_d16_hi_b8 v[3:4], v12, off
	v_cmpx_gt_i64_e64 s[10:11], v[8:9]
	s_wait_alu 0xfffe
	s_xor_b32 s1, exec_lo, s1
	s_cbranch_execz .LBB3_2
; %bb.43:                               ;   in Loop: Header=BB3_3 Depth=1
	v_add_co_u32 v3, vcc_lo, v3, s18
	v_lshrrev_b32_e32 v5, 24, v12
	s_wait_alu 0xfffd
	v_add_co_ci_u32_e64 v4, null, s19, v4, vcc_lo
	global_store_b8 v[3:4], v5, off
	s_branch .LBB3_2
.LBB3_44:
	s_endpgm
	.section	.rodata,"a",@progbits
	.p2align	6, 0x0
	.amdhsa_kernel _ZN2at6native16triu_tril_kernelIhlLb0ELi4ELb0EEEvNS_4cuda6detail10TensorInfoIT_T0_EENS4_IKS5_S6_EEllS6_
		.amdhsa_group_segment_fixed_size 0
		.amdhsa_private_segment_fixed_size 0
		.amdhsa_kernarg_size 1112
		.amdhsa_user_sgpr_count 2
		.amdhsa_user_sgpr_dispatch_ptr 0
		.amdhsa_user_sgpr_queue_ptr 0
		.amdhsa_user_sgpr_kernarg_segment_ptr 1
		.amdhsa_user_sgpr_dispatch_id 0
		.amdhsa_user_sgpr_private_segment_size 0
		.amdhsa_wavefront_size32 1
		.amdhsa_uses_dynamic_stack 0
		.amdhsa_enable_private_segment 0
		.amdhsa_system_sgpr_workgroup_id_x 1
		.amdhsa_system_sgpr_workgroup_id_y 0
		.amdhsa_system_sgpr_workgroup_id_z 0
		.amdhsa_system_sgpr_workgroup_info 0
		.amdhsa_system_vgpr_workitem_id 0
		.amdhsa_next_free_vgpr 28
		.amdhsa_next_free_sgpr 76
		.amdhsa_reserve_vcc 1
		.amdhsa_float_round_mode_32 0
		.amdhsa_float_round_mode_16_64 0
		.amdhsa_float_denorm_mode_32 3
		.amdhsa_float_denorm_mode_16_64 3
		.amdhsa_fp16_overflow 0
		.amdhsa_workgroup_processor_mode 1
		.amdhsa_memory_ordered 1
		.amdhsa_forward_progress 1
		.amdhsa_inst_pref_size 55
		.amdhsa_round_robin_scheduling 0
		.amdhsa_exception_fp_ieee_invalid_op 0
		.amdhsa_exception_fp_denorm_src 0
		.amdhsa_exception_fp_ieee_div_zero 0
		.amdhsa_exception_fp_ieee_overflow 0
		.amdhsa_exception_fp_ieee_underflow 0
		.amdhsa_exception_fp_ieee_inexact 0
		.amdhsa_exception_int_div_zero 0
	.end_amdhsa_kernel
	.section	.text._ZN2at6native16triu_tril_kernelIhlLb0ELi4ELb0EEEvNS_4cuda6detail10TensorInfoIT_T0_EENS4_IKS5_S6_EEllS6_,"axG",@progbits,_ZN2at6native16triu_tril_kernelIhlLb0ELi4ELb0EEEvNS_4cuda6detail10TensorInfoIT_T0_EENS4_IKS5_S6_EEllS6_,comdat
.Lfunc_end3:
	.size	_ZN2at6native16triu_tril_kernelIhlLb0ELi4ELb0EEEvNS_4cuda6detail10TensorInfoIT_T0_EENS4_IKS5_S6_EEllS6_, .Lfunc_end3-_ZN2at6native16triu_tril_kernelIhlLb0ELi4ELb0EEEvNS_4cuda6detail10TensorInfoIT_T0_EENS4_IKS5_S6_EEllS6_
                                        ; -- End function
	.set _ZN2at6native16triu_tril_kernelIhlLb0ELi4ELb0EEEvNS_4cuda6detail10TensorInfoIT_T0_EENS4_IKS5_S6_EEllS6_.num_vgpr, 28
	.set _ZN2at6native16triu_tril_kernelIhlLb0ELi4ELb0EEEvNS_4cuda6detail10TensorInfoIT_T0_EENS4_IKS5_S6_EEllS6_.num_agpr, 0
	.set _ZN2at6native16triu_tril_kernelIhlLb0ELi4ELb0EEEvNS_4cuda6detail10TensorInfoIT_T0_EENS4_IKS5_S6_EEllS6_.numbered_sgpr, 76
	.set _ZN2at6native16triu_tril_kernelIhlLb0ELi4ELb0EEEvNS_4cuda6detail10TensorInfoIT_T0_EENS4_IKS5_S6_EEllS6_.num_named_barrier, 0
	.set _ZN2at6native16triu_tril_kernelIhlLb0ELi4ELb0EEEvNS_4cuda6detail10TensorInfoIT_T0_EENS4_IKS5_S6_EEllS6_.private_seg_size, 0
	.set _ZN2at6native16triu_tril_kernelIhlLb0ELi4ELb0EEEvNS_4cuda6detail10TensorInfoIT_T0_EENS4_IKS5_S6_EEllS6_.uses_vcc, 1
	.set _ZN2at6native16triu_tril_kernelIhlLb0ELi4ELb0EEEvNS_4cuda6detail10TensorInfoIT_T0_EENS4_IKS5_S6_EEllS6_.uses_flat_scratch, 0
	.set _ZN2at6native16triu_tril_kernelIhlLb0ELi4ELb0EEEvNS_4cuda6detail10TensorInfoIT_T0_EENS4_IKS5_S6_EEllS6_.has_dyn_sized_stack, 0
	.set _ZN2at6native16triu_tril_kernelIhlLb0ELi4ELb0EEEvNS_4cuda6detail10TensorInfoIT_T0_EENS4_IKS5_S6_EEllS6_.has_recursion, 0
	.set _ZN2at6native16triu_tril_kernelIhlLb0ELi4ELb0EEEvNS_4cuda6detail10TensorInfoIT_T0_EENS4_IKS5_S6_EEllS6_.has_indirect_call, 0
	.section	.AMDGPU.csdata,"",@progbits
; Kernel info:
; codeLenInByte = 7008
; TotalNumSgprs: 78
; NumVgprs: 28
; ScratchSize: 0
; MemoryBound: 0
; FloatMode: 240
; IeeeMode: 1
; LDSByteSize: 0 bytes/workgroup (compile time only)
; SGPRBlocks: 0
; VGPRBlocks: 3
; NumSGPRsForWavesPerEU: 78
; NumVGPRsForWavesPerEU: 28
; Occupancy: 16
; WaveLimiterHint : 0
; COMPUTE_PGM_RSRC2:SCRATCH_EN: 0
; COMPUTE_PGM_RSRC2:USER_SGPR: 2
; COMPUTE_PGM_RSRC2:TRAP_HANDLER: 0
; COMPUTE_PGM_RSRC2:TGID_X_EN: 1
; COMPUTE_PGM_RSRC2:TGID_Y_EN: 0
; COMPUTE_PGM_RSRC2:TGID_Z_EN: 0
; COMPUTE_PGM_RSRC2:TIDIG_COMP_CNT: 0
	.section	.text._ZN2at6native16triu_tril_kernelIaiLb0ELi4ELb1EEEvNS_4cuda6detail10TensorInfoIT_T0_EENS4_IKS5_S6_EEllS6_,"axG",@progbits,_ZN2at6native16triu_tril_kernelIaiLb0ELi4ELb1EEEvNS_4cuda6detail10TensorInfoIT_T0_EENS4_IKS5_S6_EEllS6_,comdat
	.protected	_ZN2at6native16triu_tril_kernelIaiLb0ELi4ELb1EEEvNS_4cuda6detail10TensorInfoIT_T0_EENS4_IKS5_S6_EEllS6_ ; -- Begin function _ZN2at6native16triu_tril_kernelIaiLb0ELi4ELb1EEEvNS_4cuda6detail10TensorInfoIT_T0_EENS4_IKS5_S6_EEllS6_
	.globl	_ZN2at6native16triu_tril_kernelIaiLb0ELi4ELb1EEEvNS_4cuda6detail10TensorInfoIT_T0_EENS4_IKS5_S6_EEllS6_
	.p2align	8
	.type	_ZN2at6native16triu_tril_kernelIaiLb0ELi4ELb1EEEvNS_4cuda6detail10TensorInfoIT_T0_EENS4_IKS5_S6_EEllS6_,@function
_ZN2at6native16triu_tril_kernelIaiLb0ELi4ELb1EEEvNS_4cuda6detail10TensorInfoIT_T0_EENS4_IKS5_S6_EEllS6_: ; @_ZN2at6native16triu_tril_kernelIaiLb0ELi4ELb1EEEvNS_4cuda6detail10TensorInfoIT_T0_EENS4_IKS5_S6_EEllS6_
; %bb.0:
	s_clause 0x1
	s_load_b32 s2, s[0:1], 0x1d4
	s_load_b128 s[4:7], s[0:1], 0x1b0
	v_mov_b32_e32 v2, 0
	s_mov_b32 s3, exec_lo
	s_delay_alu instid0(VALU_DEP_1)
	v_mov_b32_e32 v1, v2
	s_wait_kmcnt 0x0
	s_and_b32 s2, s2, 0xffff
	s_delay_alu instid0(VALU_DEP_1) | instid1(SALU_CYCLE_1)
	v_mad_co_u64_u32 v[0:1], null, s2, ttmp9, v[0:1]
	s_delay_alu instid0(VALU_DEP_1) | instskip(NEXT) | instid1(VALU_DEP_1)
	v_lshlrev_b64_e32 v[0:1], 2, v[0:1]
	v_cmpx_gt_i64_e64 s[6:7], v[0:1]
	s_cbranch_execz .LBB4_68
; %bb.1:
	s_clause 0x1
	s_load_b32 s20, s[0:1], 0x1a8
	s_load_b32 s8, s[0:1], 0x1c0
	s_add_nc_u64 s[12:13], s[0:1], 0x1c8
	s_add_nc_u64 s[10:11], s[0:1], 0xd8
	s_load_b32 s3, s[12:13], 0x0
	s_mov_b32 s19, 0
	s_mov_b32 s57, 0
	s_wait_kmcnt 0x0
	s_ashr_i32 s21, s20, 31
	v_cvt_f32_u32_e32 v3, s8
	s_lshl_b64 s[22:23], s[20:21], 2
	s_add_co_i32 s9, s20, 6
	s_add_nc_u64 s[12:13], s[10:11], s[22:23]
	s_mul_i32 s3, s3, s2
	s_clause 0x1
	s_load_b32 s14, s[12:13], 0x0
	s_load_b64 s[16:17], s[0:1], 0x0
	v_rcp_iflag_f32_e32 v3, v3
	s_and_b32 s18, s20, 7
	s_add_co_i32 s33, s20, -3
	s_and_b32 s52, s9, 7
	s_lshl_b32 s53, s3, 2
	s_ashr_i32 s9, s8, 31
	v_cmp_gt_i64_e64 s56, s[20:21], 2
	s_add_nc_u64 s[20:21], s[0:1], s[22:23]
	s_wait_kmcnt 0x0
	v_cvt_f32_u32_e32 v4, s14
	s_ashr_i32 s15, s14, 31
	s_cmp_lg_u32 s18, 2
	s_cselect_b32 s54, -1, 0
	s_delay_alu instid0(VALU_DEP_1)
	v_rcp_iflag_f32_e32 v4, v4
	v_mul_f32_e32 v3, 0x4f7ffffe, v3
	s_cmp_gt_u32 s33, 6
	s_cselect_b32 s55, -1, 0
	s_sub_co_i32 s2, 0, s8
	s_wait_alu 0xfffe
	s_ashr_i32 s22, s9, 31
	s_ashr_i32 s24, s15, 31
	s_delay_alu instid0(TRANS32_DEP_1) | instskip(SKIP_1) | instid1(VALU_DEP_2)
	v_mul_f32_e32 v4, 0x4f7ffffe, v4
	v_cvt_u32_f32_e32 v3, v3
	v_cvt_u32_f32_e32 v25, v4
	s_delay_alu instid0(VALU_DEP_2) | instskip(NEXT) | instid1(VALU_DEP_1)
	v_mul_lo_u32 v5, s2, v3
	v_mul_hi_u32 v5, v3, v5
	s_delay_alu instid0(VALU_DEP_1)
	v_add_nc_u32_e32 v26, v3, v5
	s_branch .LBB4_3
.LBB4_2:                                ;   in Loop: Header=BB4_3 Depth=1
	s_wait_alu 0xfffe
	s_or_b32 exec_lo, exec_lo, s23
	v_add_co_u32 v0, vcc_lo, v0, s53
	s_wait_alu 0xfffd
	v_add_co_ci_u32_e64 v1, null, 0, v1, vcc_lo
	s_delay_alu instid0(VALU_DEP_1) | instskip(SKIP_1) | instid1(SALU_CYCLE_1)
	v_cmp_le_i64_e32 vcc_lo, s[6:7], v[0:1]
	s_or_b32 s57, vcc_lo, s57
	s_and_not1_b32 exec_lo, exec_lo, s57
	s_cbranch_execz .LBB4_68
.LBB4_3:                                ; =>This Loop Header: Depth=1
                                        ;     Child Loop BB4_16 Depth 2
                                        ;     Child Loop BB4_22 Depth 2
	v_or_b32_e32 v3, s9, v1
                                        ; implicit-def: $vgpr4_vgpr5
	s_mov_b32 s2, exec_lo
	s_delay_alu instid0(VALU_DEP_1)
	v_cmpx_ne_u64_e32 0, v[2:3]
	s_wait_alu 0xfffe
	s_xor_b32 s3, exec_lo, s2
	s_cbranch_execz .LBB4_5
; %bb.4:                                ;   in Loop: Header=BB4_3 Depth=1
	s_mov_b32 s23, s22
	v_ashrrev_i32_e32 v9, 31, v1
	s_wait_alu 0xfffe
	s_add_nc_u64 s[26:27], s[8:9], s[22:23]
	s_wait_alu 0xfffe
	s_xor_b64 s[26:27], s[26:27], s[22:23]
	v_add_co_u32 v3, vcc_lo, v0, v9
	s_wait_alu 0xfffe
	s_cvt_f32_u32 s2, s26
	s_cvt_f32_u32 s18, s27
	s_sub_nc_u64 s[30:31], 0, s[26:27]
	s_wait_alu 0xfffd
	v_add_co_ci_u32_e64 v4, null, v1, v9, vcc_lo
	s_wait_alu 0xfffe
	s_fmamk_f32 s2, s18, 0x4f800000, s2
	v_xor_b32_e32 v10, v3, v9
	s_delay_alu instid0(VALU_DEP_2) | instskip(SKIP_2) | instid1(TRANS32_DEP_1)
	v_xor_b32_e32 v11, v4, v9
	s_wait_alu 0xfffe
	v_s_rcp_f32 s2, s2
	s_mul_f32 s2, s2, 0x5f7ffffc
	s_wait_alu 0xfffe
	s_delay_alu instid0(SALU_CYCLE_2) | instskip(SKIP_1) | instid1(SALU_CYCLE_2)
	s_mul_f32 s18, s2, 0x2f800000
	s_wait_alu 0xfffe
	s_trunc_f32 s18, s18
	s_wait_alu 0xfffe
	s_delay_alu instid0(SALU_CYCLE_2) | instskip(SKIP_2) | instid1(SALU_CYCLE_1)
	s_fmamk_f32 s2, s18, 0xcf800000, s2
	s_cvt_u32_f32 s29, s18
	s_wait_alu 0xfffe
	s_cvt_u32_f32 s28, s2
	s_wait_alu 0xfffe
	s_delay_alu instid0(SALU_CYCLE_2)
	s_mul_u64 s[34:35], s[30:31], s[28:29]
	s_wait_alu 0xfffe
	s_mul_hi_u32 s37, s28, s35
	s_mul_i32 s36, s28, s35
	s_mul_hi_u32 s18, s28, s34
	s_mul_i32 s23, s29, s34
	s_wait_alu 0xfffe
	s_add_nc_u64 s[36:37], s[18:19], s[36:37]
	s_mul_hi_u32 s2, s29, s34
	s_mul_hi_u32 s25, s29, s35
	s_wait_alu 0xfffe
	s_add_co_u32 s18, s36, s23
	s_add_co_ci_u32 s18, s37, s2
	s_mul_i32 s34, s29, s35
	s_add_co_ci_u32 s35, s25, 0
	s_wait_alu 0xfffe
	s_add_nc_u64 s[34:35], s[18:19], s[34:35]
	s_wait_alu 0xfffe
	s_add_co_u32 s28, s28, s34
	s_cselect_b32 s2, -1, 0
	s_wait_alu 0xfffe
	s_cmp_lg_u32 s2, 0
	s_add_co_ci_u32 s29, s29, s35
	s_wait_alu 0xfffe
	s_mul_u64 s[30:31], s[30:31], s[28:29]
	s_wait_alu 0xfffe
	s_mul_hi_u32 s35, s28, s31
	s_mul_i32 s34, s28, s31
	s_mul_hi_u32 s18, s28, s30
	s_mul_i32 s23, s29, s30
	s_wait_alu 0xfffe
	s_add_nc_u64 s[34:35], s[18:19], s[34:35]
	s_mul_hi_u32 s2, s29, s30
	s_mul_hi_u32 s25, s29, s31
	s_wait_alu 0xfffe
	s_add_co_u32 s18, s34, s23
	s_add_co_ci_u32 s18, s35, s2
	s_mul_i32 s30, s29, s31
	s_add_co_ci_u32 s31, s25, 0
	s_wait_alu 0xfffe
	s_add_nc_u64 s[30:31], s[18:19], s[30:31]
	s_wait_alu 0xfffe
	s_add_co_u32 s2, s28, s30
	s_cselect_b32 s18, -1, 0
	s_wait_alu 0xfffe
	v_mul_hi_u32 v12, v10, s2
	s_cmp_lg_u32 s18, 0
	v_mad_co_u64_u32 v[5:6], null, v11, s2, 0
	s_add_co_ci_u32 s18, s29, s31
	s_wait_alu 0xfffe
	v_mad_co_u64_u32 v[3:4], null, v10, s18, 0
	v_mad_co_u64_u32 v[7:8], null, v11, s18, 0
	s_delay_alu instid0(VALU_DEP_2) | instskip(SKIP_1) | instid1(VALU_DEP_3)
	v_add_co_u32 v3, vcc_lo, v12, v3
	s_wait_alu 0xfffd
	v_add_co_ci_u32_e64 v4, null, 0, v4, vcc_lo
	s_delay_alu instid0(VALU_DEP_2) | instskip(SKIP_1) | instid1(VALU_DEP_2)
	v_add_co_u32 v3, vcc_lo, v3, v5
	s_wait_alu 0xfffd
	v_add_co_ci_u32_e32 v3, vcc_lo, v4, v6, vcc_lo
	s_wait_alu 0xfffd
	v_add_co_ci_u32_e32 v4, vcc_lo, 0, v8, vcc_lo
	s_delay_alu instid0(VALU_DEP_2) | instskip(SKIP_1) | instid1(VALU_DEP_2)
	v_add_co_u32 v5, vcc_lo, v3, v7
	s_wait_alu 0xfffd
	v_add_co_ci_u32_e64 v6, null, 0, v4, vcc_lo
	s_delay_alu instid0(VALU_DEP_2) | instskip(SKIP_1) | instid1(VALU_DEP_3)
	v_mul_lo_u32 v7, s27, v5
	v_mad_co_u64_u32 v[3:4], null, s26, v5, 0
	v_mul_lo_u32 v8, s26, v6
	s_delay_alu instid0(VALU_DEP_2) | instskip(NEXT) | instid1(VALU_DEP_2)
	v_sub_co_u32 v3, vcc_lo, v10, v3
	v_add3_u32 v4, v4, v8, v7
	v_add_co_u32 v8, s2, v5, 2
	s_wait_alu 0xf1ff
	v_add_co_ci_u32_e64 v10, null, 0, v6, s2
	s_delay_alu instid0(VALU_DEP_3) | instskip(SKIP_3) | instid1(VALU_DEP_3)
	v_sub_nc_u32_e32 v7, v11, v4
	v_sub_co_u32 v12, s2, v3, s26
	s_wait_alu 0xfffd
	v_sub_co_ci_u32_e64 v4, null, v11, v4, vcc_lo
	v_subrev_co_ci_u32_e64 v7, null, s27, v7, vcc_lo
	s_delay_alu instid0(VALU_DEP_3) | instskip(SKIP_1) | instid1(VALU_DEP_2)
	v_cmp_le_u32_e32 vcc_lo, s26, v12
	s_wait_alu 0xf1ff
	v_subrev_co_ci_u32_e64 v7, null, 0, v7, s2
	s_wait_alu 0xfffd
	v_cndmask_b32_e64 v11, 0, -1, vcc_lo
	s_delay_alu instid0(VALU_DEP_2)
	v_cmp_le_u32_e32 vcc_lo, s27, v7
	s_wait_alu 0xfffd
	v_cndmask_b32_e64 v12, 0, -1, vcc_lo
	v_cmp_le_u32_e32 vcc_lo, s26, v3
	s_wait_alu 0xfffd
	v_cndmask_b32_e64 v3, 0, -1, vcc_lo
	;; [unrolled: 3-line block ×3, first 2 shown]
	v_cmp_eq_u32_e32 vcc_lo, s27, v7
	s_wait_alu 0xfffd
	v_cndmask_b32_e32 v7, v12, v11, vcc_lo
	v_add_co_u32 v11, vcc_lo, v5, 1
	s_wait_alu 0xfffd
	v_add_co_ci_u32_e64 v12, null, 0, v6, vcc_lo
	v_cmp_eq_u32_e32 vcc_lo, s27, v4
	s_wait_alu 0xfffd
	v_cndmask_b32_e32 v3, v13, v3, vcc_lo
	v_cmp_ne_u32_e32 vcc_lo, 0, v7
	v_xor_b32_e32 v7, s22, v9
	s_wait_alu 0xfffd
	v_cndmask_b32_e32 v4, v12, v10, vcc_lo
	v_cmp_ne_u32_e64 s2, 0, v3
	v_cndmask_b32_e32 v3, v11, v8, vcc_lo
	s_wait_alu 0xf1ff
	s_delay_alu instid0(VALU_DEP_2) | instskip(NEXT) | instid1(VALU_DEP_2)
	v_cndmask_b32_e64 v4, v6, v4, s2
	v_cndmask_b32_e64 v3, v5, v3, s2
	s_delay_alu instid0(VALU_DEP_2) | instskip(NEXT) | instid1(VALU_DEP_2)
	v_xor_b32_e32 v5, v4, v7
	v_xor_b32_e32 v3, v3, v7
	s_delay_alu instid0(VALU_DEP_1) | instskip(SKIP_1) | instid1(VALU_DEP_3)
	v_sub_co_u32 v4, vcc_lo, v3, v7
	s_wait_alu 0xfffd
	v_sub_co_ci_u32_e64 v5, null, v5, v7, vcc_lo
.LBB4_5:                                ;   in Loop: Header=BB4_3 Depth=1
	s_wait_alu 0xfffe
	s_and_not1_saveexec_b32 s2, s3
	s_cbranch_execz .LBB4_7
; %bb.6:                                ;   in Loop: Header=BB4_3 Depth=1
	v_mul_hi_u32 v3, v0, v26
	s_delay_alu instid0(VALU_DEP_1) | instskip(NEXT) | instid1(VALU_DEP_1)
	v_mul_lo_u32 v4, v3, s8
	v_sub_nc_u32_e32 v4, v0, v4
	s_delay_alu instid0(VALU_DEP_1) | instskip(SKIP_2) | instid1(VALU_DEP_2)
	v_subrev_nc_u32_e32 v6, s8, v4
	v_cmp_le_u32_e32 vcc_lo, s8, v4
	s_wait_alu 0xfffd
	v_dual_cndmask_b32 v4, v4, v6 :: v_dual_add_nc_u32 v5, 1, v3
	s_delay_alu instid0(VALU_DEP_1) | instskip(NEXT) | instid1(VALU_DEP_2)
	v_cndmask_b32_e32 v3, v3, v5, vcc_lo
	v_cmp_le_u32_e32 vcc_lo, s8, v4
	s_delay_alu instid0(VALU_DEP_2) | instskip(SKIP_1) | instid1(VALU_DEP_1)
	v_add_nc_u32_e32 v5, 1, v3
	s_wait_alu 0xfffd
	v_dual_cndmask_b32 v4, v3, v5 :: v_dual_mov_b32 v5, v2
.LBB4_7:                                ;   in Loop: Header=BB4_3 Depth=1
	s_wait_alu 0xfffe
	s_or_b32 exec_lo, exec_lo, s2
	s_delay_alu instid0(VALU_DEP_1) | instskip(SKIP_1) | instid1(VALU_DEP_1)
	v_or_b32_e32 v3, s15, v5
                                        ; implicit-def: $vgpr7_vgpr8
	s_mov_b32 s2, exec_lo
	v_cmpx_ne_u64_e32 0, v[2:3]
	s_wait_alu 0xfffe
	s_xor_b32 s3, exec_lo, s2
	s_cbranch_execz .LBB4_9
; %bb.8:                                ;   in Loop: Header=BB4_3 Depth=1
	s_mov_b32 s25, s24
	v_ashrrev_i32_e32 v3, 31, v5
	s_wait_alu 0xfffe
	s_add_nc_u64 s[26:27], s[14:15], s[24:25]
	s_wait_alu 0xfffe
	s_xor_b64 s[26:27], s[26:27], s[24:25]
	v_add_co_u32 v6, vcc_lo, v4, v3
	s_wait_alu 0xfffe
	s_cvt_f32_u32 s2, s26
	s_cvt_f32_u32 s18, s27
	s_sub_nc_u64 s[30:31], 0, s[26:27]
	s_wait_alu 0xfffd
	v_add_co_ci_u32_e64 v5, null, v5, v3, vcc_lo
	s_wait_alu 0xfffe
	s_fmamk_f32 s2, s18, 0x4f800000, s2
	v_xor_b32_e32 v11, v6, v3
	s_delay_alu instid0(VALU_DEP_2) | instskip(SKIP_3) | instid1(TRANS32_DEP_1)
	v_xor_b32_e32 v12, v5, v3
	s_wait_alu 0xfffe
	v_s_rcp_f32 s2, s2
	v_xor_b32_e32 v3, s24, v3
	s_mul_f32 s2, s2, 0x5f7ffffc
	s_wait_alu 0xfffe
	s_delay_alu instid0(SALU_CYCLE_2) | instskip(SKIP_1) | instid1(SALU_CYCLE_2)
	s_mul_f32 s18, s2, 0x2f800000
	s_wait_alu 0xfffe
	s_trunc_f32 s18, s18
	s_wait_alu 0xfffe
	s_delay_alu instid0(SALU_CYCLE_2) | instskip(SKIP_2) | instid1(SALU_CYCLE_1)
	s_fmamk_f32 s2, s18, 0xcf800000, s2
	s_cvt_u32_f32 s29, s18
	s_wait_alu 0xfffe
	s_cvt_u32_f32 s28, s2
	s_wait_alu 0xfffe
	s_delay_alu instid0(SALU_CYCLE_2)
	s_mul_u64 s[34:35], s[30:31], s[28:29]
	s_wait_alu 0xfffe
	s_mul_hi_u32 s37, s28, s35
	s_mul_i32 s36, s28, s35
	s_mul_hi_u32 s18, s28, s34
	s_mul_i32 s23, s29, s34
	s_wait_alu 0xfffe
	s_add_nc_u64 s[36:37], s[18:19], s[36:37]
	s_mul_hi_u32 s2, s29, s34
	s_mul_hi_u32 s25, s29, s35
	s_wait_alu 0xfffe
	s_add_co_u32 s18, s36, s23
	s_add_co_ci_u32 s18, s37, s2
	s_mul_i32 s34, s29, s35
	s_add_co_ci_u32 s35, s25, 0
	s_wait_alu 0xfffe
	s_add_nc_u64 s[34:35], s[18:19], s[34:35]
	s_wait_alu 0xfffe
	s_add_co_u32 s28, s28, s34
	s_cselect_b32 s2, -1, 0
	s_wait_alu 0xfffe
	s_cmp_lg_u32 s2, 0
	s_add_co_ci_u32 s29, s29, s35
	s_wait_alu 0xfffe
	s_mul_u64 s[30:31], s[30:31], s[28:29]
	s_wait_alu 0xfffe
	s_mul_hi_u32 s35, s28, s31
	s_mul_i32 s34, s28, s31
	s_mul_hi_u32 s18, s28, s30
	s_mul_i32 s23, s29, s30
	s_wait_alu 0xfffe
	s_add_nc_u64 s[34:35], s[18:19], s[34:35]
	s_mul_hi_u32 s2, s29, s30
	s_mul_hi_u32 s25, s29, s31
	s_wait_alu 0xfffe
	s_add_co_u32 s18, s34, s23
	s_add_co_ci_u32 s18, s35, s2
	s_mul_i32 s30, s29, s31
	s_add_co_ci_u32 s31, s25, 0
	s_wait_alu 0xfffe
	s_add_nc_u64 s[30:31], s[18:19], s[30:31]
	s_wait_alu 0xfffe
	s_add_co_u32 s2, s28, s30
	s_cselect_b32 s18, -1, 0
	s_wait_alu 0xfffe
	v_mul_hi_u32 v13, v11, s2
	s_cmp_lg_u32 s18, 0
	v_mad_co_u64_u32 v[7:8], null, v12, s2, 0
	s_add_co_ci_u32 s18, s29, s31
	s_wait_alu 0xfffe
	v_mad_co_u64_u32 v[5:6], null, v11, s18, 0
	v_mad_co_u64_u32 v[9:10], null, v12, s18, 0
	s_delay_alu instid0(VALU_DEP_2) | instskip(SKIP_1) | instid1(VALU_DEP_3)
	v_add_co_u32 v5, vcc_lo, v13, v5
	s_wait_alu 0xfffd
	v_add_co_ci_u32_e64 v6, null, 0, v6, vcc_lo
	s_delay_alu instid0(VALU_DEP_2) | instskip(SKIP_1) | instid1(VALU_DEP_2)
	v_add_co_u32 v5, vcc_lo, v5, v7
	s_wait_alu 0xfffd
	v_add_co_ci_u32_e32 v5, vcc_lo, v6, v8, vcc_lo
	s_wait_alu 0xfffd
	v_add_co_ci_u32_e32 v6, vcc_lo, 0, v10, vcc_lo
	s_delay_alu instid0(VALU_DEP_2) | instskip(SKIP_1) | instid1(VALU_DEP_2)
	v_add_co_u32 v7, vcc_lo, v5, v9
	s_wait_alu 0xfffd
	v_add_co_ci_u32_e64 v8, null, 0, v6, vcc_lo
	s_delay_alu instid0(VALU_DEP_2) | instskip(SKIP_1) | instid1(VALU_DEP_3)
	v_mul_lo_u32 v9, s27, v7
	v_mad_co_u64_u32 v[5:6], null, s26, v7, 0
	v_mul_lo_u32 v10, s26, v8
	s_delay_alu instid0(VALU_DEP_2) | instskip(NEXT) | instid1(VALU_DEP_2)
	v_sub_co_u32 v5, vcc_lo, v11, v5
	v_add3_u32 v6, v6, v10, v9
	v_add_co_u32 v10, s2, v7, 2
	s_wait_alu 0xf1ff
	v_add_co_ci_u32_e64 v11, null, 0, v8, s2
	s_delay_alu instid0(VALU_DEP_3) | instskip(SKIP_3) | instid1(VALU_DEP_3)
	v_sub_nc_u32_e32 v9, v12, v6
	v_sub_co_u32 v13, s2, v5, s26
	s_wait_alu 0xfffd
	v_sub_co_ci_u32_e64 v6, null, v12, v6, vcc_lo
	v_subrev_co_ci_u32_e64 v9, null, s27, v9, vcc_lo
	s_delay_alu instid0(VALU_DEP_3) | instskip(SKIP_1) | instid1(VALU_DEP_2)
	v_cmp_le_u32_e32 vcc_lo, s26, v13
	s_wait_alu 0xf1ff
	v_subrev_co_ci_u32_e64 v9, null, 0, v9, s2
	s_wait_alu 0xfffd
	v_cndmask_b32_e64 v12, 0, -1, vcc_lo
	s_delay_alu instid0(VALU_DEP_2)
	v_cmp_le_u32_e32 vcc_lo, s27, v9
	s_wait_alu 0xfffd
	v_cndmask_b32_e64 v13, 0, -1, vcc_lo
	v_cmp_le_u32_e32 vcc_lo, s26, v5
	s_wait_alu 0xfffd
	v_cndmask_b32_e64 v5, 0, -1, vcc_lo
	;; [unrolled: 3-line block ×3, first 2 shown]
	v_cmp_eq_u32_e32 vcc_lo, s27, v9
	s_wait_alu 0xfffd
	v_cndmask_b32_e32 v9, v13, v12, vcc_lo
	v_add_co_u32 v12, vcc_lo, v7, 1
	s_wait_alu 0xfffd
	v_add_co_ci_u32_e64 v13, null, 0, v8, vcc_lo
	v_cmp_eq_u32_e32 vcc_lo, s27, v6
	s_wait_alu 0xfffd
	v_cndmask_b32_e32 v5, v14, v5, vcc_lo
	v_cmp_ne_u32_e32 vcc_lo, 0, v9
	s_wait_alu 0xfffd
	v_cndmask_b32_e32 v6, v13, v11, vcc_lo
	s_delay_alu instid0(VALU_DEP_3) | instskip(SKIP_2) | instid1(VALU_DEP_2)
	v_cmp_ne_u32_e64 s2, 0, v5
	v_cndmask_b32_e32 v5, v12, v10, vcc_lo
	s_wait_alu 0xf1ff
	v_cndmask_b32_e64 v6, v8, v6, s2
	s_delay_alu instid0(VALU_DEP_2) | instskip(NEXT) | instid1(VALU_DEP_2)
	v_cndmask_b32_e64 v5, v7, v5, s2
	v_xor_b32_e32 v6, v6, v3
	s_delay_alu instid0(VALU_DEP_2) | instskip(NEXT) | instid1(VALU_DEP_1)
	v_xor_b32_e32 v5, v5, v3
	v_sub_co_u32 v7, vcc_lo, v5, v3
	s_wait_alu 0xfffd
	s_delay_alu instid0(VALU_DEP_3)
	v_sub_co_ci_u32_e64 v8, null, v6, v3, vcc_lo
.LBB4_9:                                ;   in Loop: Header=BB4_3 Depth=1
	s_wait_alu 0xfffe
	s_and_not1_saveexec_b32 s2, s3
	s_cbranch_execz .LBB4_11
; %bb.10:                               ;   in Loop: Header=BB4_3 Depth=1
	s_sub_co_i32 s3, 0, s14
	v_mov_b32_e32 v8, v2
	s_wait_alu 0xfffe
	v_mul_lo_u32 v3, s3, v25
	s_delay_alu instid0(VALU_DEP_1) | instskip(NEXT) | instid1(VALU_DEP_1)
	v_mul_hi_u32 v3, v25, v3
	v_add_nc_u32_e32 v3, v25, v3
	s_delay_alu instid0(VALU_DEP_1) | instskip(NEXT) | instid1(VALU_DEP_1)
	v_mul_hi_u32 v3, v4, v3
	v_mul_lo_u32 v5, v3, s14
	v_add_nc_u32_e32 v6, 1, v3
	s_delay_alu instid0(VALU_DEP_2) | instskip(NEXT) | instid1(VALU_DEP_1)
	v_sub_nc_u32_e32 v5, v4, v5
	v_subrev_nc_u32_e32 v7, s14, v5
	v_cmp_le_u32_e32 vcc_lo, s14, v5
	s_wait_alu 0xfffd
	s_delay_alu instid0(VALU_DEP_2) | instskip(SKIP_1) | instid1(VALU_DEP_2)
	v_cndmask_b32_e32 v5, v5, v7, vcc_lo
	v_cndmask_b32_e32 v3, v3, v6, vcc_lo
	v_cmp_le_u32_e32 vcc_lo, s14, v5
	s_delay_alu instid0(VALU_DEP_2) | instskip(SKIP_1) | instid1(VALU_DEP_1)
	v_add_nc_u32_e32 v6, 1, v3
	s_wait_alu 0xfffd
	v_cndmask_b32_e32 v7, v3, v6, vcc_lo
.LBB4_11:                               ;   in Loop: Header=BB4_3 Depth=1
	s_wait_alu 0xfffe
	s_or_b32 exec_lo, exec_lo, s2
	v_mad_co_u64_u32 v[5:6], null, v4, s8, 0
	s_delay_alu instid0(VALU_DEP_2) | instskip(SKIP_3) | instid1(VALU_DEP_1)
	v_mad_co_u64_u32 v[9:10], null, v7, s14, 0
	s_mov_b32 s23, exec_lo
	v_sub_co_u32 v28, null, v0, v5
	v_sub_co_u32 v27, null, v4, v9
	v_sub_nc_u32_e32 v6, v28, v27
	s_delay_alu instid0(VALU_DEP_1) | instskip(NEXT) | instid1(VALU_DEP_1)
	v_add_nc_u32_e32 v3, 4, v6
	v_ashrrev_i32_e32 v4, 31, v3
	s_delay_alu instid0(VALU_DEP_1)
	v_cmpx_lt_i64_e64 s[4:5], v[3:4]
	s_cbranch_execz .LBB4_2
; %bb.12:                               ;   in Loop: Header=BB4_3 Depth=1
	s_load_b64 s[2:3], s[20:21], 0x64
	s_and_not1_b32 vcc_lo, exec_lo, s56
	s_wait_kmcnt 0x0
	v_mul_lo_u32 v3, s3, v28
	s_delay_alu instid0(VALU_DEP_1)
	v_mad_co_u64_u32 v[4:5], null, s2, v27, v[3:4]
	s_wait_alu 0xfffe
	s_cbranch_vccnz .LBB4_56
; %bb.13:                               ;   in Loop: Header=BB4_3 Depth=1
	s_mov_b32 s25, s52
	s_and_not1_b32 vcc_lo, exec_lo, s54
	s_mov_b32 s18, s33
	s_mov_b32 s2, s33
	s_wait_alu 0xfffe
	s_cbranch_vccz .LBB4_16
; %bb.14:                               ;   in Loop: Header=BB4_3 Depth=1
	s_and_not1_b32 vcc_lo, exec_lo, s55
	s_wait_alu 0xfffe
	s_cbranch_vccz .LBB4_21
	s_branch .LBB4_56
.LBB4_15:                               ;   in Loop: Header=BB4_16 Depth=2
	s_wait_alu 0xfffe
	s_or_b32 exec_lo, exec_lo, s2
	s_add_nc_u64 s[26:27], s[0:1], s[26:27]
	v_mul_lo_u32 v3, v9, s28
	s_load_b32 s2, s[26:27], 0x6c
	s_add_co_i32 s25, s25, -1
	s_add_co_i32 s18, s18, -1
	s_wait_alu 0xfffe
	s_cmp_lg_u32 s25, 0
	s_delay_alu instid0(VALU_DEP_1) | instskip(SKIP_2) | instid1(VALU_DEP_2)
	v_sub_nc_u32_e32 v3, v7, v3
	v_dual_mov_b32 v7, v9 :: v_dual_mov_b32 v8, v10
	s_wait_kmcnt 0x0
	v_mad_co_u64_u32 v[4:5], null, s2, v3, v[4:5]
	s_cbranch_scc0 .LBB4_20
.LBB4_16:                               ;   Parent Loop BB4_3 Depth=1
                                        ; =>  This Inner Loop Header: Depth=2
	s_lshl_b64 s[26:27], s[18:19], 2
                                        ; implicit-def: $vgpr9_vgpr10
	s_mov_b32 s2, exec_lo
	s_wait_alu 0xfffe
	s_add_nc_u64 s[28:29], s[10:11], s[26:27]
	s_load_b32 s28, s[28:29], 0x8
	s_wait_kmcnt 0x0
	s_ashr_i32 s29, s28, 31
	s_wait_alu 0xfffe
	v_or_b32_e32 v3, s29, v8
	s_delay_alu instid0(VALU_DEP_1)
	v_cmpx_ne_u64_e32 0, v[2:3]
	s_xor_b32 s36, exec_lo, s2
	s_cbranch_execz .LBB4_18
; %bb.17:                               ;   in Loop: Header=BB4_16 Depth=2
	s_ashr_i32 s30, s29, 31
	s_mov_b32 s43, s19
	s_wait_alu 0xfffe
	s_mov_b32 s31, s30
	s_mov_b32 s47, s19
	s_wait_alu 0xfffe
	s_add_nc_u64 s[34:35], s[28:29], s[30:31]
	v_ashrrev_i32_e32 v3, 31, v8
	s_wait_alu 0xfffe
	s_xor_b64 s[34:35], s[34:35], s[30:31]
	s_wait_alu 0xfffe
	s_cvt_f32_u32 s2, s34
	s_cvt_f32_u32 s29, s35
	s_sub_nc_u64 s[40:41], 0, s[34:35]
	v_add_co_u32 v5, vcc_lo, v7, v3
	s_wait_alu 0xfffe
	s_fmamk_f32 s2, s29, 0x4f800000, s2
	s_wait_alu 0xfffd
	v_add_co_ci_u32_e64 v8, null, v8, v3, vcc_lo
	v_xor_b32_e32 v5, v5, v3
	s_wait_alu 0xfffe
	v_s_rcp_f32 s2, s2
	s_delay_alu instid0(VALU_DEP_2) | instskip(SKIP_1) | instid1(TRANS32_DEP_1)
	v_xor_b32_e32 v14, v8, v3
	v_xor_b32_e32 v3, s30, v3
	s_mul_f32 s2, s2, 0x5f7ffffc
	s_wait_alu 0xfffe
	s_delay_alu instid0(SALU_CYCLE_2) | instskip(SKIP_1) | instid1(SALU_CYCLE_2)
	s_mul_f32 s29, s2, 0x2f800000
	s_wait_alu 0xfffe
	s_trunc_f32 s29, s29
	s_wait_alu 0xfffe
	s_delay_alu instid0(SALU_CYCLE_2) | instskip(SKIP_2) | instid1(SALU_CYCLE_1)
	s_fmamk_f32 s2, s29, 0xcf800000, s2
	s_cvt_u32_f32 s39, s29
	s_wait_alu 0xfffe
	s_cvt_u32_f32 s38, s2
	s_wait_alu 0xfffe
	s_delay_alu instid0(SALU_CYCLE_2)
	s_mul_u64 s[44:45], s[40:41], s[38:39]
	s_wait_alu 0xfffe
	s_mul_hi_u32 s49, s38, s45
	s_mul_i32 s48, s38, s45
	s_mul_hi_u32 s42, s38, s44
	s_mul_i32 s29, s39, s44
	s_wait_alu 0xfffe
	s_add_nc_u64 s[42:43], s[42:43], s[48:49]
	s_mul_hi_u32 s2, s39, s44
	s_mul_hi_u32 s31, s39, s45
	s_wait_alu 0xfffe
	s_add_co_u32 s29, s42, s29
	s_add_co_ci_u32 s46, s43, s2
	s_mul_i32 s44, s39, s45
	s_add_co_ci_u32 s45, s31, 0
	s_wait_alu 0xfffe
	s_add_nc_u64 s[42:43], s[46:47], s[44:45]
	s_mov_b32 s45, s19
	s_wait_alu 0xfffe
	s_add_co_u32 s38, s38, s42
	s_cselect_b32 s2, -1, 0
	s_wait_alu 0xfffe
	s_cmp_lg_u32 s2, 0
	s_add_co_ci_u32 s39, s39, s43
	s_mov_b32 s43, s19
	s_wait_alu 0xfffe
	s_mul_u64 s[40:41], s[40:41], s[38:39]
	s_wait_alu 0xfffe
	s_mul_hi_u32 s47, s38, s41
	s_mul_i32 s46, s38, s41
	s_mul_hi_u32 s44, s38, s40
	s_mul_i32 s29, s39, s40
	s_wait_alu 0xfffe
	s_add_nc_u64 s[44:45], s[44:45], s[46:47]
	s_mul_hi_u32 s2, s39, s40
	s_mul_hi_u32 s31, s39, s41
	s_wait_alu 0xfffe
	s_add_co_u32 s29, s44, s29
	s_add_co_ci_u32 s42, s45, s2
	s_mul_i32 s40, s39, s41
	s_add_co_ci_u32 s41, s31, 0
	s_wait_alu 0xfffe
	s_add_nc_u64 s[40:41], s[42:43], s[40:41]
	s_wait_alu 0xfffe
	s_add_co_u32 s2, s38, s40
	s_cselect_b32 s29, -1, 0
	s_wait_alu 0xfffe
	v_mul_hi_u32 v15, v5, s2
	s_cmp_lg_u32 s29, 0
	v_mad_co_u64_u32 v[10:11], null, v14, s2, 0
	s_add_co_ci_u32 s29, s39, s41
	s_wait_alu 0xfffe
	v_mad_co_u64_u32 v[8:9], null, v5, s29, 0
	v_mad_co_u64_u32 v[12:13], null, v14, s29, 0
	s_delay_alu instid0(VALU_DEP_2) | instskip(SKIP_1) | instid1(VALU_DEP_3)
	v_add_co_u32 v8, vcc_lo, v15, v8
	s_wait_alu 0xfffd
	v_add_co_ci_u32_e64 v9, null, 0, v9, vcc_lo
	s_delay_alu instid0(VALU_DEP_2) | instskip(SKIP_1) | instid1(VALU_DEP_2)
	v_add_co_u32 v8, vcc_lo, v8, v10
	s_wait_alu 0xfffd
	v_add_co_ci_u32_e32 v8, vcc_lo, v9, v11, vcc_lo
	s_wait_alu 0xfffd
	v_add_co_ci_u32_e32 v9, vcc_lo, 0, v13, vcc_lo
	s_delay_alu instid0(VALU_DEP_2) | instskip(SKIP_1) | instid1(VALU_DEP_2)
	v_add_co_u32 v10, vcc_lo, v8, v12
	s_wait_alu 0xfffd
	v_add_co_ci_u32_e64 v11, null, 0, v9, vcc_lo
	s_delay_alu instid0(VALU_DEP_2) | instskip(SKIP_1) | instid1(VALU_DEP_3)
	v_mul_lo_u32 v12, s35, v10
	v_mad_co_u64_u32 v[8:9], null, s34, v10, 0
	v_mul_lo_u32 v13, s34, v11
	s_delay_alu instid0(VALU_DEP_2) | instskip(NEXT) | instid1(VALU_DEP_2)
	v_sub_co_u32 v5, vcc_lo, v5, v8
	v_add3_u32 v9, v9, v13, v12
	s_delay_alu instid0(VALU_DEP_1) | instskip(SKIP_2) | instid1(VALU_DEP_2)
	v_sub_nc_u32_e32 v12, v14, v9
	s_wait_alu 0xfffd
	v_sub_co_ci_u32_e64 v9, null, v14, v9, vcc_lo
	v_subrev_co_ci_u32_e64 v8, null, s35, v12, vcc_lo
	v_add_co_u32 v12, s2, v10, 2
	s_wait_alu 0xf1ff
	v_add_co_ci_u32_e64 v13, null, 0, v11, s2
	v_sub_co_u32 v15, s2, v5, s34
	s_wait_alu 0xf1ff
	v_subrev_co_ci_u32_e64 v8, null, 0, v8, s2
	s_delay_alu instid0(VALU_DEP_2) | instskip(SKIP_2) | instid1(VALU_DEP_3)
	v_cmp_le_u32_e32 vcc_lo, s34, v15
	s_wait_alu 0xfffd
	v_cndmask_b32_e64 v14, 0, -1, vcc_lo
	v_cmp_le_u32_e32 vcc_lo, s35, v8
	s_wait_alu 0xfffd
	v_cndmask_b32_e64 v15, 0, -1, vcc_lo
	;; [unrolled: 3-line block ×4, first 2 shown]
	v_cmp_eq_u32_e32 vcc_lo, s35, v8
	s_wait_alu 0xfffd
	v_cndmask_b32_e32 v8, v15, v14, vcc_lo
	v_add_co_u32 v14, vcc_lo, v10, 1
	s_wait_alu 0xfffd
	v_add_co_ci_u32_e64 v15, null, 0, v11, vcc_lo
	v_cmp_eq_u32_e32 vcc_lo, s35, v9
	s_wait_alu 0xfffd
	v_cndmask_b32_e32 v5, v16, v5, vcc_lo
	v_cmp_ne_u32_e32 vcc_lo, 0, v8
	s_delay_alu instid0(VALU_DEP_2) | instskip(SKIP_3) | instid1(VALU_DEP_1)
	v_cmp_ne_u32_e64 s2, 0, v5
	s_wait_alu 0xfffd
	v_dual_cndmask_b32 v8, v15, v13 :: v_dual_cndmask_b32 v5, v14, v12
	s_wait_alu 0xf1ff
	v_cndmask_b32_e64 v8, v11, v8, s2
	s_delay_alu instid0(VALU_DEP_2) | instskip(NEXT) | instid1(VALU_DEP_2)
	v_cndmask_b32_e64 v5, v10, v5, s2
	v_xor_b32_e32 v8, v8, v3
	s_delay_alu instid0(VALU_DEP_2) | instskip(NEXT) | instid1(VALU_DEP_1)
	v_xor_b32_e32 v5, v5, v3
	v_sub_co_u32 v9, vcc_lo, v5, v3
	s_wait_alu 0xfffd
	s_delay_alu instid0(VALU_DEP_3)
	v_sub_co_ci_u32_e64 v10, null, v8, v3, vcc_lo
.LBB4_18:                               ;   in Loop: Header=BB4_16 Depth=2
	s_wait_alu 0xfffe
	s_and_not1_saveexec_b32 s2, s36
	s_cbranch_execz .LBB4_15
; %bb.19:                               ;   in Loop: Header=BB4_16 Depth=2
	v_cvt_f32_u32_e32 v3, s28
	s_sub_co_i32 s29, 0, s28
	v_mov_b32_e32 v10, v2
	s_delay_alu instid0(VALU_DEP_2) | instskip(NEXT) | instid1(TRANS32_DEP_1)
	v_rcp_iflag_f32_e32 v3, v3
	v_mul_f32_e32 v3, 0x4f7ffffe, v3
	s_delay_alu instid0(VALU_DEP_1) | instskip(SKIP_1) | instid1(VALU_DEP_1)
	v_cvt_u32_f32_e32 v3, v3
	s_wait_alu 0xfffe
	v_mul_lo_u32 v5, s29, v3
	s_delay_alu instid0(VALU_DEP_1) | instskip(NEXT) | instid1(VALU_DEP_1)
	v_mul_hi_u32 v5, v3, v5
	v_add_nc_u32_e32 v3, v3, v5
	s_delay_alu instid0(VALU_DEP_1) | instskip(NEXT) | instid1(VALU_DEP_1)
	v_mul_hi_u32 v3, v7, v3
	v_mul_lo_u32 v5, v3, s28
	s_delay_alu instid0(VALU_DEP_1) | instskip(NEXT) | instid1(VALU_DEP_1)
	v_sub_nc_u32_e32 v5, v7, v5
	v_subrev_nc_u32_e32 v9, s28, v5
	v_cmp_le_u32_e32 vcc_lo, s28, v5
	s_wait_alu 0xfffd
	s_delay_alu instid0(VALU_DEP_2) | instskip(NEXT) | instid1(VALU_DEP_1)
	v_dual_cndmask_b32 v5, v5, v9 :: v_dual_add_nc_u32 v8, 1, v3
	v_cndmask_b32_e32 v3, v3, v8, vcc_lo
	s_delay_alu instid0(VALU_DEP_2) | instskip(NEXT) | instid1(VALU_DEP_2)
	v_cmp_le_u32_e32 vcc_lo, s28, v5
	v_add_nc_u32_e32 v8, 1, v3
	s_wait_alu 0xfffd
	s_delay_alu instid0(VALU_DEP_1)
	v_cndmask_b32_e32 v9, v3, v8, vcc_lo
	s_branch .LBB4_15
.LBB4_20:                               ;   in Loop: Header=BB4_3 Depth=1
	s_mov_b32 s2, s18
	s_and_not1_b32 vcc_lo, exec_lo, s55
	s_wait_alu 0xfffe
	s_cbranch_vccnz .LBB4_56
.LBB4_21:                               ;   in Loop: Header=BB4_3 Depth=1
	s_add_co_i32 s26, s2, -7
.LBB4_22:                               ;   Parent Loop BB4_3 Depth=1
                                        ; =>  This Inner Loop Header: Depth=2
	s_wait_alu 0xfffe
	s_add_co_i32 s18, s26, 7
                                        ; implicit-def: $vgpr9_vgpr10
	s_mov_b32 s2, exec_lo
	s_wait_alu 0xfffe
	s_lshl_b64 s[34:35], s[18:19], 2
	s_wait_alu 0xfffe
	s_add_nc_u64 s[28:29], s[10:11], s[34:35]
	s_load_b32 s28, s[28:29], 0x8
	s_wait_kmcnt 0x0
	s_ashr_i32 s29, s28, 31
	s_wait_alu 0xfffe
	v_or_b32_e32 v3, s29, v8
	s_delay_alu instid0(VALU_DEP_1)
	v_cmpx_ne_u64_e32 0, v[2:3]
	s_xor_b32 s25, exec_lo, s2
	s_cbranch_execz .LBB4_24
; %bb.23:                               ;   in Loop: Header=BB4_22 Depth=2
	s_ashr_i32 s30, s29, 31
	v_ashrrev_i32_e32 v3, 31, v8
	s_wait_alu 0xfffe
	s_mov_b32 s31, s30
	s_wait_alu 0xfffe
	s_add_nc_u64 s[36:37], s[28:29], s[30:31]
	v_add_co_u32 v5, vcc_lo, v7, v3
	s_wait_alu 0xfffe
	s_xor_b64 s[36:37], s[36:37], s[30:31]
	s_wait_alu 0xfffd
	v_add_co_ci_u32_e64 v8, null, v8, v3, vcc_lo
	s_wait_alu 0xfffe
	s_cvt_f32_u32 s2, s36
	s_cvt_f32_u32 s18, s37
	s_sub_nc_u64 s[40:41], 0, s[36:37]
	v_xor_b32_e32 v5, v5, v3
	v_xor_b32_e32 v14, v8, v3
	s_wait_alu 0xfffe
	s_fmamk_f32 s2, s18, 0x4f800000, s2
	v_xor_b32_e32 v3, s30, v3
	s_wait_alu 0xfffe
	s_delay_alu instid0(SALU_CYCLE_1) | instskip(NEXT) | instid1(TRANS32_DEP_1)
	v_s_rcp_f32 s2, s2
	s_mul_f32 s2, s2, 0x5f7ffffc
	s_wait_alu 0xfffe
	s_delay_alu instid0(SALU_CYCLE_2) | instskip(SKIP_1) | instid1(SALU_CYCLE_2)
	s_mul_f32 s18, s2, 0x2f800000
	s_wait_alu 0xfffe
	s_trunc_f32 s18, s18
	s_wait_alu 0xfffe
	s_delay_alu instid0(SALU_CYCLE_2) | instskip(SKIP_2) | instid1(SALU_CYCLE_1)
	s_fmamk_f32 s2, s18, 0xcf800000, s2
	s_cvt_u32_f32 s39, s18
	s_wait_alu 0xfffe
	s_cvt_u32_f32 s38, s2
	s_wait_alu 0xfffe
	s_delay_alu instid0(SALU_CYCLE_2)
	s_mul_u64 s[42:43], s[40:41], s[38:39]
	s_wait_alu 0xfffe
	s_mul_hi_u32 s45, s38, s43
	s_mul_i32 s44, s38, s43
	s_mul_hi_u32 s18, s38, s42
	s_mul_i32 s27, s39, s42
	s_wait_alu 0xfffe
	s_add_nc_u64 s[44:45], s[18:19], s[44:45]
	s_mul_hi_u32 s2, s39, s42
	s_mul_hi_u32 s29, s39, s43
	s_wait_alu 0xfffe
	s_add_co_u32 s18, s44, s27
	s_add_co_ci_u32 s18, s45, s2
	s_mul_i32 s42, s39, s43
	s_add_co_ci_u32 s43, s29, 0
	s_wait_alu 0xfffe
	s_add_nc_u64 s[42:43], s[18:19], s[42:43]
	s_wait_alu 0xfffe
	s_add_co_u32 s38, s38, s42
	s_cselect_b32 s2, -1, 0
	s_wait_alu 0xfffe
	s_cmp_lg_u32 s2, 0
	s_add_co_ci_u32 s39, s39, s43
	s_wait_alu 0xfffe
	s_mul_u64 s[40:41], s[40:41], s[38:39]
	s_wait_alu 0xfffe
	s_mul_hi_u32 s43, s38, s41
	s_mul_i32 s42, s38, s41
	s_mul_hi_u32 s18, s38, s40
	s_mul_i32 s27, s39, s40
	s_wait_alu 0xfffe
	s_add_nc_u64 s[42:43], s[18:19], s[42:43]
	s_mul_hi_u32 s2, s39, s40
	s_mul_hi_u32 s29, s39, s41
	s_wait_alu 0xfffe
	s_add_co_u32 s18, s42, s27
	s_add_co_ci_u32 s18, s43, s2
	s_mul_i32 s40, s39, s41
	s_add_co_ci_u32 s41, s29, 0
	s_wait_alu 0xfffe
	s_add_nc_u64 s[40:41], s[18:19], s[40:41]
	s_wait_alu 0xfffe
	s_add_co_u32 s2, s38, s40
	s_cselect_b32 s18, -1, 0
	s_wait_alu 0xfffe
	v_mul_hi_u32 v15, v5, s2
	s_cmp_lg_u32 s18, 0
	v_mad_co_u64_u32 v[10:11], null, v14, s2, 0
	s_add_co_ci_u32 s18, s39, s41
	s_wait_alu 0xfffe
	v_mad_co_u64_u32 v[8:9], null, v5, s18, 0
	v_mad_co_u64_u32 v[12:13], null, v14, s18, 0
	s_delay_alu instid0(VALU_DEP_2) | instskip(SKIP_1) | instid1(VALU_DEP_3)
	v_add_co_u32 v8, vcc_lo, v15, v8
	s_wait_alu 0xfffd
	v_add_co_ci_u32_e64 v9, null, 0, v9, vcc_lo
	s_delay_alu instid0(VALU_DEP_2) | instskip(SKIP_1) | instid1(VALU_DEP_2)
	v_add_co_u32 v8, vcc_lo, v8, v10
	s_wait_alu 0xfffd
	v_add_co_ci_u32_e32 v8, vcc_lo, v9, v11, vcc_lo
	s_wait_alu 0xfffd
	v_add_co_ci_u32_e32 v9, vcc_lo, 0, v13, vcc_lo
	s_delay_alu instid0(VALU_DEP_2) | instskip(SKIP_1) | instid1(VALU_DEP_2)
	v_add_co_u32 v10, vcc_lo, v8, v12
	s_wait_alu 0xfffd
	v_add_co_ci_u32_e64 v11, null, 0, v9, vcc_lo
	s_delay_alu instid0(VALU_DEP_2) | instskip(SKIP_1) | instid1(VALU_DEP_3)
	v_mul_lo_u32 v12, s37, v10
	v_mad_co_u64_u32 v[8:9], null, s36, v10, 0
	v_mul_lo_u32 v13, s36, v11
	s_delay_alu instid0(VALU_DEP_2) | instskip(NEXT) | instid1(VALU_DEP_2)
	v_sub_co_u32 v5, vcc_lo, v5, v8
	v_add3_u32 v9, v9, v13, v12
	s_delay_alu instid0(VALU_DEP_1) | instskip(SKIP_2) | instid1(VALU_DEP_2)
	v_sub_nc_u32_e32 v12, v14, v9
	s_wait_alu 0xfffd
	v_sub_co_ci_u32_e64 v9, null, v14, v9, vcc_lo
	v_subrev_co_ci_u32_e64 v8, null, s37, v12, vcc_lo
	v_add_co_u32 v12, s2, v10, 2
	s_wait_alu 0xf1ff
	v_add_co_ci_u32_e64 v13, null, 0, v11, s2
	v_sub_co_u32 v15, s2, v5, s36
	s_wait_alu 0xf1ff
	v_subrev_co_ci_u32_e64 v8, null, 0, v8, s2
	s_delay_alu instid0(VALU_DEP_2) | instskip(SKIP_2) | instid1(VALU_DEP_3)
	v_cmp_le_u32_e32 vcc_lo, s36, v15
	s_wait_alu 0xfffd
	v_cndmask_b32_e64 v14, 0, -1, vcc_lo
	v_cmp_le_u32_e32 vcc_lo, s37, v8
	s_wait_alu 0xfffd
	v_cndmask_b32_e64 v15, 0, -1, vcc_lo
	;; [unrolled: 3-line block ×4, first 2 shown]
	v_cmp_eq_u32_e32 vcc_lo, s37, v8
	s_wait_alu 0xfffd
	v_cndmask_b32_e32 v8, v15, v14, vcc_lo
	v_add_co_u32 v14, vcc_lo, v10, 1
	s_wait_alu 0xfffd
	v_add_co_ci_u32_e64 v15, null, 0, v11, vcc_lo
	v_cmp_eq_u32_e32 vcc_lo, s37, v9
	s_wait_alu 0xfffd
	v_cndmask_b32_e32 v5, v16, v5, vcc_lo
	v_cmp_ne_u32_e32 vcc_lo, 0, v8
	s_delay_alu instid0(VALU_DEP_2) | instskip(SKIP_3) | instid1(VALU_DEP_1)
	v_cmp_ne_u32_e64 s2, 0, v5
	s_wait_alu 0xfffd
	v_dual_cndmask_b32 v8, v15, v13 :: v_dual_cndmask_b32 v5, v14, v12
	s_wait_alu 0xf1ff
	v_cndmask_b32_e64 v8, v11, v8, s2
	s_delay_alu instid0(VALU_DEP_2) | instskip(NEXT) | instid1(VALU_DEP_2)
	v_cndmask_b32_e64 v5, v10, v5, s2
	v_xor_b32_e32 v8, v8, v3
	s_delay_alu instid0(VALU_DEP_2) | instskip(NEXT) | instid1(VALU_DEP_1)
	v_xor_b32_e32 v5, v5, v3
	v_sub_co_u32 v9, vcc_lo, v5, v3
	s_wait_alu 0xfffd
	s_delay_alu instid0(VALU_DEP_3)
	v_sub_co_ci_u32_e64 v10, null, v8, v3, vcc_lo
.LBB4_24:                               ;   in Loop: Header=BB4_22 Depth=2
	s_wait_alu 0xfffe
	s_and_not1_saveexec_b32 s2, s25
	s_cbranch_execz .LBB4_26
; %bb.25:                               ;   in Loop: Header=BB4_22 Depth=2
	v_cvt_f32_u32_e32 v3, s28
	s_sub_co_i32 s18, 0, s28
	v_mov_b32_e32 v10, v2
	s_delay_alu instid0(VALU_DEP_2) | instskip(NEXT) | instid1(TRANS32_DEP_1)
	v_rcp_iflag_f32_e32 v3, v3
	v_mul_f32_e32 v3, 0x4f7ffffe, v3
	s_delay_alu instid0(VALU_DEP_1) | instskip(SKIP_1) | instid1(VALU_DEP_1)
	v_cvt_u32_f32_e32 v3, v3
	s_wait_alu 0xfffe
	v_mul_lo_u32 v5, s18, v3
	s_delay_alu instid0(VALU_DEP_1) | instskip(NEXT) | instid1(VALU_DEP_1)
	v_mul_hi_u32 v5, v3, v5
	v_add_nc_u32_e32 v3, v3, v5
	s_delay_alu instid0(VALU_DEP_1) | instskip(NEXT) | instid1(VALU_DEP_1)
	v_mul_hi_u32 v3, v7, v3
	v_mul_lo_u32 v5, v3, s28
	s_delay_alu instid0(VALU_DEP_1) | instskip(NEXT) | instid1(VALU_DEP_1)
	v_sub_nc_u32_e32 v5, v7, v5
	v_subrev_nc_u32_e32 v9, s28, v5
	v_cmp_le_u32_e32 vcc_lo, s28, v5
	s_wait_alu 0xfffd
	s_delay_alu instid0(VALU_DEP_2) | instskip(NEXT) | instid1(VALU_DEP_1)
	v_dual_cndmask_b32 v5, v5, v9 :: v_dual_add_nc_u32 v8, 1, v3
	v_cndmask_b32_e32 v3, v3, v8, vcc_lo
	s_delay_alu instid0(VALU_DEP_2) | instskip(NEXT) | instid1(VALU_DEP_2)
	v_cmp_le_u32_e32 vcc_lo, s28, v5
	v_add_nc_u32_e32 v8, 1, v3
	s_wait_alu 0xfffd
	s_delay_alu instid0(VALU_DEP_1)
	v_cndmask_b32_e32 v9, v3, v8, vcc_lo
.LBB4_26:                               ;   in Loop: Header=BB4_22 Depth=2
	s_wait_alu 0xfffe
	s_or_b32 exec_lo, exec_lo, s2
	s_add_co_i32 s18, s26, 6
	s_add_nc_u64 s[34:35], s[0:1], s[34:35]
	s_wait_alu 0xfffe
	s_lshl_b64 s[36:37], s[18:19], 2
                                        ; implicit-def: $vgpr11_vgpr12
	s_mov_b32 s2, exec_lo
	s_wait_alu 0xfffe
	s_add_nc_u64 s[30:31], s[10:11], s[36:37]
	s_clause 0x1
	s_load_b32 s25, s[34:35], 0x6c
	s_load_b32 s30, s[30:31], 0x8
	s_wait_kmcnt 0x0
	s_ashr_i32 s31, s30, 31
	s_wait_alu 0xfffe
	v_or_b32_e32 v3, s31, v10
	s_delay_alu instid0(VALU_DEP_1)
	v_cmpx_ne_u64_e32 0, v[2:3]
	s_xor_b32 s27, exec_lo, s2
	s_cbranch_execz .LBB4_28
; %bb.27:                               ;   in Loop: Header=BB4_22 Depth=2
	s_ashr_i32 s34, s31, 31
	v_ashrrev_i32_e32 v3, 31, v10
	s_wait_alu 0xfffe
	s_mov_b32 s35, s34
	s_wait_alu 0xfffe
	s_add_nc_u64 s[38:39], s[30:31], s[34:35]
	v_add_co_u32 v5, vcc_lo, v9, v3
	s_wait_alu 0xfffe
	s_xor_b64 s[38:39], s[38:39], s[34:35]
	s_wait_alu 0xfffd
	v_add_co_ci_u32_e64 v8, null, v10, v3, vcc_lo
	s_wait_alu 0xfffe
	s_cvt_f32_u32 s2, s38
	s_cvt_f32_u32 s18, s39
	s_sub_nc_u64 s[42:43], 0, s[38:39]
	v_xor_b32_e32 v5, v5, v3
	v_xor_b32_e32 v8, v8, v3
	s_wait_alu 0xfffe
	s_fmamk_f32 s2, s18, 0x4f800000, s2
	v_xor_b32_e32 v3, s34, v3
	s_wait_alu 0xfffe
	s_delay_alu instid0(SALU_CYCLE_1) | instskip(NEXT) | instid1(TRANS32_DEP_1)
	v_s_rcp_f32 s2, s2
	s_mul_f32 s2, s2, 0x5f7ffffc
	s_wait_alu 0xfffe
	s_delay_alu instid0(SALU_CYCLE_2) | instskip(SKIP_1) | instid1(SALU_CYCLE_2)
	s_mul_f32 s18, s2, 0x2f800000
	s_wait_alu 0xfffe
	s_trunc_f32 s18, s18
	s_wait_alu 0xfffe
	s_delay_alu instid0(SALU_CYCLE_2) | instskip(SKIP_2) | instid1(SALU_CYCLE_1)
	s_fmamk_f32 s2, s18, 0xcf800000, s2
	s_cvt_u32_f32 s41, s18
	s_wait_alu 0xfffe
	s_cvt_u32_f32 s40, s2
	s_wait_alu 0xfffe
	s_delay_alu instid0(SALU_CYCLE_2)
	s_mul_u64 s[44:45], s[42:43], s[40:41]
	s_wait_alu 0xfffe
	s_mul_hi_u32 s47, s40, s45
	s_mul_i32 s46, s40, s45
	s_mul_hi_u32 s18, s40, s44
	s_mul_i32 s29, s41, s44
	s_wait_alu 0xfffe
	s_add_nc_u64 s[46:47], s[18:19], s[46:47]
	s_mul_hi_u32 s2, s41, s44
	s_mul_hi_u32 s31, s41, s45
	s_wait_alu 0xfffe
	s_add_co_u32 s18, s46, s29
	s_add_co_ci_u32 s18, s47, s2
	s_mul_i32 s44, s41, s45
	s_add_co_ci_u32 s45, s31, 0
	s_wait_alu 0xfffe
	s_add_nc_u64 s[44:45], s[18:19], s[44:45]
	s_wait_alu 0xfffe
	s_add_co_u32 s40, s40, s44
	s_cselect_b32 s2, -1, 0
	s_wait_alu 0xfffe
	s_cmp_lg_u32 s2, 0
	s_add_co_ci_u32 s41, s41, s45
	s_wait_alu 0xfffe
	s_mul_u64 s[42:43], s[42:43], s[40:41]
	s_wait_alu 0xfffe
	s_mul_hi_u32 s45, s40, s43
	s_mul_i32 s44, s40, s43
	s_mul_hi_u32 s18, s40, s42
	s_mul_i32 s29, s41, s42
	s_wait_alu 0xfffe
	s_add_nc_u64 s[44:45], s[18:19], s[44:45]
	s_mul_hi_u32 s2, s41, s42
	s_mul_hi_u32 s31, s41, s43
	s_wait_alu 0xfffe
	s_add_co_u32 s18, s44, s29
	s_add_co_ci_u32 s18, s45, s2
	s_mul_i32 s42, s41, s43
	s_add_co_ci_u32 s43, s31, 0
	s_wait_alu 0xfffe
	s_add_nc_u64 s[42:43], s[18:19], s[42:43]
	s_wait_alu 0xfffe
	s_add_co_u32 s2, s40, s42
	s_cselect_b32 s18, -1, 0
	s_wait_alu 0xfffe
	v_mul_hi_u32 v16, v5, s2
	s_cmp_lg_u32 s18, 0
	v_mad_co_u64_u32 v[12:13], null, v8, s2, 0
	s_add_co_ci_u32 s18, s41, s43
	s_wait_alu 0xfffe
	v_mad_co_u64_u32 v[10:11], null, v5, s18, 0
	v_mad_co_u64_u32 v[14:15], null, v8, s18, 0
	s_delay_alu instid0(VALU_DEP_2) | instskip(SKIP_1) | instid1(VALU_DEP_3)
	v_add_co_u32 v10, vcc_lo, v16, v10
	s_wait_alu 0xfffd
	v_add_co_ci_u32_e64 v11, null, 0, v11, vcc_lo
	s_delay_alu instid0(VALU_DEP_2) | instskip(SKIP_1) | instid1(VALU_DEP_2)
	v_add_co_u32 v10, vcc_lo, v10, v12
	s_wait_alu 0xfffd
	v_add_co_ci_u32_e32 v10, vcc_lo, v11, v13, vcc_lo
	s_wait_alu 0xfffd
	v_add_co_ci_u32_e32 v11, vcc_lo, 0, v15, vcc_lo
	s_delay_alu instid0(VALU_DEP_2) | instskip(SKIP_1) | instid1(VALU_DEP_2)
	v_add_co_u32 v12, vcc_lo, v10, v14
	s_wait_alu 0xfffd
	v_add_co_ci_u32_e64 v13, null, 0, v11, vcc_lo
	s_delay_alu instid0(VALU_DEP_2) | instskip(SKIP_1) | instid1(VALU_DEP_3)
	v_mul_lo_u32 v14, s39, v12
	v_mad_co_u64_u32 v[10:11], null, s38, v12, 0
	v_mul_lo_u32 v15, s38, v13
	s_delay_alu instid0(VALU_DEP_2) | instskip(NEXT) | instid1(VALU_DEP_2)
	v_sub_co_u32 v5, vcc_lo, v5, v10
	v_add3_u32 v11, v11, v15, v14
	s_delay_alu instid0(VALU_DEP_1) | instskip(SKIP_2) | instid1(VALU_DEP_2)
	v_sub_nc_u32_e32 v14, v8, v11
	s_wait_alu 0xfffd
	v_sub_co_ci_u32_e64 v8, null, v8, v11, vcc_lo
	v_subrev_co_ci_u32_e64 v10, null, s39, v14, vcc_lo
	v_add_co_u32 v14, s2, v12, 2
	s_wait_alu 0xf1ff
	v_add_co_ci_u32_e64 v15, null, 0, v13, s2
	v_sub_co_u32 v16, s2, v5, s38
	s_wait_alu 0xf1ff
	v_subrev_co_ci_u32_e64 v10, null, 0, v10, s2
	s_delay_alu instid0(VALU_DEP_2) | instskip(SKIP_2) | instid1(VALU_DEP_3)
	v_cmp_le_u32_e32 vcc_lo, s38, v16
	s_wait_alu 0xfffd
	v_cndmask_b32_e64 v11, 0, -1, vcc_lo
	v_cmp_le_u32_e32 vcc_lo, s39, v10
	s_wait_alu 0xfffd
	v_cndmask_b32_e64 v16, 0, -1, vcc_lo
	;; [unrolled: 3-line block ×4, first 2 shown]
	v_cmp_eq_u32_e32 vcc_lo, s39, v10
	s_wait_alu 0xfffd
	v_cndmask_b32_e32 v10, v16, v11, vcc_lo
	v_add_co_u32 v11, vcc_lo, v12, 1
	s_wait_alu 0xfffd
	v_add_co_ci_u32_e64 v16, null, 0, v13, vcc_lo
	v_cmp_eq_u32_e32 vcc_lo, s39, v8
	s_wait_alu 0xfffd
	v_cndmask_b32_e32 v5, v17, v5, vcc_lo
	v_cmp_ne_u32_e32 vcc_lo, 0, v10
	s_delay_alu instid0(VALU_DEP_2) | instskip(SKIP_3) | instid1(VALU_DEP_1)
	v_cmp_ne_u32_e64 s2, 0, v5
	s_wait_alu 0xfffd
	v_dual_cndmask_b32 v8, v16, v15 :: v_dual_cndmask_b32 v5, v11, v14
	s_wait_alu 0xf1ff
	v_cndmask_b32_e64 v8, v13, v8, s2
	s_delay_alu instid0(VALU_DEP_2) | instskip(NEXT) | instid1(VALU_DEP_2)
	v_cndmask_b32_e64 v5, v12, v5, s2
	v_xor_b32_e32 v8, v8, v3
	s_delay_alu instid0(VALU_DEP_2) | instskip(NEXT) | instid1(VALU_DEP_1)
	v_xor_b32_e32 v5, v5, v3
	v_sub_co_u32 v11, vcc_lo, v5, v3
	s_wait_alu 0xfffd
	s_delay_alu instid0(VALU_DEP_3)
	v_sub_co_ci_u32_e64 v12, null, v8, v3, vcc_lo
.LBB4_28:                               ;   in Loop: Header=BB4_22 Depth=2
	s_wait_alu 0xfffe
	s_and_not1_saveexec_b32 s2, s27
	s_cbranch_execz .LBB4_30
; %bb.29:                               ;   in Loop: Header=BB4_22 Depth=2
	v_cvt_f32_u32_e32 v3, s30
	s_sub_co_i32 s18, 0, s30
	v_mov_b32_e32 v12, v2
	s_delay_alu instid0(VALU_DEP_2) | instskip(NEXT) | instid1(TRANS32_DEP_1)
	v_rcp_iflag_f32_e32 v3, v3
	v_mul_f32_e32 v3, 0x4f7ffffe, v3
	s_delay_alu instid0(VALU_DEP_1) | instskip(SKIP_1) | instid1(VALU_DEP_1)
	v_cvt_u32_f32_e32 v3, v3
	s_wait_alu 0xfffe
	v_mul_lo_u32 v5, s18, v3
	s_delay_alu instid0(VALU_DEP_1) | instskip(NEXT) | instid1(VALU_DEP_1)
	v_mul_hi_u32 v5, v3, v5
	v_add_nc_u32_e32 v3, v3, v5
	s_delay_alu instid0(VALU_DEP_1) | instskip(NEXT) | instid1(VALU_DEP_1)
	v_mul_hi_u32 v3, v9, v3
	v_mul_lo_u32 v5, v3, s30
	s_delay_alu instid0(VALU_DEP_1) | instskip(NEXT) | instid1(VALU_DEP_1)
	v_sub_nc_u32_e32 v5, v9, v5
	v_subrev_nc_u32_e32 v10, s30, v5
	v_cmp_le_u32_e32 vcc_lo, s30, v5
	s_wait_alu 0xfffd
	s_delay_alu instid0(VALU_DEP_2) | instskip(NEXT) | instid1(VALU_DEP_1)
	v_dual_cndmask_b32 v5, v5, v10 :: v_dual_add_nc_u32 v8, 1, v3
	v_cndmask_b32_e32 v3, v3, v8, vcc_lo
	s_delay_alu instid0(VALU_DEP_2) | instskip(NEXT) | instid1(VALU_DEP_2)
	v_cmp_le_u32_e32 vcc_lo, s30, v5
	v_add_nc_u32_e32 v8, 1, v3
	s_wait_alu 0xfffd
	s_delay_alu instid0(VALU_DEP_1)
	v_cndmask_b32_e32 v11, v3, v8, vcc_lo
.LBB4_30:                               ;   in Loop: Header=BB4_22 Depth=2
	s_wait_alu 0xfffe
	s_or_b32 exec_lo, exec_lo, s2
	s_add_co_i32 s18, s26, 5
	s_add_nc_u64 s[36:37], s[0:1], s[36:37]
	s_wait_alu 0xfffe
	s_lshl_b64 s[38:39], s[18:19], 2
                                        ; implicit-def: $vgpr13_vgpr14
	s_mov_b32 s2, exec_lo
	s_wait_alu 0xfffe
	s_add_nc_u64 s[34:35], s[10:11], s[38:39]
	s_clause 0x1
	s_load_b32 s29, s[36:37], 0x6c
	s_load_b32 s34, s[34:35], 0x8
	s_wait_kmcnt 0x0
	s_ashr_i32 s35, s34, 31
	s_wait_alu 0xfffe
	v_or_b32_e32 v3, s35, v12
	s_delay_alu instid0(VALU_DEP_1)
	v_cmpx_ne_u64_e32 0, v[2:3]
	s_xor_b32 s27, exec_lo, s2
	s_cbranch_execz .LBB4_32
; %bb.31:                               ;   in Loop: Header=BB4_22 Depth=2
	s_ashr_i32 s36, s35, 31
	v_ashrrev_i32_e32 v3, 31, v12
	s_wait_alu 0xfffe
	s_mov_b32 s37, s36
	s_wait_alu 0xfffe
	s_add_nc_u64 s[40:41], s[34:35], s[36:37]
	v_add_co_u32 v5, vcc_lo, v11, v3
	s_wait_alu 0xfffe
	s_xor_b64 s[40:41], s[40:41], s[36:37]
	s_wait_alu 0xfffd
	v_add_co_ci_u32_e64 v8, null, v12, v3, vcc_lo
	s_wait_alu 0xfffe
	s_cvt_f32_u32 s2, s40
	s_cvt_f32_u32 s18, s41
	s_sub_nc_u64 s[44:45], 0, s[40:41]
	v_xor_b32_e32 v5, v5, v3
	v_xor_b32_e32 v8, v8, v3
	s_wait_alu 0xfffe
	s_fmamk_f32 s2, s18, 0x4f800000, s2
	v_xor_b32_e32 v3, s36, v3
	s_wait_alu 0xfffe
	s_delay_alu instid0(SALU_CYCLE_1) | instskip(NEXT) | instid1(TRANS32_DEP_1)
	v_s_rcp_f32 s2, s2
	s_mul_f32 s2, s2, 0x5f7ffffc
	s_wait_alu 0xfffe
	s_delay_alu instid0(SALU_CYCLE_2) | instskip(SKIP_1) | instid1(SALU_CYCLE_2)
	s_mul_f32 s18, s2, 0x2f800000
	s_wait_alu 0xfffe
	s_trunc_f32 s18, s18
	s_wait_alu 0xfffe
	s_delay_alu instid0(SALU_CYCLE_2) | instskip(SKIP_2) | instid1(SALU_CYCLE_1)
	s_fmamk_f32 s2, s18, 0xcf800000, s2
	s_cvt_u32_f32 s43, s18
	s_wait_alu 0xfffe
	s_cvt_u32_f32 s42, s2
	s_wait_alu 0xfffe
	s_delay_alu instid0(SALU_CYCLE_2)
	s_mul_u64 s[46:47], s[44:45], s[42:43]
	s_wait_alu 0xfffe
	s_mul_hi_u32 s49, s42, s47
	s_mul_i32 s48, s42, s47
	s_mul_hi_u32 s18, s42, s46
	s_mul_i32 s31, s43, s46
	s_wait_alu 0xfffe
	s_add_nc_u64 s[48:49], s[18:19], s[48:49]
	s_mul_hi_u32 s2, s43, s46
	s_mul_hi_u32 s35, s43, s47
	s_wait_alu 0xfffe
	s_add_co_u32 s18, s48, s31
	s_add_co_ci_u32 s18, s49, s2
	s_mul_i32 s46, s43, s47
	s_add_co_ci_u32 s47, s35, 0
	s_wait_alu 0xfffe
	s_add_nc_u64 s[46:47], s[18:19], s[46:47]
	s_wait_alu 0xfffe
	s_add_co_u32 s42, s42, s46
	s_cselect_b32 s2, -1, 0
	s_wait_alu 0xfffe
	s_cmp_lg_u32 s2, 0
	s_add_co_ci_u32 s43, s43, s47
	s_wait_alu 0xfffe
	s_mul_u64 s[44:45], s[44:45], s[42:43]
	s_wait_alu 0xfffe
	s_mul_hi_u32 s47, s42, s45
	s_mul_i32 s46, s42, s45
	s_mul_hi_u32 s18, s42, s44
	s_mul_i32 s31, s43, s44
	s_wait_alu 0xfffe
	s_add_nc_u64 s[46:47], s[18:19], s[46:47]
	s_mul_hi_u32 s2, s43, s44
	s_mul_hi_u32 s35, s43, s45
	s_wait_alu 0xfffe
	s_add_co_u32 s18, s46, s31
	s_add_co_ci_u32 s18, s47, s2
	s_mul_i32 s44, s43, s45
	s_add_co_ci_u32 s45, s35, 0
	s_wait_alu 0xfffe
	s_add_nc_u64 s[44:45], s[18:19], s[44:45]
	s_wait_alu 0xfffe
	s_add_co_u32 s2, s42, s44
	s_cselect_b32 s18, -1, 0
	s_wait_alu 0xfffe
	v_mul_hi_u32 v10, v5, s2
	s_cmp_lg_u32 s18, 0
	v_mad_co_u64_u32 v[14:15], null, v8, s2, 0
	s_add_co_ci_u32 s18, s43, s45
	s_wait_alu 0xfffe
	v_mad_co_u64_u32 v[12:13], null, v5, s18, 0
	v_mad_co_u64_u32 v[16:17], null, v8, s18, 0
	s_delay_alu instid0(VALU_DEP_2) | instskip(SKIP_1) | instid1(VALU_DEP_3)
	v_add_co_u32 v10, vcc_lo, v10, v12
	s_wait_alu 0xfffd
	v_add_co_ci_u32_e64 v12, null, 0, v13, vcc_lo
	s_delay_alu instid0(VALU_DEP_2) | instskip(SKIP_1) | instid1(VALU_DEP_2)
	v_add_co_u32 v10, vcc_lo, v10, v14
	s_wait_alu 0xfffd
	v_add_co_ci_u32_e32 v10, vcc_lo, v12, v15, vcc_lo
	s_wait_alu 0xfffd
	v_add_co_ci_u32_e32 v12, vcc_lo, 0, v17, vcc_lo
	s_delay_alu instid0(VALU_DEP_2) | instskip(SKIP_1) | instid1(VALU_DEP_2)
	v_add_co_u32 v10, vcc_lo, v10, v16
	s_wait_alu 0xfffd
	v_add_co_ci_u32_e64 v14, null, 0, v12, vcc_lo
	s_delay_alu instid0(VALU_DEP_2) | instskip(SKIP_1) | instid1(VALU_DEP_3)
	v_mul_lo_u32 v15, s41, v10
	v_mad_co_u64_u32 v[12:13], null, s40, v10, 0
	v_mul_lo_u32 v16, s40, v14
	s_delay_alu instid0(VALU_DEP_2) | instskip(NEXT) | instid1(VALU_DEP_2)
	v_sub_co_u32 v5, vcc_lo, v5, v12
	v_add3_u32 v13, v13, v16, v15
	s_delay_alu instid0(VALU_DEP_1) | instskip(SKIP_2) | instid1(VALU_DEP_2)
	v_sub_nc_u32_e32 v15, v8, v13
	s_wait_alu 0xfffd
	v_sub_co_ci_u32_e64 v8, null, v8, v13, vcc_lo
	v_subrev_co_ci_u32_e64 v12, null, s41, v15, vcc_lo
	v_add_co_u32 v15, s2, v10, 2
	s_wait_alu 0xf1ff
	v_add_co_ci_u32_e64 v16, null, 0, v14, s2
	v_sub_co_u32 v17, s2, v5, s40
	s_wait_alu 0xf1ff
	v_subrev_co_ci_u32_e64 v12, null, 0, v12, s2
	s_delay_alu instid0(VALU_DEP_2) | instskip(SKIP_2) | instid1(VALU_DEP_3)
	v_cmp_le_u32_e32 vcc_lo, s40, v17
	s_wait_alu 0xfffd
	v_cndmask_b32_e64 v13, 0, -1, vcc_lo
	v_cmp_le_u32_e32 vcc_lo, s41, v12
	s_wait_alu 0xfffd
	v_cndmask_b32_e64 v17, 0, -1, vcc_lo
	;; [unrolled: 3-line block ×4, first 2 shown]
	v_cmp_eq_u32_e32 vcc_lo, s41, v12
	s_wait_alu 0xfffd
	v_cndmask_b32_e32 v12, v17, v13, vcc_lo
	v_add_co_u32 v13, vcc_lo, v10, 1
	s_wait_alu 0xfffd
	v_add_co_ci_u32_e64 v17, null, 0, v14, vcc_lo
	v_cmp_eq_u32_e32 vcc_lo, s41, v8
	s_wait_alu 0xfffd
	v_cndmask_b32_e32 v5, v18, v5, vcc_lo
	v_cmp_ne_u32_e32 vcc_lo, 0, v12
	s_wait_alu 0xfffd
	v_cndmask_b32_e32 v8, v17, v16, vcc_lo
	s_delay_alu instid0(VALU_DEP_3) | instskip(SKIP_2) | instid1(VALU_DEP_2)
	v_cmp_ne_u32_e64 s2, 0, v5
	v_cndmask_b32_e32 v5, v13, v15, vcc_lo
	s_wait_alu 0xf1ff
	v_cndmask_b32_e64 v8, v14, v8, s2
	s_delay_alu instid0(VALU_DEP_2) | instskip(NEXT) | instid1(VALU_DEP_2)
	v_cndmask_b32_e64 v5, v10, v5, s2
	v_xor_b32_e32 v8, v8, v3
	s_delay_alu instid0(VALU_DEP_2) | instskip(NEXT) | instid1(VALU_DEP_1)
	v_xor_b32_e32 v5, v5, v3
	v_sub_co_u32 v13, vcc_lo, v5, v3
	s_wait_alu 0xfffd
	s_delay_alu instid0(VALU_DEP_3)
	v_sub_co_ci_u32_e64 v14, null, v8, v3, vcc_lo
.LBB4_32:                               ;   in Loop: Header=BB4_22 Depth=2
	s_wait_alu 0xfffe
	s_and_not1_saveexec_b32 s2, s27
	s_cbranch_execz .LBB4_34
; %bb.33:                               ;   in Loop: Header=BB4_22 Depth=2
	v_cvt_f32_u32_e32 v3, s34
	s_sub_co_i32 s18, 0, s34
	v_mov_b32_e32 v14, v2
	s_delay_alu instid0(VALU_DEP_2) | instskip(NEXT) | instid1(TRANS32_DEP_1)
	v_rcp_iflag_f32_e32 v3, v3
	v_mul_f32_e32 v3, 0x4f7ffffe, v3
	s_delay_alu instid0(VALU_DEP_1) | instskip(SKIP_1) | instid1(VALU_DEP_1)
	v_cvt_u32_f32_e32 v3, v3
	s_wait_alu 0xfffe
	v_mul_lo_u32 v5, s18, v3
	s_delay_alu instid0(VALU_DEP_1) | instskip(NEXT) | instid1(VALU_DEP_1)
	v_mul_hi_u32 v5, v3, v5
	v_add_nc_u32_e32 v3, v3, v5
	s_delay_alu instid0(VALU_DEP_1) | instskip(NEXT) | instid1(VALU_DEP_1)
	v_mul_hi_u32 v3, v11, v3
	v_mul_lo_u32 v5, v3, s34
	s_delay_alu instid0(VALU_DEP_1) | instskip(NEXT) | instid1(VALU_DEP_1)
	v_sub_nc_u32_e32 v5, v11, v5
	v_subrev_nc_u32_e32 v10, s34, v5
	v_cmp_le_u32_e32 vcc_lo, s34, v5
	s_wait_alu 0xfffd
	s_delay_alu instid0(VALU_DEP_2) | instskip(NEXT) | instid1(VALU_DEP_1)
	v_dual_cndmask_b32 v5, v5, v10 :: v_dual_add_nc_u32 v8, 1, v3
	v_cndmask_b32_e32 v3, v3, v8, vcc_lo
	s_delay_alu instid0(VALU_DEP_2) | instskip(NEXT) | instid1(VALU_DEP_2)
	v_cmp_le_u32_e32 vcc_lo, s34, v5
	v_add_nc_u32_e32 v8, 1, v3
	s_wait_alu 0xfffd
	s_delay_alu instid0(VALU_DEP_1)
	v_cndmask_b32_e32 v13, v3, v8, vcc_lo
.LBB4_34:                               ;   in Loop: Header=BB4_22 Depth=2
	s_wait_alu 0xfffe
	s_or_b32 exec_lo, exec_lo, s2
	s_add_co_i32 s18, s26, 4
	s_add_nc_u64 s[38:39], s[0:1], s[38:39]
	s_wait_alu 0xfffe
	s_lshl_b64 s[40:41], s[18:19], 2
                                        ; implicit-def: $vgpr15_vgpr16
	s_mov_b32 s2, exec_lo
	s_wait_alu 0xfffe
	s_add_nc_u64 s[36:37], s[10:11], s[40:41]
	s_clause 0x1
	s_load_b32 s31, s[38:39], 0x6c
	s_load_b32 s36, s[36:37], 0x8
	s_wait_kmcnt 0x0
	s_ashr_i32 s37, s36, 31
	s_wait_alu 0xfffe
	v_or_b32_e32 v3, s37, v14
	s_delay_alu instid0(VALU_DEP_1)
	v_cmpx_ne_u64_e32 0, v[2:3]
	s_xor_b32 s27, exec_lo, s2
	s_cbranch_execz .LBB4_36
; %bb.35:                               ;   in Loop: Header=BB4_22 Depth=2
	s_ashr_i32 s38, s37, 31
	v_ashrrev_i32_e32 v3, 31, v14
	s_wait_alu 0xfffe
	s_mov_b32 s39, s38
	s_wait_alu 0xfffe
	s_add_nc_u64 s[42:43], s[36:37], s[38:39]
	v_add_co_u32 v5, vcc_lo, v13, v3
	s_wait_alu 0xfffe
	s_xor_b64 s[42:43], s[42:43], s[38:39]
	s_wait_alu 0xfffd
	v_add_co_ci_u32_e64 v8, null, v14, v3, vcc_lo
	s_wait_alu 0xfffe
	s_cvt_f32_u32 s2, s42
	s_cvt_f32_u32 s18, s43
	s_sub_nc_u64 s[46:47], 0, s[42:43]
	v_xor_b32_e32 v5, v5, v3
	v_xor_b32_e32 v8, v8, v3
	s_wait_alu 0xfffe
	s_fmamk_f32 s2, s18, 0x4f800000, s2
	v_xor_b32_e32 v3, s38, v3
	s_wait_alu 0xfffe
	s_delay_alu instid0(SALU_CYCLE_1) | instskip(NEXT) | instid1(TRANS32_DEP_1)
	v_s_rcp_f32 s2, s2
	s_mul_f32 s2, s2, 0x5f7ffffc
	s_wait_alu 0xfffe
	s_delay_alu instid0(SALU_CYCLE_2) | instskip(SKIP_1) | instid1(SALU_CYCLE_2)
	s_mul_f32 s18, s2, 0x2f800000
	s_wait_alu 0xfffe
	s_trunc_f32 s18, s18
	s_wait_alu 0xfffe
	s_delay_alu instid0(SALU_CYCLE_2) | instskip(SKIP_2) | instid1(SALU_CYCLE_1)
	s_fmamk_f32 s2, s18, 0xcf800000, s2
	s_cvt_u32_f32 s45, s18
	s_wait_alu 0xfffe
	s_cvt_u32_f32 s44, s2
	s_wait_alu 0xfffe
	s_delay_alu instid0(SALU_CYCLE_2)
	s_mul_u64 s[48:49], s[46:47], s[44:45]
	s_wait_alu 0xfffe
	s_mul_hi_u32 s51, s44, s49
	s_mul_i32 s50, s44, s49
	s_mul_hi_u32 s18, s44, s48
	s_mul_i32 s35, s45, s48
	s_wait_alu 0xfffe
	s_add_nc_u64 s[50:51], s[18:19], s[50:51]
	s_mul_hi_u32 s2, s45, s48
	s_mul_hi_u32 s37, s45, s49
	s_wait_alu 0xfffe
	s_add_co_u32 s18, s50, s35
	s_add_co_ci_u32 s18, s51, s2
	s_mul_i32 s48, s45, s49
	s_add_co_ci_u32 s49, s37, 0
	s_wait_alu 0xfffe
	s_add_nc_u64 s[48:49], s[18:19], s[48:49]
	s_wait_alu 0xfffe
	s_add_co_u32 s44, s44, s48
	s_cselect_b32 s2, -1, 0
	s_wait_alu 0xfffe
	s_cmp_lg_u32 s2, 0
	s_add_co_ci_u32 s45, s45, s49
	s_wait_alu 0xfffe
	s_mul_u64 s[46:47], s[46:47], s[44:45]
	s_wait_alu 0xfffe
	s_mul_hi_u32 s49, s44, s47
	s_mul_i32 s48, s44, s47
	s_mul_hi_u32 s18, s44, s46
	s_mul_i32 s35, s45, s46
	s_wait_alu 0xfffe
	s_add_nc_u64 s[48:49], s[18:19], s[48:49]
	s_mul_hi_u32 s2, s45, s46
	s_mul_hi_u32 s37, s45, s47
	s_wait_alu 0xfffe
	s_add_co_u32 s18, s48, s35
	s_add_co_ci_u32 s18, s49, s2
	s_mul_i32 s46, s45, s47
	s_add_co_ci_u32 s47, s37, 0
	s_wait_alu 0xfffe
	s_add_nc_u64 s[46:47], s[18:19], s[46:47]
	s_wait_alu 0xfffe
	s_add_co_u32 s2, s44, s46
	s_cselect_b32 s18, -1, 0
	s_wait_alu 0xfffe
	v_mul_hi_u32 v10, v5, s2
	s_cmp_lg_u32 s18, 0
	v_mad_co_u64_u32 v[16:17], null, v8, s2, 0
	s_add_co_ci_u32 s18, s45, s47
	s_wait_alu 0xfffe
	v_mad_co_u64_u32 v[14:15], null, v5, s18, 0
	v_mad_co_u64_u32 v[18:19], null, v8, s18, 0
	s_delay_alu instid0(VALU_DEP_2) | instskip(SKIP_1) | instid1(VALU_DEP_3)
	v_add_co_u32 v10, vcc_lo, v10, v14
	s_wait_alu 0xfffd
	v_add_co_ci_u32_e64 v12, null, 0, v15, vcc_lo
	s_delay_alu instid0(VALU_DEP_2) | instskip(SKIP_1) | instid1(VALU_DEP_2)
	v_add_co_u32 v10, vcc_lo, v10, v16
	s_wait_alu 0xfffd
	v_add_co_ci_u32_e32 v10, vcc_lo, v12, v17, vcc_lo
	s_wait_alu 0xfffd
	v_add_co_ci_u32_e32 v12, vcc_lo, 0, v19, vcc_lo
	s_delay_alu instid0(VALU_DEP_2) | instskip(SKIP_1) | instid1(VALU_DEP_2)
	v_add_co_u32 v10, vcc_lo, v10, v18
	s_wait_alu 0xfffd
	v_add_co_ci_u32_e64 v12, null, 0, v12, vcc_lo
	s_delay_alu instid0(VALU_DEP_2) | instskip(SKIP_1) | instid1(VALU_DEP_3)
	v_mul_lo_u32 v16, s43, v10
	v_mad_co_u64_u32 v[14:15], null, s42, v10, 0
	v_mul_lo_u32 v17, s42, v12
	s_delay_alu instid0(VALU_DEP_2) | instskip(NEXT) | instid1(VALU_DEP_2)
	v_sub_co_u32 v5, vcc_lo, v5, v14
	v_add3_u32 v15, v15, v17, v16
	s_delay_alu instid0(VALU_DEP_1) | instskip(SKIP_2) | instid1(VALU_DEP_2)
	v_sub_nc_u32_e32 v16, v8, v15
	s_wait_alu 0xfffd
	v_sub_co_ci_u32_e64 v8, null, v8, v15, vcc_lo
	v_subrev_co_ci_u32_e64 v14, null, s43, v16, vcc_lo
	v_add_co_u32 v16, s2, v10, 2
	s_wait_alu 0xf1ff
	v_add_co_ci_u32_e64 v17, null, 0, v12, s2
	v_sub_co_u32 v18, s2, v5, s42
	s_wait_alu 0xf1ff
	v_subrev_co_ci_u32_e64 v14, null, 0, v14, s2
	s_delay_alu instid0(VALU_DEP_2) | instskip(SKIP_2) | instid1(VALU_DEP_3)
	v_cmp_le_u32_e32 vcc_lo, s42, v18
	s_wait_alu 0xfffd
	v_cndmask_b32_e64 v15, 0, -1, vcc_lo
	v_cmp_le_u32_e32 vcc_lo, s43, v14
	s_wait_alu 0xfffd
	v_cndmask_b32_e64 v18, 0, -1, vcc_lo
	;; [unrolled: 3-line block ×4, first 2 shown]
	v_cmp_eq_u32_e32 vcc_lo, s43, v14
	s_wait_alu 0xfffd
	v_cndmask_b32_e32 v14, v18, v15, vcc_lo
	v_add_co_u32 v15, vcc_lo, v10, 1
	s_wait_alu 0xfffd
	v_add_co_ci_u32_e64 v18, null, 0, v12, vcc_lo
	v_cmp_eq_u32_e32 vcc_lo, s43, v8
	s_wait_alu 0xfffd
	v_cndmask_b32_e32 v5, v19, v5, vcc_lo
	v_cmp_ne_u32_e32 vcc_lo, 0, v14
	s_delay_alu instid0(VALU_DEP_2) | instskip(SKIP_3) | instid1(VALU_DEP_1)
	v_cmp_ne_u32_e64 s2, 0, v5
	s_wait_alu 0xfffd
	v_dual_cndmask_b32 v8, v18, v17 :: v_dual_cndmask_b32 v5, v15, v16
	s_wait_alu 0xf1ff
	v_cndmask_b32_e64 v8, v12, v8, s2
	s_delay_alu instid0(VALU_DEP_2) | instskip(NEXT) | instid1(VALU_DEP_2)
	v_cndmask_b32_e64 v5, v10, v5, s2
	v_xor_b32_e32 v8, v8, v3
	s_delay_alu instid0(VALU_DEP_2) | instskip(NEXT) | instid1(VALU_DEP_1)
	v_xor_b32_e32 v5, v5, v3
	v_sub_co_u32 v15, vcc_lo, v5, v3
	s_wait_alu 0xfffd
	s_delay_alu instid0(VALU_DEP_3)
	v_sub_co_ci_u32_e64 v16, null, v8, v3, vcc_lo
.LBB4_36:                               ;   in Loop: Header=BB4_22 Depth=2
	s_wait_alu 0xfffe
	s_and_not1_saveexec_b32 s2, s27
	s_cbranch_execz .LBB4_38
; %bb.37:                               ;   in Loop: Header=BB4_22 Depth=2
	v_cvt_f32_u32_e32 v3, s36
	s_sub_co_i32 s18, 0, s36
	v_mov_b32_e32 v16, v2
	s_delay_alu instid0(VALU_DEP_2) | instskip(NEXT) | instid1(TRANS32_DEP_1)
	v_rcp_iflag_f32_e32 v3, v3
	v_mul_f32_e32 v3, 0x4f7ffffe, v3
	s_delay_alu instid0(VALU_DEP_1) | instskip(SKIP_1) | instid1(VALU_DEP_1)
	v_cvt_u32_f32_e32 v3, v3
	s_wait_alu 0xfffe
	v_mul_lo_u32 v5, s18, v3
	s_delay_alu instid0(VALU_DEP_1) | instskip(NEXT) | instid1(VALU_DEP_1)
	v_mul_hi_u32 v5, v3, v5
	v_add_nc_u32_e32 v3, v3, v5
	s_delay_alu instid0(VALU_DEP_1) | instskip(NEXT) | instid1(VALU_DEP_1)
	v_mul_hi_u32 v3, v13, v3
	v_mul_lo_u32 v5, v3, s36
	s_delay_alu instid0(VALU_DEP_1) | instskip(NEXT) | instid1(VALU_DEP_1)
	v_sub_nc_u32_e32 v5, v13, v5
	v_subrev_nc_u32_e32 v10, s36, v5
	v_cmp_le_u32_e32 vcc_lo, s36, v5
	s_wait_alu 0xfffd
	s_delay_alu instid0(VALU_DEP_2) | instskip(NEXT) | instid1(VALU_DEP_1)
	v_dual_cndmask_b32 v5, v5, v10 :: v_dual_add_nc_u32 v8, 1, v3
	v_cndmask_b32_e32 v3, v3, v8, vcc_lo
	s_delay_alu instid0(VALU_DEP_2) | instskip(NEXT) | instid1(VALU_DEP_2)
	v_cmp_le_u32_e32 vcc_lo, s36, v5
	v_add_nc_u32_e32 v8, 1, v3
	s_wait_alu 0xfffd
	s_delay_alu instid0(VALU_DEP_1)
	v_cndmask_b32_e32 v15, v3, v8, vcc_lo
.LBB4_38:                               ;   in Loop: Header=BB4_22 Depth=2
	s_wait_alu 0xfffe
	s_or_b32 exec_lo, exec_lo, s2
	s_add_co_i32 s18, s26, 3
	s_add_nc_u64 s[40:41], s[0:1], s[40:41]
	s_wait_alu 0xfffe
	s_lshl_b64 s[42:43], s[18:19], 2
                                        ; implicit-def: $vgpr17_vgpr18
	s_mov_b32 s2, exec_lo
	s_wait_alu 0xfffe
	s_add_nc_u64 s[38:39], s[10:11], s[42:43]
	s_clause 0x1
	s_load_b32 s35, s[40:41], 0x6c
	s_load_b32 s38, s[38:39], 0x8
	s_wait_kmcnt 0x0
	s_ashr_i32 s39, s38, 31
	s_wait_alu 0xfffe
	v_or_b32_e32 v3, s39, v16
	s_delay_alu instid0(VALU_DEP_1)
	v_cmpx_ne_u64_e32 0, v[2:3]
	s_xor_b32 s27, exec_lo, s2
	s_cbranch_execz .LBB4_40
; %bb.39:                               ;   in Loop: Header=BB4_22 Depth=2
	s_ashr_i32 s40, s39, 31
	v_ashrrev_i32_e32 v3, 31, v16
	s_wait_alu 0xfffe
	s_mov_b32 s41, s40
	s_wait_alu 0xfffe
	s_add_nc_u64 s[44:45], s[38:39], s[40:41]
	v_add_co_u32 v5, vcc_lo, v15, v3
	s_wait_alu 0xfffe
	s_xor_b64 s[44:45], s[44:45], s[40:41]
	s_wait_alu 0xfffd
	v_add_co_ci_u32_e64 v8, null, v16, v3, vcc_lo
	s_wait_alu 0xfffe
	s_cvt_f32_u32 s2, s44
	s_cvt_f32_u32 s18, s45
	s_sub_nc_u64 s[48:49], 0, s[44:45]
	v_xor_b32_e32 v5, v5, v3
	v_xor_b32_e32 v8, v8, v3
	s_wait_alu 0xfffe
	s_fmamk_f32 s2, s18, 0x4f800000, s2
	v_xor_b32_e32 v3, s40, v3
	s_wait_alu 0xfffe
	s_delay_alu instid0(SALU_CYCLE_1) | instskip(NEXT) | instid1(TRANS32_DEP_1)
	v_s_rcp_f32 s2, s2
	s_mul_f32 s2, s2, 0x5f7ffffc
	s_wait_alu 0xfffe
	s_delay_alu instid0(SALU_CYCLE_2) | instskip(SKIP_1) | instid1(SALU_CYCLE_2)
	s_mul_f32 s18, s2, 0x2f800000
	s_wait_alu 0xfffe
	s_trunc_f32 s18, s18
	s_wait_alu 0xfffe
	s_delay_alu instid0(SALU_CYCLE_2) | instskip(SKIP_2) | instid1(SALU_CYCLE_1)
	s_fmamk_f32 s2, s18, 0xcf800000, s2
	s_cvt_u32_f32 s47, s18
	s_wait_alu 0xfffe
	s_cvt_u32_f32 s46, s2
	s_wait_alu 0xfffe
	s_delay_alu instid0(SALU_CYCLE_2)
	s_mul_u64 s[50:51], s[48:49], s[46:47]
	s_wait_alu 0xfffe
	s_mul_hi_u32 s59, s46, s51
	s_mul_i32 s58, s46, s51
	s_mul_hi_u32 s18, s46, s50
	s_mul_i32 s37, s47, s50
	s_wait_alu 0xfffe
	s_add_nc_u64 s[58:59], s[18:19], s[58:59]
	s_mul_hi_u32 s2, s47, s50
	s_mul_hi_u32 s39, s47, s51
	s_add_co_u32 s18, s58, s37
	s_wait_alu 0xfffe
	s_add_co_ci_u32 s18, s59, s2
	s_mul_i32 s50, s47, s51
	s_add_co_ci_u32 s51, s39, 0
	s_wait_alu 0xfffe
	s_add_nc_u64 s[50:51], s[18:19], s[50:51]
	s_wait_alu 0xfffe
	s_add_co_u32 s46, s46, s50
	s_cselect_b32 s2, -1, 0
	s_wait_alu 0xfffe
	s_cmp_lg_u32 s2, 0
	s_add_co_ci_u32 s47, s47, s51
	s_wait_alu 0xfffe
	s_mul_u64 s[48:49], s[48:49], s[46:47]
	s_wait_alu 0xfffe
	s_mul_hi_u32 s51, s46, s49
	s_mul_i32 s50, s46, s49
	s_mul_hi_u32 s18, s46, s48
	s_mul_i32 s37, s47, s48
	s_wait_alu 0xfffe
	s_add_nc_u64 s[50:51], s[18:19], s[50:51]
	s_mul_hi_u32 s2, s47, s48
	s_mul_hi_u32 s39, s47, s49
	s_wait_alu 0xfffe
	s_add_co_u32 s18, s50, s37
	s_add_co_ci_u32 s18, s51, s2
	s_mul_i32 s48, s47, s49
	s_add_co_ci_u32 s49, s39, 0
	s_wait_alu 0xfffe
	s_add_nc_u64 s[48:49], s[18:19], s[48:49]
	s_wait_alu 0xfffe
	s_add_co_u32 s2, s46, s48
	s_cselect_b32 s18, -1, 0
	s_wait_alu 0xfffe
	v_mul_hi_u32 v10, v5, s2
	s_cmp_lg_u32 s18, 0
	v_mad_co_u64_u32 v[18:19], null, v8, s2, 0
	s_add_co_ci_u32 s18, s47, s49
	s_wait_alu 0xfffe
	v_mad_co_u64_u32 v[16:17], null, v5, s18, 0
	v_mad_co_u64_u32 v[20:21], null, v8, s18, 0
	s_delay_alu instid0(VALU_DEP_2) | instskip(SKIP_1) | instid1(VALU_DEP_3)
	v_add_co_u32 v10, vcc_lo, v10, v16
	s_wait_alu 0xfffd
	v_add_co_ci_u32_e64 v12, null, 0, v17, vcc_lo
	s_delay_alu instid0(VALU_DEP_2) | instskip(SKIP_1) | instid1(VALU_DEP_2)
	v_add_co_u32 v10, vcc_lo, v10, v18
	s_wait_alu 0xfffd
	v_add_co_ci_u32_e32 v10, vcc_lo, v12, v19, vcc_lo
	s_wait_alu 0xfffd
	v_add_co_ci_u32_e32 v12, vcc_lo, 0, v21, vcc_lo
	s_delay_alu instid0(VALU_DEP_2) | instskip(SKIP_1) | instid1(VALU_DEP_2)
	v_add_co_u32 v10, vcc_lo, v10, v20
	s_wait_alu 0xfffd
	v_add_co_ci_u32_e64 v12, null, 0, v12, vcc_lo
	s_delay_alu instid0(VALU_DEP_2) | instskip(SKIP_1) | instid1(VALU_DEP_3)
	v_mul_lo_u32 v14, s45, v10
	v_mad_co_u64_u32 v[16:17], null, s44, v10, 0
	v_mul_lo_u32 v18, s44, v12
	s_delay_alu instid0(VALU_DEP_2) | instskip(NEXT) | instid1(VALU_DEP_2)
	v_sub_co_u32 v5, vcc_lo, v5, v16
	v_add3_u32 v14, v17, v18, v14
	s_delay_alu instid0(VALU_DEP_1) | instskip(SKIP_2) | instid1(VALU_DEP_2)
	v_sub_nc_u32_e32 v17, v8, v14
	s_wait_alu 0xfffd
	v_sub_co_ci_u32_e64 v8, null, v8, v14, vcc_lo
	v_subrev_co_ci_u32_e64 v16, null, s45, v17, vcc_lo
	v_add_co_u32 v17, s2, v10, 2
	s_wait_alu 0xf1ff
	v_add_co_ci_u32_e64 v18, null, 0, v12, s2
	v_sub_co_u32 v19, s2, v5, s44
	s_wait_alu 0xf1ff
	v_subrev_co_ci_u32_e64 v16, null, 0, v16, s2
	s_delay_alu instid0(VALU_DEP_2) | instskip(SKIP_2) | instid1(VALU_DEP_3)
	v_cmp_le_u32_e32 vcc_lo, s44, v19
	s_wait_alu 0xfffd
	v_cndmask_b32_e64 v14, 0, -1, vcc_lo
	v_cmp_le_u32_e32 vcc_lo, s45, v16
	s_wait_alu 0xfffd
	v_cndmask_b32_e64 v19, 0, -1, vcc_lo
	;; [unrolled: 3-line block ×4, first 2 shown]
	v_cmp_eq_u32_e32 vcc_lo, s45, v16
	s_wait_alu 0xfffd
	v_cndmask_b32_e32 v14, v19, v14, vcc_lo
	v_add_co_u32 v16, vcc_lo, v10, 1
	s_wait_alu 0xfffd
	v_add_co_ci_u32_e64 v19, null, 0, v12, vcc_lo
	v_cmp_eq_u32_e32 vcc_lo, s45, v8
	s_wait_alu 0xfffd
	v_cndmask_b32_e32 v5, v20, v5, vcc_lo
	v_cmp_ne_u32_e32 vcc_lo, 0, v14
	s_delay_alu instid0(VALU_DEP_2) | instskip(SKIP_3) | instid1(VALU_DEP_1)
	v_cmp_ne_u32_e64 s2, 0, v5
	s_wait_alu 0xfffd
	v_dual_cndmask_b32 v8, v19, v18 :: v_dual_cndmask_b32 v5, v16, v17
	s_wait_alu 0xf1ff
	v_cndmask_b32_e64 v8, v12, v8, s2
	s_delay_alu instid0(VALU_DEP_2) | instskip(NEXT) | instid1(VALU_DEP_2)
	v_cndmask_b32_e64 v5, v10, v5, s2
	v_xor_b32_e32 v8, v8, v3
	s_delay_alu instid0(VALU_DEP_2) | instskip(NEXT) | instid1(VALU_DEP_1)
	v_xor_b32_e32 v5, v5, v3
	v_sub_co_u32 v17, vcc_lo, v5, v3
	s_wait_alu 0xfffd
	s_delay_alu instid0(VALU_DEP_3)
	v_sub_co_ci_u32_e64 v18, null, v8, v3, vcc_lo
.LBB4_40:                               ;   in Loop: Header=BB4_22 Depth=2
	s_wait_alu 0xfffe
	s_and_not1_saveexec_b32 s2, s27
	s_cbranch_execz .LBB4_42
; %bb.41:                               ;   in Loop: Header=BB4_22 Depth=2
	v_cvt_f32_u32_e32 v3, s38
	s_sub_co_i32 s18, 0, s38
	v_mov_b32_e32 v18, v2
	s_delay_alu instid0(VALU_DEP_2) | instskip(NEXT) | instid1(TRANS32_DEP_1)
	v_rcp_iflag_f32_e32 v3, v3
	v_mul_f32_e32 v3, 0x4f7ffffe, v3
	s_delay_alu instid0(VALU_DEP_1) | instskip(SKIP_1) | instid1(VALU_DEP_1)
	v_cvt_u32_f32_e32 v3, v3
	s_wait_alu 0xfffe
	v_mul_lo_u32 v5, s18, v3
	s_delay_alu instid0(VALU_DEP_1) | instskip(NEXT) | instid1(VALU_DEP_1)
	v_mul_hi_u32 v5, v3, v5
	v_add_nc_u32_e32 v3, v3, v5
	s_delay_alu instid0(VALU_DEP_1) | instskip(NEXT) | instid1(VALU_DEP_1)
	v_mul_hi_u32 v3, v15, v3
	v_mul_lo_u32 v5, v3, s38
	s_delay_alu instid0(VALU_DEP_1) | instskip(NEXT) | instid1(VALU_DEP_1)
	v_sub_nc_u32_e32 v5, v15, v5
	v_subrev_nc_u32_e32 v10, s38, v5
	v_cmp_le_u32_e32 vcc_lo, s38, v5
	s_wait_alu 0xfffd
	s_delay_alu instid0(VALU_DEP_2) | instskip(NEXT) | instid1(VALU_DEP_1)
	v_dual_cndmask_b32 v5, v5, v10 :: v_dual_add_nc_u32 v8, 1, v3
	v_cndmask_b32_e32 v3, v3, v8, vcc_lo
	s_delay_alu instid0(VALU_DEP_2) | instskip(NEXT) | instid1(VALU_DEP_2)
	v_cmp_le_u32_e32 vcc_lo, s38, v5
	v_add_nc_u32_e32 v8, 1, v3
	s_wait_alu 0xfffd
	s_delay_alu instid0(VALU_DEP_1)
	v_cndmask_b32_e32 v17, v3, v8, vcc_lo
.LBB4_42:                               ;   in Loop: Header=BB4_22 Depth=2
	s_wait_alu 0xfffe
	s_or_b32 exec_lo, exec_lo, s2
	s_add_co_i32 s18, s26, 2
	s_add_nc_u64 s[42:43], s[0:1], s[42:43]
	s_wait_alu 0xfffe
	s_lshl_b64 s[44:45], s[18:19], 2
                                        ; implicit-def: $vgpr19_vgpr20
	s_mov_b32 s2, exec_lo
	s_wait_alu 0xfffe
	s_add_nc_u64 s[40:41], s[10:11], s[44:45]
	s_clause 0x1
	s_load_b32 s37, s[42:43], 0x6c
	s_load_b32 s40, s[40:41], 0x8
	s_wait_kmcnt 0x0
	s_ashr_i32 s41, s40, 31
	s_wait_alu 0xfffe
	v_or_b32_e32 v3, s41, v18
	s_delay_alu instid0(VALU_DEP_1)
	v_cmpx_ne_u64_e32 0, v[2:3]
	s_xor_b32 s27, exec_lo, s2
	s_cbranch_execz .LBB4_44
; %bb.43:                               ;   in Loop: Header=BB4_22 Depth=2
	s_ashr_i32 s42, s41, 31
	v_ashrrev_i32_e32 v3, 31, v18
	s_wait_alu 0xfffe
	s_mov_b32 s43, s42
	s_wait_alu 0xfffe
	s_add_nc_u64 s[46:47], s[40:41], s[42:43]
	v_add_co_u32 v5, vcc_lo, v17, v3
	s_wait_alu 0xfffe
	s_xor_b64 s[46:47], s[46:47], s[42:43]
	s_wait_alu 0xfffd
	v_add_co_ci_u32_e64 v8, null, v18, v3, vcc_lo
	s_wait_alu 0xfffe
	s_cvt_f32_u32 s2, s46
	s_cvt_f32_u32 s18, s47
	s_sub_nc_u64 s[50:51], 0, s[46:47]
	v_xor_b32_e32 v5, v5, v3
	v_xor_b32_e32 v8, v8, v3
	s_wait_alu 0xfffe
	s_fmamk_f32 s2, s18, 0x4f800000, s2
	v_xor_b32_e32 v3, s42, v3
	s_wait_alu 0xfffe
	s_delay_alu instid0(SALU_CYCLE_1) | instskip(NEXT) | instid1(TRANS32_DEP_1)
	v_s_rcp_f32 s2, s2
	s_mul_f32 s2, s2, 0x5f7ffffc
	s_wait_alu 0xfffe
	s_delay_alu instid0(SALU_CYCLE_2) | instskip(SKIP_1) | instid1(SALU_CYCLE_2)
	s_mul_f32 s18, s2, 0x2f800000
	s_wait_alu 0xfffe
	s_trunc_f32 s18, s18
	s_wait_alu 0xfffe
	s_delay_alu instid0(SALU_CYCLE_2) | instskip(SKIP_2) | instid1(SALU_CYCLE_1)
	s_fmamk_f32 s2, s18, 0xcf800000, s2
	s_cvt_u32_f32 s49, s18
	s_wait_alu 0xfffe
	s_cvt_u32_f32 s48, s2
	s_wait_alu 0xfffe
	s_delay_alu instid0(SALU_CYCLE_2) | instskip(NEXT) | instid1(SALU_CYCLE_1)
	s_mul_u64 s[58:59], s[50:51], s[48:49]
	s_mul_hi_u32 s61, s48, s59
	s_mul_i32 s60, s48, s59
	s_mul_hi_u32 s18, s48, s58
	s_mul_i32 s39, s49, s58
	s_wait_alu 0xfffe
	s_add_nc_u64 s[60:61], s[18:19], s[60:61]
	s_mul_hi_u32 s2, s49, s58
	s_mul_hi_u32 s41, s49, s59
	s_add_co_u32 s18, s60, s39
	s_wait_alu 0xfffe
	s_add_co_ci_u32 s18, s61, s2
	s_mul_i32 s58, s49, s59
	s_add_co_ci_u32 s59, s41, 0
	s_wait_alu 0xfffe
	s_add_nc_u64 s[58:59], s[18:19], s[58:59]
	s_delay_alu instid0(SALU_CYCLE_1)
	s_add_co_u32 s48, s48, s58
	s_cselect_b32 s2, -1, 0
	s_wait_alu 0xfffe
	s_cmp_lg_u32 s2, 0
	s_add_co_ci_u32 s49, s49, s59
	s_wait_alu 0xfffe
	s_mul_u64 s[50:51], s[50:51], s[48:49]
	s_wait_alu 0xfffe
	s_mul_hi_u32 s59, s48, s51
	s_mul_i32 s58, s48, s51
	s_mul_hi_u32 s18, s48, s50
	s_mul_i32 s39, s49, s50
	s_wait_alu 0xfffe
	s_add_nc_u64 s[58:59], s[18:19], s[58:59]
	s_mul_hi_u32 s2, s49, s50
	s_mul_hi_u32 s41, s49, s51
	s_add_co_u32 s18, s58, s39
	s_wait_alu 0xfffe
	s_add_co_ci_u32 s18, s59, s2
	s_mul_i32 s50, s49, s51
	s_add_co_ci_u32 s51, s41, 0
	s_wait_alu 0xfffe
	s_add_nc_u64 s[50:51], s[18:19], s[50:51]
	s_wait_alu 0xfffe
	s_add_co_u32 s2, s48, s50
	s_cselect_b32 s18, -1, 0
	s_wait_alu 0xfffe
	v_mul_hi_u32 v10, v5, s2
	s_cmp_lg_u32 s18, 0
	v_mad_co_u64_u32 v[20:21], null, v8, s2, 0
	s_add_co_ci_u32 s18, s49, s51
	s_wait_alu 0xfffe
	v_mad_co_u64_u32 v[18:19], null, v5, s18, 0
	v_mad_co_u64_u32 v[22:23], null, v8, s18, 0
	s_delay_alu instid0(VALU_DEP_2) | instskip(SKIP_1) | instid1(VALU_DEP_3)
	v_add_co_u32 v10, vcc_lo, v10, v18
	s_wait_alu 0xfffd
	v_add_co_ci_u32_e64 v12, null, 0, v19, vcc_lo
	s_delay_alu instid0(VALU_DEP_2) | instskip(SKIP_1) | instid1(VALU_DEP_2)
	v_add_co_u32 v10, vcc_lo, v10, v20
	s_wait_alu 0xfffd
	v_add_co_ci_u32_e32 v10, vcc_lo, v12, v21, vcc_lo
	s_wait_alu 0xfffd
	v_add_co_ci_u32_e32 v12, vcc_lo, 0, v23, vcc_lo
	s_delay_alu instid0(VALU_DEP_2) | instskip(SKIP_1) | instid1(VALU_DEP_2)
	v_add_co_u32 v10, vcc_lo, v10, v22
	s_wait_alu 0xfffd
	v_add_co_ci_u32_e64 v12, null, 0, v12, vcc_lo
	s_delay_alu instid0(VALU_DEP_2) | instskip(SKIP_1) | instid1(VALU_DEP_3)
	v_mul_lo_u32 v14, s47, v10
	v_mad_co_u64_u32 v[18:19], null, s46, v10, 0
	v_mul_lo_u32 v16, s46, v12
	s_delay_alu instid0(VALU_DEP_2) | instskip(NEXT) | instid1(VALU_DEP_2)
	v_sub_co_u32 v5, vcc_lo, v5, v18
	v_add3_u32 v14, v19, v16, v14
	v_add_co_u32 v18, s2, v10, 2
	s_wait_alu 0xf1ff
	v_add_co_ci_u32_e64 v19, null, 0, v12, s2
	s_delay_alu instid0(VALU_DEP_3) | instskip(SKIP_3) | instid1(VALU_DEP_3)
	v_sub_nc_u32_e32 v16, v8, v14
	v_sub_co_u32 v20, s2, v5, s46
	s_wait_alu 0xfffd
	v_sub_co_ci_u32_e64 v8, null, v8, v14, vcc_lo
	v_subrev_co_ci_u32_e64 v16, null, s47, v16, vcc_lo
	s_delay_alu instid0(VALU_DEP_3) | instskip(SKIP_1) | instid1(VALU_DEP_2)
	v_cmp_le_u32_e32 vcc_lo, s46, v20
	s_wait_alu 0xf1ff
	v_subrev_co_ci_u32_e64 v16, null, 0, v16, s2
	s_wait_alu 0xfffd
	v_cndmask_b32_e64 v14, 0, -1, vcc_lo
	s_delay_alu instid0(VALU_DEP_2)
	v_cmp_le_u32_e32 vcc_lo, s47, v16
	s_wait_alu 0xfffd
	v_cndmask_b32_e64 v20, 0, -1, vcc_lo
	v_cmp_le_u32_e32 vcc_lo, s46, v5
	s_wait_alu 0xfffd
	v_cndmask_b32_e64 v5, 0, -1, vcc_lo
	;; [unrolled: 3-line block ×3, first 2 shown]
	v_cmp_eq_u32_e32 vcc_lo, s47, v16
	s_wait_alu 0xfffd
	v_cndmask_b32_e32 v14, v20, v14, vcc_lo
	v_add_co_u32 v16, vcc_lo, v10, 1
	s_wait_alu 0xfffd
	v_add_co_ci_u32_e64 v20, null, 0, v12, vcc_lo
	v_cmp_eq_u32_e32 vcc_lo, s47, v8
	s_wait_alu 0xfffd
	v_cndmask_b32_e32 v5, v21, v5, vcc_lo
	v_cmp_ne_u32_e32 vcc_lo, 0, v14
	s_delay_alu instid0(VALU_DEP_2) | instskip(SKIP_4) | instid1(VALU_DEP_2)
	v_cmp_ne_u32_e64 s2, 0, v5
	s_wait_alu 0xfffd
	v_cndmask_b32_e32 v5, v16, v18, vcc_lo
	v_cndmask_b32_e32 v8, v20, v19, vcc_lo
	s_wait_alu 0xf1ff
	v_cndmask_b32_e64 v5, v10, v5, s2
	s_delay_alu instid0(VALU_DEP_2) | instskip(NEXT) | instid1(VALU_DEP_2)
	v_cndmask_b32_e64 v8, v12, v8, s2
	v_xor_b32_e32 v5, v5, v3
	s_delay_alu instid0(VALU_DEP_2) | instskip(NEXT) | instid1(VALU_DEP_2)
	v_xor_b32_e32 v8, v8, v3
	v_sub_co_u32 v19, vcc_lo, v5, v3
	s_wait_alu 0xfffd
	s_delay_alu instid0(VALU_DEP_2)
	v_sub_co_ci_u32_e64 v20, null, v8, v3, vcc_lo
.LBB4_44:                               ;   in Loop: Header=BB4_22 Depth=2
	s_wait_alu 0xfffe
	s_and_not1_saveexec_b32 s2, s27
	s_cbranch_execz .LBB4_46
; %bb.45:                               ;   in Loop: Header=BB4_22 Depth=2
	v_cvt_f32_u32_e32 v3, s40
	s_sub_co_i32 s18, 0, s40
	v_mov_b32_e32 v20, v2
	s_delay_alu instid0(VALU_DEP_2) | instskip(NEXT) | instid1(TRANS32_DEP_1)
	v_rcp_iflag_f32_e32 v3, v3
	v_mul_f32_e32 v3, 0x4f7ffffe, v3
	s_delay_alu instid0(VALU_DEP_1) | instskip(SKIP_1) | instid1(VALU_DEP_1)
	v_cvt_u32_f32_e32 v3, v3
	s_wait_alu 0xfffe
	v_mul_lo_u32 v5, s18, v3
	s_delay_alu instid0(VALU_DEP_1) | instskip(NEXT) | instid1(VALU_DEP_1)
	v_mul_hi_u32 v5, v3, v5
	v_add_nc_u32_e32 v3, v3, v5
	s_delay_alu instid0(VALU_DEP_1) | instskip(NEXT) | instid1(VALU_DEP_1)
	v_mul_hi_u32 v3, v17, v3
	v_mul_lo_u32 v5, v3, s40
	s_delay_alu instid0(VALU_DEP_1) | instskip(NEXT) | instid1(VALU_DEP_1)
	v_sub_nc_u32_e32 v5, v17, v5
	v_subrev_nc_u32_e32 v10, s40, v5
	v_cmp_le_u32_e32 vcc_lo, s40, v5
	s_wait_alu 0xfffd
	s_delay_alu instid0(VALU_DEP_2) | instskip(NEXT) | instid1(VALU_DEP_1)
	v_dual_cndmask_b32 v5, v5, v10 :: v_dual_add_nc_u32 v8, 1, v3
	v_cndmask_b32_e32 v3, v3, v8, vcc_lo
	s_delay_alu instid0(VALU_DEP_2) | instskip(NEXT) | instid1(VALU_DEP_2)
	v_cmp_le_u32_e32 vcc_lo, s40, v5
	v_add_nc_u32_e32 v8, 1, v3
	s_wait_alu 0xfffd
	s_delay_alu instid0(VALU_DEP_1)
	v_cndmask_b32_e32 v19, v3, v8, vcc_lo
.LBB4_46:                               ;   in Loop: Header=BB4_22 Depth=2
	s_wait_alu 0xfffe
	s_or_b32 exec_lo, exec_lo, s2
	s_add_co_i32 s18, s26, 1
	s_add_nc_u64 s[44:45], s[0:1], s[44:45]
	s_wait_alu 0xfffe
	s_lshl_b64 s[48:49], s[18:19], 2
                                        ; implicit-def: $vgpr21_vgpr22
	s_mov_b32 s2, exec_lo
	s_wait_alu 0xfffe
	s_add_nc_u64 s[42:43], s[10:11], s[48:49]
	s_clause 0x1
	s_load_b32 s39, s[44:45], 0x6c
	s_load_b32 s42, s[42:43], 0x8
	s_wait_kmcnt 0x0
	s_ashr_i32 s43, s42, 31
	s_wait_alu 0xfffe
	v_or_b32_e32 v3, s43, v20
	s_delay_alu instid0(VALU_DEP_1)
	v_cmpx_ne_u64_e32 0, v[2:3]
	s_xor_b32 s27, exec_lo, s2
	s_cbranch_execz .LBB4_48
; %bb.47:                               ;   in Loop: Header=BB4_22 Depth=2
	s_ashr_i32 s44, s43, 31
	v_ashrrev_i32_e32 v3, 31, v20
	s_wait_alu 0xfffe
	s_mov_b32 s45, s44
	s_wait_alu 0xfffe
	s_add_nc_u64 s[46:47], s[42:43], s[44:45]
	v_add_co_u32 v5, vcc_lo, v19, v3
	s_wait_alu 0xfffe
	s_xor_b64 s[46:47], s[46:47], s[44:45]
	s_wait_alu 0xfffd
	v_add_co_ci_u32_e64 v8, null, v20, v3, vcc_lo
	s_wait_alu 0xfffe
	s_cvt_f32_u32 s2, s46
	s_cvt_f32_u32 s18, s47
	s_sub_nc_u64 s[58:59], 0, s[46:47]
	v_xor_b32_e32 v5, v5, v3
	v_xor_b32_e32 v8, v8, v3
	s_wait_alu 0xfffe
	s_fmamk_f32 s2, s18, 0x4f800000, s2
	v_xor_b32_e32 v3, s44, v3
	s_wait_alu 0xfffe
	s_delay_alu instid0(SALU_CYCLE_1) | instskip(NEXT) | instid1(TRANS32_DEP_1)
	v_s_rcp_f32 s2, s2
	s_mul_f32 s2, s2, 0x5f7ffffc
	s_wait_alu 0xfffe
	s_delay_alu instid0(SALU_CYCLE_2) | instskip(SKIP_1) | instid1(SALU_CYCLE_2)
	s_mul_f32 s18, s2, 0x2f800000
	s_wait_alu 0xfffe
	s_trunc_f32 s18, s18
	s_wait_alu 0xfffe
	s_delay_alu instid0(SALU_CYCLE_2) | instskip(SKIP_2) | instid1(SALU_CYCLE_1)
	s_fmamk_f32 s2, s18, 0xcf800000, s2
	s_cvt_u32_f32 s51, s18
	s_wait_alu 0xfffe
	s_cvt_u32_f32 s50, s2
	s_wait_alu 0xfffe
	s_delay_alu instid0(SALU_CYCLE_2) | instskip(NEXT) | instid1(SALU_CYCLE_1)
	s_mul_u64 s[60:61], s[58:59], s[50:51]
	s_mul_hi_u32 s63, s50, s61
	s_mul_i32 s62, s50, s61
	s_mul_hi_u32 s18, s50, s60
	s_mul_i32 s41, s51, s60
	s_wait_alu 0xfffe
	s_add_nc_u64 s[62:63], s[18:19], s[62:63]
	s_mul_hi_u32 s2, s51, s60
	s_mul_hi_u32 s43, s51, s61
	s_add_co_u32 s18, s62, s41
	s_wait_alu 0xfffe
	s_add_co_ci_u32 s18, s63, s2
	s_mul_i32 s60, s51, s61
	s_add_co_ci_u32 s61, s43, 0
	s_wait_alu 0xfffe
	s_add_nc_u64 s[60:61], s[18:19], s[60:61]
	s_delay_alu instid0(SALU_CYCLE_1)
	s_add_co_u32 s50, s50, s60
	s_cselect_b32 s2, -1, 0
	s_wait_alu 0xfffe
	s_cmp_lg_u32 s2, 0
	s_add_co_ci_u32 s51, s51, s61
	s_wait_alu 0xfffe
	s_mul_u64 s[58:59], s[58:59], s[50:51]
	s_delay_alu instid0(SALU_CYCLE_1)
	s_mul_hi_u32 s61, s50, s59
	s_mul_i32 s60, s50, s59
	s_mul_hi_u32 s18, s50, s58
	s_mul_i32 s41, s51, s58
	s_wait_alu 0xfffe
	s_add_nc_u64 s[60:61], s[18:19], s[60:61]
	s_mul_hi_u32 s2, s51, s58
	s_mul_hi_u32 s43, s51, s59
	s_add_co_u32 s18, s60, s41
	s_wait_alu 0xfffe
	s_add_co_ci_u32 s18, s61, s2
	s_mul_i32 s58, s51, s59
	s_add_co_ci_u32 s59, s43, 0
	s_wait_alu 0xfffe
	s_add_nc_u64 s[58:59], s[18:19], s[58:59]
	s_delay_alu instid0(SALU_CYCLE_1)
	s_add_co_u32 s2, s50, s58
	s_cselect_b32 s18, -1, 0
	s_wait_alu 0xfffe
	v_mul_hi_u32 v10, v5, s2
	s_cmp_lg_u32 s18, 0
	v_mad_co_u64_u32 v[22:23], null, v8, s2, 0
	s_add_co_ci_u32 s18, s51, s59
	s_wait_alu 0xfffe
	v_mad_co_u64_u32 v[20:21], null, v5, s18, 0
	v_mad_co_u64_u32 v[29:30], null, v8, s18, 0
	s_delay_alu instid0(VALU_DEP_2) | instskip(SKIP_1) | instid1(VALU_DEP_3)
	v_add_co_u32 v10, vcc_lo, v10, v20
	s_wait_alu 0xfffd
	v_add_co_ci_u32_e64 v12, null, 0, v21, vcc_lo
	s_delay_alu instid0(VALU_DEP_2) | instskip(SKIP_1) | instid1(VALU_DEP_2)
	v_add_co_u32 v10, vcc_lo, v10, v22
	s_wait_alu 0xfffd
	v_add_co_ci_u32_e32 v10, vcc_lo, v12, v23, vcc_lo
	s_wait_alu 0xfffd
	v_add_co_ci_u32_e32 v12, vcc_lo, 0, v30, vcc_lo
	s_delay_alu instid0(VALU_DEP_2) | instskip(SKIP_1) | instid1(VALU_DEP_2)
	v_add_co_u32 v10, vcc_lo, v10, v29
	s_wait_alu 0xfffd
	v_add_co_ci_u32_e64 v12, null, 0, v12, vcc_lo
	s_delay_alu instid0(VALU_DEP_2) | instskip(SKIP_1) | instid1(VALU_DEP_3)
	v_mul_lo_u32 v14, s47, v10
	v_mad_co_u64_u32 v[20:21], null, s46, v10, 0
	v_mul_lo_u32 v16, s46, v12
	v_add_co_u32 v18, s2, v10, 2
	s_delay_alu instid0(VALU_DEP_3) | instskip(NEXT) | instid1(VALU_DEP_3)
	v_sub_co_u32 v5, vcc_lo, v5, v20
	v_add3_u32 v14, v21, v16, v14
	s_wait_alu 0xf1ff
	v_add_co_ci_u32_e64 v20, null, 0, v12, s2
	s_delay_alu instid0(VALU_DEP_3) | instskip(NEXT) | instid1(VALU_DEP_3)
	v_sub_co_u32 v21, s2, v5, s46
	v_sub_nc_u32_e32 v16, v8, v14
	s_wait_alu 0xfffd
	v_sub_co_ci_u32_e64 v8, null, v8, v14, vcc_lo
	s_delay_alu instid0(VALU_DEP_2) | instskip(SKIP_2) | instid1(VALU_DEP_2)
	v_subrev_co_ci_u32_e64 v16, null, s47, v16, vcc_lo
	v_cmp_le_u32_e32 vcc_lo, s46, v21
	s_wait_alu 0xf1ff
	v_subrev_co_ci_u32_e64 v16, null, 0, v16, s2
	s_wait_alu 0xfffd
	v_cndmask_b32_e64 v14, 0, -1, vcc_lo
	s_delay_alu instid0(VALU_DEP_2)
	v_cmp_le_u32_e32 vcc_lo, s47, v16
	s_wait_alu 0xfffd
	v_cndmask_b32_e64 v21, 0, -1, vcc_lo
	v_cmp_le_u32_e32 vcc_lo, s46, v5
	s_wait_alu 0xfffd
	v_cndmask_b32_e64 v5, 0, -1, vcc_lo
	;; [unrolled: 3-line block ×3, first 2 shown]
	v_cmp_eq_u32_e32 vcc_lo, s47, v16
	s_wait_alu 0xfffd
	v_cndmask_b32_e32 v14, v21, v14, vcc_lo
	v_add_co_u32 v16, vcc_lo, v10, 1
	s_wait_alu 0xfffd
	v_add_co_ci_u32_e64 v21, null, 0, v12, vcc_lo
	v_cmp_eq_u32_e32 vcc_lo, s47, v8
	s_wait_alu 0xfffd
	v_cndmask_b32_e32 v5, v22, v5, vcc_lo
	v_cmp_ne_u32_e32 vcc_lo, 0, v14
	s_delay_alu instid0(VALU_DEP_2) | instskip(SKIP_3) | instid1(VALU_DEP_1)
	v_cmp_ne_u32_e64 s2, 0, v5
	s_wait_alu 0xfffd
	v_dual_cndmask_b32 v8, v21, v20 :: v_dual_cndmask_b32 v5, v16, v18
	s_wait_alu 0xf1ff
	v_cndmask_b32_e64 v8, v12, v8, s2
	s_delay_alu instid0(VALU_DEP_2) | instskip(NEXT) | instid1(VALU_DEP_2)
	v_cndmask_b32_e64 v5, v10, v5, s2
	v_xor_b32_e32 v8, v8, v3
	s_delay_alu instid0(VALU_DEP_2) | instskip(NEXT) | instid1(VALU_DEP_1)
	v_xor_b32_e32 v5, v5, v3
	v_sub_co_u32 v21, vcc_lo, v5, v3
	s_wait_alu 0xfffd
	s_delay_alu instid0(VALU_DEP_3)
	v_sub_co_ci_u32_e64 v22, null, v8, v3, vcc_lo
.LBB4_48:                               ;   in Loop: Header=BB4_22 Depth=2
	s_wait_alu 0xfffe
	s_and_not1_saveexec_b32 s2, s27
	s_cbranch_execz .LBB4_50
; %bb.49:                               ;   in Loop: Header=BB4_22 Depth=2
	v_cvt_f32_u32_e32 v3, s42
	s_sub_co_i32 s18, 0, s42
	v_mov_b32_e32 v22, v2
	s_delay_alu instid0(VALU_DEP_2) | instskip(NEXT) | instid1(TRANS32_DEP_1)
	v_rcp_iflag_f32_e32 v3, v3
	v_mul_f32_e32 v3, 0x4f7ffffe, v3
	s_delay_alu instid0(VALU_DEP_1) | instskip(SKIP_1) | instid1(VALU_DEP_1)
	v_cvt_u32_f32_e32 v3, v3
	s_wait_alu 0xfffe
	v_mul_lo_u32 v5, s18, v3
	s_delay_alu instid0(VALU_DEP_1) | instskip(NEXT) | instid1(VALU_DEP_1)
	v_mul_hi_u32 v5, v3, v5
	v_add_nc_u32_e32 v3, v3, v5
	s_delay_alu instid0(VALU_DEP_1) | instskip(NEXT) | instid1(VALU_DEP_1)
	v_mul_hi_u32 v3, v19, v3
	v_mul_lo_u32 v5, v3, s42
	s_delay_alu instid0(VALU_DEP_1) | instskip(NEXT) | instid1(VALU_DEP_1)
	v_sub_nc_u32_e32 v5, v19, v5
	v_subrev_nc_u32_e32 v10, s42, v5
	v_cmp_le_u32_e32 vcc_lo, s42, v5
	s_wait_alu 0xfffd
	s_delay_alu instid0(VALU_DEP_2) | instskip(NEXT) | instid1(VALU_DEP_1)
	v_dual_cndmask_b32 v5, v5, v10 :: v_dual_add_nc_u32 v8, 1, v3
	v_cndmask_b32_e32 v3, v3, v8, vcc_lo
	s_delay_alu instid0(VALU_DEP_2) | instskip(NEXT) | instid1(VALU_DEP_2)
	v_cmp_le_u32_e32 vcc_lo, s42, v5
	v_add_nc_u32_e32 v8, 1, v3
	s_wait_alu 0xfffd
	s_delay_alu instid0(VALU_DEP_1)
	v_cndmask_b32_e32 v21, v3, v8, vcc_lo
.LBB4_50:                               ;   in Loop: Header=BB4_22 Depth=2
	s_wait_alu 0xfffe
	s_or_b32 exec_lo, exec_lo, s2
	s_mov_b32 s27, s19
	s_add_nc_u64 s[48:49], s[0:1], s[48:49]
	s_wait_alu 0xfffe
	s_lshl_b64 s[46:47], s[26:27], 2
                                        ; implicit-def: $vgpr23_vgpr24
	s_mov_b32 s2, exec_lo
	s_wait_alu 0xfffe
	s_add_nc_u64 s[44:45], s[10:11], s[46:47]
	s_clause 0x1
	s_load_b32 s27, s[48:49], 0x6c
	s_load_b32 s44, s[44:45], 0x8
	s_wait_kmcnt 0x0
	s_ashr_i32 s45, s44, 31
	s_wait_alu 0xfffe
	v_or_b32_e32 v3, s45, v22
	s_delay_alu instid0(VALU_DEP_1)
	v_cmpx_ne_u64_e32 0, v[2:3]
	s_xor_b32 s41, exec_lo, s2
	s_cbranch_execz .LBB4_52
; %bb.51:                               ;   in Loop: Header=BB4_22 Depth=2
	s_ashr_i32 s48, s45, 31
	v_ashrrev_i32_e32 v3, 31, v22
	s_wait_alu 0xfffe
	s_mov_b32 s49, s48
	s_wait_alu 0xfffe
	s_add_nc_u64 s[50:51], s[44:45], s[48:49]
	v_add_co_u32 v5, vcc_lo, v21, v3
	s_wait_alu 0xfffe
	s_xor_b64 s[50:51], s[50:51], s[48:49]
	s_wait_alu 0xfffd
	v_add_co_ci_u32_e64 v8, null, v22, v3, vcc_lo
	s_wait_alu 0xfffe
	s_cvt_f32_u32 s2, s50
	s_cvt_f32_u32 s18, s51
	s_sub_nc_u64 s[60:61], 0, s[50:51]
	v_xor_b32_e32 v5, v5, v3
	v_xor_b32_e32 v8, v8, v3
	s_wait_alu 0xfffe
	s_fmamk_f32 s2, s18, 0x4f800000, s2
	v_xor_b32_e32 v3, s48, v3
	s_wait_alu 0xfffe
	s_delay_alu instid0(SALU_CYCLE_1) | instskip(NEXT) | instid1(TRANS32_DEP_1)
	v_s_rcp_f32 s2, s2
	s_mul_f32 s2, s2, 0x5f7ffffc
	s_wait_alu 0xfffe
	s_delay_alu instid0(SALU_CYCLE_2) | instskip(SKIP_1) | instid1(SALU_CYCLE_2)
	s_mul_f32 s18, s2, 0x2f800000
	s_wait_alu 0xfffe
	s_trunc_f32 s18, s18
	s_wait_alu 0xfffe
	s_delay_alu instid0(SALU_CYCLE_2) | instskip(SKIP_2) | instid1(SALU_CYCLE_1)
	s_fmamk_f32 s2, s18, 0xcf800000, s2
	s_cvt_u32_f32 s59, s18
	s_wait_alu 0xfffe
	s_cvt_u32_f32 s58, s2
	s_delay_alu instid0(SALU_CYCLE_3) | instskip(NEXT) | instid1(SALU_CYCLE_1)
	s_mul_u64 s[62:63], s[60:61], s[58:59]
	s_mul_hi_u32 s65, s58, s63
	s_mul_i32 s64, s58, s63
	s_mul_hi_u32 s18, s58, s62
	s_mul_i32 s43, s59, s62
	s_wait_alu 0xfffe
	s_add_nc_u64 s[64:65], s[18:19], s[64:65]
	s_mul_hi_u32 s2, s59, s62
	s_mul_hi_u32 s45, s59, s63
	s_add_co_u32 s18, s64, s43
	s_wait_alu 0xfffe
	s_add_co_ci_u32 s18, s65, s2
	s_mul_i32 s62, s59, s63
	s_add_co_ci_u32 s63, s45, 0
	s_wait_alu 0xfffe
	s_add_nc_u64 s[62:63], s[18:19], s[62:63]
	s_delay_alu instid0(SALU_CYCLE_1) | instskip(SKIP_4) | instid1(SALU_CYCLE_1)
	s_add_co_u32 s58, s58, s62
	s_cselect_b32 s2, -1, 0
	s_wait_alu 0xfffe
	s_cmp_lg_u32 s2, 0
	s_add_co_ci_u32 s59, s59, s63
	s_mul_u64 s[60:61], s[60:61], s[58:59]
	s_delay_alu instid0(SALU_CYCLE_1)
	s_mul_hi_u32 s63, s58, s61
	s_mul_i32 s62, s58, s61
	s_mul_hi_u32 s18, s58, s60
	s_mul_i32 s43, s59, s60
	s_wait_alu 0xfffe
	s_add_nc_u64 s[62:63], s[18:19], s[62:63]
	s_mul_hi_u32 s2, s59, s60
	s_mul_hi_u32 s45, s59, s61
	s_add_co_u32 s18, s62, s43
	s_wait_alu 0xfffe
	s_add_co_ci_u32 s18, s63, s2
	s_mul_i32 s60, s59, s61
	s_add_co_ci_u32 s61, s45, 0
	s_wait_alu 0xfffe
	s_add_nc_u64 s[60:61], s[18:19], s[60:61]
	s_delay_alu instid0(SALU_CYCLE_1)
	s_add_co_u32 s2, s58, s60
	s_cselect_b32 s18, -1, 0
	s_wait_alu 0xfffe
	v_mul_hi_u32 v10, v5, s2
	s_cmp_lg_u32 s18, 0
	v_mad_co_u64_u32 v[29:30], null, v8, s2, 0
	s_add_co_ci_u32 s18, s59, s61
	s_wait_alu 0xfffe
	v_mad_co_u64_u32 v[22:23], null, v5, s18, 0
	v_mad_co_u64_u32 v[31:32], null, v8, s18, 0
	s_delay_alu instid0(VALU_DEP_2) | instskip(SKIP_1) | instid1(VALU_DEP_3)
	v_add_co_u32 v10, vcc_lo, v10, v22
	s_wait_alu 0xfffd
	v_add_co_ci_u32_e64 v12, null, 0, v23, vcc_lo
	s_delay_alu instid0(VALU_DEP_2) | instskip(SKIP_1) | instid1(VALU_DEP_2)
	v_add_co_u32 v10, vcc_lo, v10, v29
	s_wait_alu 0xfffd
	v_add_co_ci_u32_e32 v10, vcc_lo, v12, v30, vcc_lo
	s_wait_alu 0xfffd
	v_add_co_ci_u32_e32 v12, vcc_lo, 0, v32, vcc_lo
	s_delay_alu instid0(VALU_DEP_2) | instskip(SKIP_1) | instid1(VALU_DEP_2)
	v_add_co_u32 v10, vcc_lo, v10, v31
	s_wait_alu 0xfffd
	v_add_co_ci_u32_e64 v12, null, 0, v12, vcc_lo
	s_delay_alu instid0(VALU_DEP_2) | instskip(SKIP_1) | instid1(VALU_DEP_3)
	v_mul_lo_u32 v14, s51, v10
	v_mad_co_u64_u32 v[22:23], null, s50, v10, 0
	v_mul_lo_u32 v16, s50, v12
	v_add_co_u32 v18, s2, v10, 2
	s_wait_alu 0xf1ff
	v_add_co_ci_u32_e64 v20, null, 0, v12, s2
	s_delay_alu instid0(VALU_DEP_4) | instskip(NEXT) | instid1(VALU_DEP_4)
	v_sub_co_u32 v5, vcc_lo, v5, v22
	v_add3_u32 v14, v23, v16, v14
	s_delay_alu instid0(VALU_DEP_2) | instskip(NEXT) | instid1(VALU_DEP_2)
	v_sub_co_u32 v22, s2, v5, s50
	v_sub_nc_u32_e32 v16, v8, v14
	s_wait_alu 0xfffd
	v_sub_co_ci_u32_e64 v8, null, v8, v14, vcc_lo
	s_delay_alu instid0(VALU_DEP_2) | instskip(SKIP_2) | instid1(VALU_DEP_2)
	v_subrev_co_ci_u32_e64 v16, null, s51, v16, vcc_lo
	v_cmp_le_u32_e32 vcc_lo, s50, v22
	s_wait_alu 0xf1ff
	v_subrev_co_ci_u32_e64 v16, null, 0, v16, s2
	s_wait_alu 0xfffd
	v_cndmask_b32_e64 v14, 0, -1, vcc_lo
	s_delay_alu instid0(VALU_DEP_2)
	v_cmp_le_u32_e32 vcc_lo, s51, v16
	s_wait_alu 0xfffd
	v_cndmask_b32_e64 v22, 0, -1, vcc_lo
	v_cmp_le_u32_e32 vcc_lo, s50, v5
	s_wait_alu 0xfffd
	v_cndmask_b32_e64 v5, 0, -1, vcc_lo
	;; [unrolled: 3-line block ×3, first 2 shown]
	v_cmp_eq_u32_e32 vcc_lo, s51, v16
	s_wait_alu 0xfffd
	v_cndmask_b32_e32 v14, v22, v14, vcc_lo
	v_add_co_u32 v16, vcc_lo, v10, 1
	s_wait_alu 0xfffd
	v_add_co_ci_u32_e64 v22, null, 0, v12, vcc_lo
	v_cmp_eq_u32_e32 vcc_lo, s51, v8
	s_wait_alu 0xfffd
	v_cndmask_b32_e32 v5, v23, v5, vcc_lo
	v_cmp_ne_u32_e32 vcc_lo, 0, v14
	s_delay_alu instid0(VALU_DEP_2) | instskip(SKIP_3) | instid1(VALU_DEP_1)
	v_cmp_ne_u32_e64 s2, 0, v5
	s_wait_alu 0xfffd
	v_dual_cndmask_b32 v8, v22, v20 :: v_dual_cndmask_b32 v5, v16, v18
	s_wait_alu 0xf1ff
	v_cndmask_b32_e64 v8, v12, v8, s2
	s_delay_alu instid0(VALU_DEP_2) | instskip(NEXT) | instid1(VALU_DEP_2)
	v_cndmask_b32_e64 v5, v10, v5, s2
	v_xor_b32_e32 v8, v8, v3
	s_delay_alu instid0(VALU_DEP_2) | instskip(NEXT) | instid1(VALU_DEP_1)
	v_xor_b32_e32 v5, v5, v3
	v_sub_co_u32 v23, vcc_lo, v5, v3
	s_wait_alu 0xfffd
	s_delay_alu instid0(VALU_DEP_3)
	v_sub_co_ci_u32_e64 v24, null, v8, v3, vcc_lo
.LBB4_52:                               ;   in Loop: Header=BB4_22 Depth=2
	s_wait_alu 0xfffe
	s_and_not1_saveexec_b32 s2, s41
	s_cbranch_execz .LBB4_54
; %bb.53:                               ;   in Loop: Header=BB4_22 Depth=2
	v_cvt_f32_u32_e32 v3, s44
	s_sub_co_i32 s18, 0, s44
	v_mov_b32_e32 v24, v2
	s_delay_alu instid0(VALU_DEP_2) | instskip(NEXT) | instid1(TRANS32_DEP_1)
	v_rcp_iflag_f32_e32 v3, v3
	v_mul_f32_e32 v3, 0x4f7ffffe, v3
	s_delay_alu instid0(VALU_DEP_1) | instskip(SKIP_1) | instid1(VALU_DEP_1)
	v_cvt_u32_f32_e32 v3, v3
	s_wait_alu 0xfffe
	v_mul_lo_u32 v5, s18, v3
	s_delay_alu instid0(VALU_DEP_1) | instskip(NEXT) | instid1(VALU_DEP_1)
	v_mul_hi_u32 v5, v3, v5
	v_add_nc_u32_e32 v3, v3, v5
	s_delay_alu instid0(VALU_DEP_1) | instskip(NEXT) | instid1(VALU_DEP_1)
	v_mul_hi_u32 v3, v21, v3
	v_mul_lo_u32 v5, v3, s44
	s_delay_alu instid0(VALU_DEP_1) | instskip(NEXT) | instid1(VALU_DEP_1)
	v_sub_nc_u32_e32 v5, v21, v5
	v_subrev_nc_u32_e32 v10, s44, v5
	v_cmp_le_u32_e32 vcc_lo, s44, v5
	s_wait_alu 0xfffd
	s_delay_alu instid0(VALU_DEP_2) | instskip(NEXT) | instid1(VALU_DEP_1)
	v_dual_cndmask_b32 v5, v5, v10 :: v_dual_add_nc_u32 v8, 1, v3
	v_cndmask_b32_e32 v3, v3, v8, vcc_lo
	s_delay_alu instid0(VALU_DEP_2) | instskip(NEXT) | instid1(VALU_DEP_2)
	v_cmp_le_u32_e32 vcc_lo, s44, v5
	v_add_nc_u32_e32 v8, 1, v3
	s_wait_alu 0xfffd
	s_delay_alu instid0(VALU_DEP_1)
	v_cndmask_b32_e32 v23, v3, v8, vcc_lo
.LBB4_54:                               ;   in Loop: Header=BB4_22 Depth=2
	s_wait_alu 0xfffe
	s_or_b32 exec_lo, exec_lo, s2
	v_mul_lo_u32 v3, v9, s28
	v_mul_lo_u32 v5, v11, s30
	;; [unrolled: 1-line block ×5, first 2 shown]
	s_add_nc_u64 s[40:41], s[0:1], s[46:47]
	v_mul_lo_u32 v12, v17, s38
	s_load_b32 s2, s[40:41], 0x6c
	v_sub_nc_u32_e32 v3, v7, v3
	v_sub_nc_u32_e32 v5, v9, v5
	;; [unrolled: 1-line block ×4, first 2 shown]
	v_mul_lo_u32 v9, v21, s42
	v_mul_lo_u32 v3, s25, v3
	;; [unrolled: 1-line block ×4, first 2 shown]
	v_sub_nc_u32_e32 v11, v15, v12
	v_sub_nc_u32_e32 v12, v17, v14
	v_mul_lo_u32 v7, s31, v7
	v_mul_lo_u32 v8, s35, v8
	s_add_co_i32 s26, s26, -8
	v_mul_lo_u32 v11, s37, v11
	v_add3_u32 v3, v3, v4, v5
	v_sub_nc_u32_e32 v4, v19, v9
	v_sub_nc_u32_e32 v5, v21, v10
	v_mul_lo_u32 v9, s39, v12
	s_wait_alu 0xfffe
	s_cmp_eq_u32 s26, -8
	v_add3_u32 v3, v7, v3, v8
	v_mul_lo_u32 v4, s27, v4
	s_wait_kmcnt 0x0
	v_mul_lo_u32 v5, s2, v5
	s_delay_alu instid0(VALU_DEP_3) | instskip(NEXT) | instid1(VALU_DEP_1)
	v_add3_u32 v3, v11, v3, v9
	v_add3_u32 v4, v4, v3, v5
	s_cbranch_scc1 .LBB4_56
; %bb.55:                               ;   in Loop: Header=BB4_22 Depth=2
	v_dual_mov_b32 v7, v23 :: v_dual_mov_b32 v8, v24
	s_branch .LBB4_22
.LBB4_56:                               ;   in Loop: Header=BB4_3 Depth=1
	s_load_b32 s2, s[12:13], 0x4
	s_wait_kmcnt 0x0
	v_cmp_gt_i32_e32 vcc_lo, s2, v28
	s_and_b32 exec_lo, exec_lo, vcc_lo
	s_cbranch_execz .LBB4_2
; %bb.57:                               ;   in Loop: Header=BB4_3 Depth=1
	v_ashrrev_i32_e32 v7, 31, v6
	s_mov_b32 s18, exec_lo
	s_delay_alu instid0(VALU_DEP_1)
	v_cmpx_lt_i64_e64 s[4:5], v[6:7]
	s_cbranch_execz .LBB4_59
; %bb.58:                               ;   in Loop: Header=BB4_3 Depth=1
	v_ashrrev_i32_e32 v3, 31, v4
	v_add_co_u32 v5, vcc_lo, s16, v4
	s_wait_alu 0xfffd
	s_delay_alu instid0(VALU_DEP_2)
	v_add_co_ci_u32_e64 v6, null, s17, v3, vcc_lo
	global_store_b8 v[5:6], v2, off
.LBB4_59:                               ;   in Loop: Header=BB4_3 Depth=1
	s_wait_alu 0xfffe
	s_or_b32 exec_lo, exec_lo, s18
	v_add_nc_u32_e32 v3, 1, v28
	s_delay_alu instid0(VALU_DEP_1)
	v_cmp_gt_i32_e32 vcc_lo, s2, v3
	s_and_b32 exec_lo, exec_lo, vcc_lo
	s_cbranch_execz .LBB4_2
; %bb.60:                               ;   in Loop: Header=BB4_3 Depth=1
	v_sub_nc_u32_e32 v5, v3, v27
	s_mov_b32 s18, exec_lo
	s_delay_alu instid0(VALU_DEP_1) | instskip(NEXT) | instid1(VALU_DEP_1)
	v_ashrrev_i32_e32 v6, 31, v5
	v_cmpx_lt_i64_e64 s[4:5], v[5:6]
	s_cbranch_execz .LBB4_62
; %bb.61:                               ;   in Loop: Header=BB4_3 Depth=1
	v_add_nc_u32_e32 v3, s3, v4
	s_delay_alu instid0(VALU_DEP_1) | instskip(SKIP_2) | instid1(VALU_DEP_2)
	v_ashrrev_i32_e32 v6, 31, v3
	v_add_co_u32 v5, vcc_lo, s16, v3
	s_wait_alu 0xfffd
	v_add_co_ci_u32_e64 v6, null, s17, v6, vcc_lo
	global_store_b8 v[5:6], v2, off
.LBB4_62:                               ;   in Loop: Header=BB4_3 Depth=1
	s_wait_alu 0xfffe
	s_or_b32 exec_lo, exec_lo, s18
	v_add_nc_u32_e32 v3, 2, v28
	s_delay_alu instid0(VALU_DEP_1)
	v_cmp_gt_i32_e32 vcc_lo, s2, v3
	s_and_b32 exec_lo, exec_lo, vcc_lo
	s_cbranch_execz .LBB4_2
; %bb.63:                               ;   in Loop: Header=BB4_3 Depth=1
	v_sub_nc_u32_e32 v5, v3, v27
	s_mov_b32 s18, exec_lo
	s_delay_alu instid0(VALU_DEP_1) | instskip(NEXT) | instid1(VALU_DEP_1)
	v_ashrrev_i32_e32 v6, 31, v5
	v_cmpx_lt_i64_e64 s[4:5], v[5:6]
	s_cbranch_execz .LBB4_65
; %bb.64:                               ;   in Loop: Header=BB4_3 Depth=1
	v_lshl_add_u32 v3, s3, 1, v4
	s_delay_alu instid0(VALU_DEP_1) | instskip(SKIP_2) | instid1(VALU_DEP_2)
	v_ashrrev_i32_e32 v6, 31, v3
	v_add_co_u32 v5, vcc_lo, s16, v3
	s_wait_alu 0xfffd
	v_add_co_ci_u32_e64 v6, null, s17, v6, vcc_lo
	global_store_b8 v[5:6], v2, off
.LBB4_65:                               ;   in Loop: Header=BB4_3 Depth=1
	s_wait_alu 0xfffe
	s_or_b32 exec_lo, exec_lo, s18
	v_add_nc_u32_e32 v3, 3, v28
	s_delay_alu instid0(VALU_DEP_1)
	v_cmp_gt_i32_e32 vcc_lo, s2, v3
	s_and_b32 exec_lo, exec_lo, vcc_lo
	s_cbranch_execz .LBB4_2
; %bb.66:                               ;   in Loop: Header=BB4_3 Depth=1
	v_sub_nc_u32_e32 v5, v3, v27
	s_delay_alu instid0(VALU_DEP_1) | instskip(NEXT) | instid1(VALU_DEP_1)
	v_ashrrev_i32_e32 v6, 31, v5
	v_cmp_lt_i64_e32 vcc_lo, s[4:5], v[5:6]
	s_and_b32 exec_lo, exec_lo, vcc_lo
	s_cbranch_execz .LBB4_2
; %bb.67:                               ;   in Loop: Header=BB4_3 Depth=1
	v_mad_co_u64_u32 v[3:4], null, s3, 3, v[4:5]
	s_delay_alu instid0(VALU_DEP_1) | instskip(SKIP_2) | instid1(VALU_DEP_2)
	v_ashrrev_i32_e32 v4, 31, v3
	v_add_co_u32 v3, vcc_lo, s16, v3
	s_wait_alu 0xfffd
	v_add_co_ci_u32_e64 v4, null, s17, v4, vcc_lo
	global_store_b8 v[3:4], v2, off
	s_branch .LBB4_2
.LBB4_68:
	s_endpgm
	.section	.rodata,"a",@progbits
	.p2align	6, 0x0
	.amdhsa_kernel _ZN2at6native16triu_tril_kernelIaiLb0ELi4ELb1EEEvNS_4cuda6detail10TensorInfoIT_T0_EENS4_IKS5_S6_EEllS6_
		.amdhsa_group_segment_fixed_size 0
		.amdhsa_private_segment_fixed_size 0
		.amdhsa_kernarg_size 712
		.amdhsa_user_sgpr_count 2
		.amdhsa_user_sgpr_dispatch_ptr 0
		.amdhsa_user_sgpr_queue_ptr 0
		.amdhsa_user_sgpr_kernarg_segment_ptr 1
		.amdhsa_user_sgpr_dispatch_id 0
		.amdhsa_user_sgpr_private_segment_size 0
		.amdhsa_wavefront_size32 1
		.amdhsa_uses_dynamic_stack 0
		.amdhsa_enable_private_segment 0
		.amdhsa_system_sgpr_workgroup_id_x 1
		.amdhsa_system_sgpr_workgroup_id_y 0
		.amdhsa_system_sgpr_workgroup_id_z 0
		.amdhsa_system_sgpr_workgroup_info 0
		.amdhsa_system_vgpr_workitem_id 0
		.amdhsa_next_free_vgpr 33
		.amdhsa_next_free_sgpr 66
		.amdhsa_reserve_vcc 1
		.amdhsa_float_round_mode_32 0
		.amdhsa_float_round_mode_16_64 0
		.amdhsa_float_denorm_mode_32 3
		.amdhsa_float_denorm_mode_16_64 3
		.amdhsa_fp16_overflow 0
		.amdhsa_workgroup_processor_mode 1
		.amdhsa_memory_ordered 1
		.amdhsa_forward_progress 1
		.amdhsa_inst_pref_size 98
		.amdhsa_round_robin_scheduling 0
		.amdhsa_exception_fp_ieee_invalid_op 0
		.amdhsa_exception_fp_denorm_src 0
		.amdhsa_exception_fp_ieee_div_zero 0
		.amdhsa_exception_fp_ieee_overflow 0
		.amdhsa_exception_fp_ieee_underflow 0
		.amdhsa_exception_fp_ieee_inexact 0
		.amdhsa_exception_int_div_zero 0
	.end_amdhsa_kernel
	.section	.text._ZN2at6native16triu_tril_kernelIaiLb0ELi4ELb1EEEvNS_4cuda6detail10TensorInfoIT_T0_EENS4_IKS5_S6_EEllS6_,"axG",@progbits,_ZN2at6native16triu_tril_kernelIaiLb0ELi4ELb1EEEvNS_4cuda6detail10TensorInfoIT_T0_EENS4_IKS5_S6_EEllS6_,comdat
.Lfunc_end4:
	.size	_ZN2at6native16triu_tril_kernelIaiLb0ELi4ELb1EEEvNS_4cuda6detail10TensorInfoIT_T0_EENS4_IKS5_S6_EEllS6_, .Lfunc_end4-_ZN2at6native16triu_tril_kernelIaiLb0ELi4ELb1EEEvNS_4cuda6detail10TensorInfoIT_T0_EENS4_IKS5_S6_EEllS6_
                                        ; -- End function
	.set _ZN2at6native16triu_tril_kernelIaiLb0ELi4ELb1EEEvNS_4cuda6detail10TensorInfoIT_T0_EENS4_IKS5_S6_EEllS6_.num_vgpr, 33
	.set _ZN2at6native16triu_tril_kernelIaiLb0ELi4ELb1EEEvNS_4cuda6detail10TensorInfoIT_T0_EENS4_IKS5_S6_EEllS6_.num_agpr, 0
	.set _ZN2at6native16triu_tril_kernelIaiLb0ELi4ELb1EEEvNS_4cuda6detail10TensorInfoIT_T0_EENS4_IKS5_S6_EEllS6_.numbered_sgpr, 66
	.set _ZN2at6native16triu_tril_kernelIaiLb0ELi4ELb1EEEvNS_4cuda6detail10TensorInfoIT_T0_EENS4_IKS5_S6_EEllS6_.num_named_barrier, 0
	.set _ZN2at6native16triu_tril_kernelIaiLb0ELi4ELb1EEEvNS_4cuda6detail10TensorInfoIT_T0_EENS4_IKS5_S6_EEllS6_.private_seg_size, 0
	.set _ZN2at6native16triu_tril_kernelIaiLb0ELi4ELb1EEEvNS_4cuda6detail10TensorInfoIT_T0_EENS4_IKS5_S6_EEllS6_.uses_vcc, 1
	.set _ZN2at6native16triu_tril_kernelIaiLb0ELi4ELb1EEEvNS_4cuda6detail10TensorInfoIT_T0_EENS4_IKS5_S6_EEllS6_.uses_flat_scratch, 0
	.set _ZN2at6native16triu_tril_kernelIaiLb0ELi4ELb1EEEvNS_4cuda6detail10TensorInfoIT_T0_EENS4_IKS5_S6_EEllS6_.has_dyn_sized_stack, 0
	.set _ZN2at6native16triu_tril_kernelIaiLb0ELi4ELb1EEEvNS_4cuda6detail10TensorInfoIT_T0_EENS4_IKS5_S6_EEllS6_.has_recursion, 0
	.set _ZN2at6native16triu_tril_kernelIaiLb0ELi4ELb1EEEvNS_4cuda6detail10TensorInfoIT_T0_EENS4_IKS5_S6_EEllS6_.has_indirect_call, 0
	.section	.AMDGPU.csdata,"",@progbits
; Kernel info:
; codeLenInByte = 12420
; TotalNumSgprs: 68
; NumVgprs: 33
; ScratchSize: 0
; MemoryBound: 0
; FloatMode: 240
; IeeeMode: 1
; LDSByteSize: 0 bytes/workgroup (compile time only)
; SGPRBlocks: 0
; VGPRBlocks: 4
; NumSGPRsForWavesPerEU: 68
; NumVGPRsForWavesPerEU: 33
; Occupancy: 16
; WaveLimiterHint : 0
; COMPUTE_PGM_RSRC2:SCRATCH_EN: 0
; COMPUTE_PGM_RSRC2:USER_SGPR: 2
; COMPUTE_PGM_RSRC2:TRAP_HANDLER: 0
; COMPUTE_PGM_RSRC2:TGID_X_EN: 1
; COMPUTE_PGM_RSRC2:TGID_Y_EN: 0
; COMPUTE_PGM_RSRC2:TGID_Z_EN: 0
; COMPUTE_PGM_RSRC2:TIDIG_COMP_CNT: 0
	.section	.text._ZN2at6native16triu_tril_kernelIaiLb0ELi4ELb0EEEvNS_4cuda6detail10TensorInfoIT_T0_EENS4_IKS5_S6_EEllS6_,"axG",@progbits,_ZN2at6native16triu_tril_kernelIaiLb0ELi4ELb0EEEvNS_4cuda6detail10TensorInfoIT_T0_EENS4_IKS5_S6_EEllS6_,comdat
	.protected	_ZN2at6native16triu_tril_kernelIaiLb0ELi4ELb0EEEvNS_4cuda6detail10TensorInfoIT_T0_EENS4_IKS5_S6_EEllS6_ ; -- Begin function _ZN2at6native16triu_tril_kernelIaiLb0ELi4ELb0EEEvNS_4cuda6detail10TensorInfoIT_T0_EENS4_IKS5_S6_EEllS6_
	.globl	_ZN2at6native16triu_tril_kernelIaiLb0ELi4ELb0EEEvNS_4cuda6detail10TensorInfoIT_T0_EENS4_IKS5_S6_EEllS6_
	.p2align	8
	.type	_ZN2at6native16triu_tril_kernelIaiLb0ELi4ELb0EEEvNS_4cuda6detail10TensorInfoIT_T0_EENS4_IKS5_S6_EEllS6_,@function
_ZN2at6native16triu_tril_kernelIaiLb0ELi4ELb0EEEvNS_4cuda6detail10TensorInfoIT_T0_EENS4_IKS5_S6_EEllS6_: ; @_ZN2at6native16triu_tril_kernelIaiLb0ELi4ELb0EEEvNS_4cuda6detail10TensorInfoIT_T0_EENS4_IKS5_S6_EEllS6_
; %bb.0:
	s_clause 0x1
	s_load_b32 s2, s[0:1], 0x1d4
	s_load_b128 s[4:7], s[0:1], 0x1b0
	v_mov_b32_e32 v2, 0
	s_delay_alu instid0(VALU_DEP_1) | instskip(SKIP_3) | instid1(VALU_DEP_1)
	v_mov_b32_e32 v1, v2
	s_wait_kmcnt 0x0
	s_and_b32 s16, s2, 0xffff
	s_mov_b32 s2, exec_lo
	v_mad_co_u64_u32 v[0:1], null, s16, ttmp9, v[0:1]
	s_delay_alu instid0(VALU_DEP_1) | instskip(NEXT) | instid1(VALU_DEP_1)
	v_lshlrev_b64_e32 v[0:1], 2, v[0:1]
	v_cmpx_gt_i64_e64 s[6:7], v[0:1]
	s_cbranch_execz .LBB5_53
; %bb.1:
	s_clause 0x2
	s_load_b32 s34, s[0:1], 0x1a8
	s_load_b32 s8, s[0:1], 0x1c0
	s_load_b64 s[10:11], s[0:1], 0xd8
	s_add_nc_u64 s[12:13], s[0:1], 0xd8
	s_add_nc_u64 s[18:19], s[0:1], 0x1c8
	s_mov_b32 s17, 0
	s_mov_b32 s20, s4
	;; [unrolled: 1-line block ×6, first 2 shown]
	s_wait_kmcnt 0x0
	s_ashr_i32 s35, s34, 31
	v_cvt_f32_u32_e32 v3, s8
	s_lshl_b64 s[22:23], s[34:35], 2
	s_and_b32 s52, s34, 3
	s_add_nc_u64 s[24:25], s[12:13], s[22:23]
	s_add_nc_u64 s[26:27], s[0:1], s[22:23]
	s_clause 0x1
	s_load_b64 s[2:3], s[24:25], 0x0
	s_load_b64 s[14:15], s[0:1], 0x0
	s_load_b32 s31, s[18:19], 0x0
	v_rcp_iflag_f32_e32 v3, v3
	s_clause 0x1
	s_load_b64 s[22:23], s[24:25], 0x64
	s_load_b64 s[26:27], s[26:27], 0x64
	s_ashr_i32 s9, s8, 31
	s_add_co_i32 s33, s34, -3
	v_cmp_gt_i64_e64 s53, s[34:35], 2
	s_mov_b32 s18, s4
	s_mov_b32 s19, s5
	;; [unrolled: 1-line block ×4, first 2 shown]
	v_mul_f32_e32 v3, 0x4f7ffffe, v3
	s_delay_alu instid0(VALU_DEP_1)
	v_cvt_u32_f32_e32 v18, v3
	s_wait_kmcnt 0x0
	s_mov_b32 s30, s2
	s_mul_i32 s31, s31, s16
	v_cvt_f32_u32_e32 v4, s30
	s_lshl_b32 s54, s31, 2
	s_ashr_i32 s31, s2, 31
	s_cmp_lg_u32 s52, 2
	s_mov_b32 s55, s23
	v_rcp_iflag_f32_e32 v4, v4
	s_cselect_b32 s57, -1, 0
	s_cmp_gt_u32 s33, 2
	s_mov_b32 s56, s27
	s_cselect_b32 s58, -1, 0
	s_ashr_i32 s59, s23, 31
	s_add_co_i32 s23, s23, s23
	s_ashr_i32 s60, s27, 31
	s_add_co_i32 s27, s27, s27
	s_wait_alu 0xfffe
	s_ashr_i32 s34, s9, 31
	v_mul_f32_e32 v3, 0x4f7ffffe, v4
	s_delay_alu instid0(VALU_DEP_1)
	v_cvt_u32_f32_e32 v19, v3
	s_branch .LBB5_3
.LBB5_2:                                ;   in Loop: Header=BB5_3 Depth=1
	s_wait_alu 0xfffe
	s_or_b32 exec_lo, exec_lo, s2
	v_add_co_u32 v0, vcc_lo, v0, s54
	s_wait_alu 0xfffd
	v_add_co_ci_u32_e64 v1, null, 0, v1, vcc_lo
	s_delay_alu instid0(VALU_DEP_1)
	v_cmp_le_i64_e32 vcc_lo, s[6:7], v[0:1]
	s_or_b32 s61, vcc_lo, s61
	s_wait_alu 0xfffe
	s_and_not1_b32 exec_lo, exec_lo, s61
	s_cbranch_execz .LBB5_53
.LBB5_3:                                ; =>This Loop Header: Depth=1
                                        ;     Child Loop BB5_15 Depth 2
                                        ;     Child Loop BB5_20 Depth 2
	v_or_b32_e32 v3, s9, v1
                                        ; implicit-def: $vgpr4_vgpr5
	s_mov_b32 s2, exec_lo
	s_delay_alu instid0(VALU_DEP_1)
	v_cmpx_ne_u64_e32 0, v[2:3]
	s_wait_alu 0xfffe
	s_xor_b32 s38, exec_lo, s2
	s_cbranch_execz .LBB5_5
; %bb.4:                                ;   in Loop: Header=BB5_3 Depth=1
	s_mov_b32 s35, s34
	v_ashrrev_i32_e32 v9, 31, v1
	s_wait_alu 0xfffe
	s_add_nc_u64 s[36:37], s[8:9], s[34:35]
	s_wait_alu 0xfffe
	s_xor_b64 s[36:37], s[36:37], s[34:35]
	v_add_co_u32 v3, vcc_lo, v0, v9
	s_wait_alu 0xfffe
	s_cvt_f32_u32 s2, s36
	s_cvt_f32_u32 s16, s37
	s_sub_nc_u64 s[42:43], 0, s[36:37]
	s_wait_alu 0xfffd
	v_add_co_ci_u32_e64 v4, null, v1, v9, vcc_lo
	s_wait_alu 0xfffe
	s_fmamk_f32 s2, s16, 0x4f800000, s2
	v_xor_b32_e32 v10, v3, v9
	s_delay_alu instid0(VALU_DEP_2) | instskip(SKIP_2) | instid1(TRANS32_DEP_1)
	v_xor_b32_e32 v11, v4, v9
	s_wait_alu 0xfffe
	v_s_rcp_f32 s2, s2
	s_mul_f32 s2, s2, 0x5f7ffffc
	s_wait_alu 0xfffe
	s_delay_alu instid0(SALU_CYCLE_2) | instskip(SKIP_1) | instid1(SALU_CYCLE_2)
	s_mul_f32 s16, s2, 0x2f800000
	s_wait_alu 0xfffe
	s_trunc_f32 s16, s16
	s_wait_alu 0xfffe
	s_delay_alu instid0(SALU_CYCLE_2) | instskip(SKIP_2) | instid1(SALU_CYCLE_1)
	s_fmamk_f32 s2, s16, 0xcf800000, s2
	s_cvt_u32_f32 s41, s16
	s_wait_alu 0xfffe
	s_cvt_u32_f32 s40, s2
	s_wait_alu 0xfffe
	s_delay_alu instid0(SALU_CYCLE_2)
	s_mul_u64 s[44:45], s[42:43], s[40:41]
	s_wait_alu 0xfffe
	s_mul_hi_u32 s47, s40, s45
	s_mul_i32 s46, s40, s45
	s_mul_hi_u32 s16, s40, s44
	s_mul_i32 s35, s41, s44
	s_wait_alu 0xfffe
	s_add_nc_u64 s[46:47], s[16:17], s[46:47]
	s_mul_hi_u32 s2, s41, s44
	s_mul_hi_u32 s39, s41, s45
	s_wait_alu 0xfffe
	s_add_co_u32 s16, s46, s35
	s_add_co_ci_u32 s16, s47, s2
	s_mul_i32 s44, s41, s45
	s_add_co_ci_u32 s45, s39, 0
	s_wait_alu 0xfffe
	s_add_nc_u64 s[44:45], s[16:17], s[44:45]
	s_wait_alu 0xfffe
	s_add_co_u32 s40, s40, s44
	s_cselect_b32 s2, -1, 0
	s_wait_alu 0xfffe
	s_cmp_lg_u32 s2, 0
	s_add_co_ci_u32 s41, s41, s45
	s_wait_alu 0xfffe
	s_mul_u64 s[42:43], s[42:43], s[40:41]
	s_wait_alu 0xfffe
	s_mul_hi_u32 s45, s40, s43
	s_mul_i32 s44, s40, s43
	s_mul_hi_u32 s16, s40, s42
	s_mul_i32 s35, s41, s42
	s_wait_alu 0xfffe
	s_add_nc_u64 s[44:45], s[16:17], s[44:45]
	s_mul_hi_u32 s2, s41, s42
	s_mul_hi_u32 s39, s41, s43
	s_wait_alu 0xfffe
	s_add_co_u32 s16, s44, s35
	s_add_co_ci_u32 s16, s45, s2
	s_mul_i32 s42, s41, s43
	s_add_co_ci_u32 s43, s39, 0
	s_wait_alu 0xfffe
	s_add_nc_u64 s[42:43], s[16:17], s[42:43]
	s_wait_alu 0xfffe
	s_add_co_u32 s2, s40, s42
	s_cselect_b32 s16, -1, 0
	s_wait_alu 0xfffe
	v_mul_hi_u32 v12, v10, s2
	s_cmp_lg_u32 s16, 0
	v_mad_co_u64_u32 v[5:6], null, v11, s2, 0
	s_add_co_ci_u32 s16, s41, s43
	s_wait_alu 0xfffe
	v_mad_co_u64_u32 v[3:4], null, v10, s16, 0
	v_mad_co_u64_u32 v[7:8], null, v11, s16, 0
	s_delay_alu instid0(VALU_DEP_2) | instskip(SKIP_1) | instid1(VALU_DEP_3)
	v_add_co_u32 v3, vcc_lo, v12, v3
	s_wait_alu 0xfffd
	v_add_co_ci_u32_e64 v4, null, 0, v4, vcc_lo
	s_delay_alu instid0(VALU_DEP_2) | instskip(SKIP_1) | instid1(VALU_DEP_2)
	v_add_co_u32 v3, vcc_lo, v3, v5
	s_wait_alu 0xfffd
	v_add_co_ci_u32_e32 v3, vcc_lo, v4, v6, vcc_lo
	s_wait_alu 0xfffd
	v_add_co_ci_u32_e32 v4, vcc_lo, 0, v8, vcc_lo
	s_delay_alu instid0(VALU_DEP_2) | instskip(SKIP_1) | instid1(VALU_DEP_2)
	v_add_co_u32 v5, vcc_lo, v3, v7
	s_wait_alu 0xfffd
	v_add_co_ci_u32_e64 v6, null, 0, v4, vcc_lo
	s_delay_alu instid0(VALU_DEP_2) | instskip(SKIP_1) | instid1(VALU_DEP_3)
	v_mul_lo_u32 v7, s37, v5
	v_mad_co_u64_u32 v[3:4], null, s36, v5, 0
	v_mul_lo_u32 v8, s36, v6
	s_delay_alu instid0(VALU_DEP_2) | instskip(NEXT) | instid1(VALU_DEP_2)
	v_sub_co_u32 v3, vcc_lo, v10, v3
	v_add3_u32 v4, v4, v8, v7
	v_add_co_u32 v8, s2, v5, 2
	s_wait_alu 0xf1ff
	v_add_co_ci_u32_e64 v10, null, 0, v6, s2
	s_delay_alu instid0(VALU_DEP_3) | instskip(SKIP_3) | instid1(VALU_DEP_3)
	v_sub_nc_u32_e32 v7, v11, v4
	v_sub_co_u32 v12, s2, v3, s36
	s_wait_alu 0xfffd
	v_sub_co_ci_u32_e64 v4, null, v11, v4, vcc_lo
	v_subrev_co_ci_u32_e64 v7, null, s37, v7, vcc_lo
	s_delay_alu instid0(VALU_DEP_3) | instskip(SKIP_1) | instid1(VALU_DEP_2)
	v_cmp_le_u32_e32 vcc_lo, s36, v12
	s_wait_alu 0xf1ff
	v_subrev_co_ci_u32_e64 v7, null, 0, v7, s2
	s_wait_alu 0xfffd
	v_cndmask_b32_e64 v11, 0, -1, vcc_lo
	s_delay_alu instid0(VALU_DEP_2)
	v_cmp_le_u32_e32 vcc_lo, s37, v7
	s_wait_alu 0xfffd
	v_cndmask_b32_e64 v12, 0, -1, vcc_lo
	v_cmp_le_u32_e32 vcc_lo, s36, v3
	s_wait_alu 0xfffd
	v_cndmask_b32_e64 v3, 0, -1, vcc_lo
	;; [unrolled: 3-line block ×3, first 2 shown]
	v_cmp_eq_u32_e32 vcc_lo, s37, v7
	s_wait_alu 0xfffd
	v_cndmask_b32_e32 v7, v12, v11, vcc_lo
	v_add_co_u32 v11, vcc_lo, v5, 1
	s_wait_alu 0xfffd
	v_add_co_ci_u32_e64 v12, null, 0, v6, vcc_lo
	v_cmp_eq_u32_e32 vcc_lo, s37, v4
	s_wait_alu 0xfffd
	v_cndmask_b32_e32 v3, v13, v3, vcc_lo
	v_cmp_ne_u32_e32 vcc_lo, 0, v7
	v_xor_b32_e32 v7, s34, v9
	s_wait_alu 0xfffd
	v_cndmask_b32_e32 v4, v12, v10, vcc_lo
	v_cmp_ne_u32_e64 s2, 0, v3
	v_cndmask_b32_e32 v3, v11, v8, vcc_lo
	s_wait_alu 0xf1ff
	s_delay_alu instid0(VALU_DEP_2) | instskip(NEXT) | instid1(VALU_DEP_2)
	v_cndmask_b32_e64 v4, v6, v4, s2
	v_cndmask_b32_e64 v3, v5, v3, s2
	s_delay_alu instid0(VALU_DEP_2) | instskip(NEXT) | instid1(VALU_DEP_2)
	v_xor_b32_e32 v5, v4, v7
	v_xor_b32_e32 v3, v3, v7
	s_delay_alu instid0(VALU_DEP_1) | instskip(SKIP_1) | instid1(VALU_DEP_3)
	v_sub_co_u32 v4, vcc_lo, v3, v7
	s_wait_alu 0xfffd
	v_sub_co_ci_u32_e64 v5, null, v5, v7, vcc_lo
.LBB5_5:                                ;   in Loop: Header=BB5_3 Depth=1
	s_wait_alu 0xfffe
	s_and_not1_saveexec_b32 s2, s38
	s_cbranch_execz .LBB5_7
; %bb.6:                                ;   in Loop: Header=BB5_3 Depth=1
	s_sub_co_i32 s16, 0, s8
	s_wait_alu 0xfffe
	v_mul_lo_u32 v3, s16, v18
	s_delay_alu instid0(VALU_DEP_1) | instskip(NEXT) | instid1(VALU_DEP_1)
	v_mul_hi_u32 v3, v18, v3
	v_add_nc_u32_e32 v3, v18, v3
	s_delay_alu instid0(VALU_DEP_1) | instskip(NEXT) | instid1(VALU_DEP_1)
	v_mul_hi_u32 v3, v0, v3
	v_mul_lo_u32 v4, v3, s8
	v_add_nc_u32_e32 v5, 1, v3
	s_delay_alu instid0(VALU_DEP_2) | instskip(NEXT) | instid1(VALU_DEP_1)
	v_sub_nc_u32_e32 v4, v0, v4
	v_subrev_nc_u32_e32 v6, s8, v4
	v_cmp_le_u32_e32 vcc_lo, s8, v4
	s_wait_alu 0xfffd
	s_delay_alu instid0(VALU_DEP_2) | instskip(NEXT) | instid1(VALU_DEP_1)
	v_dual_cndmask_b32 v4, v4, v6 :: v_dual_cndmask_b32 v3, v3, v5
	v_cmp_le_u32_e32 vcc_lo, s8, v4
	s_delay_alu instid0(VALU_DEP_2) | instskip(SKIP_1) | instid1(VALU_DEP_1)
	v_add_nc_u32_e32 v5, 1, v3
	s_wait_alu 0xfffd
	v_dual_cndmask_b32 v4, v3, v5 :: v_dual_mov_b32 v5, v2
.LBB5_7:                                ;   in Loop: Header=BB5_3 Depth=1
	s_wait_alu 0xfffe
	s_or_b32 exec_lo, exec_lo, s2
	s_delay_alu instid0(VALU_DEP_1) | instskip(SKIP_1) | instid1(VALU_DEP_1)
	v_or_b32_e32 v3, s31, v5
                                        ; implicit-def: $vgpr8_vgpr9
	s_mov_b32 s2, exec_lo
	v_cmpx_ne_u64_e32 0, v[2:3]
	s_wait_alu 0xfffe
	s_xor_b32 s35, exec_lo, s2
	s_cbranch_execz .LBB5_9
; %bb.8:                                ;   in Loop: Header=BB5_3 Depth=1
	s_ashr_i32 s36, s31, 31
	v_ashrrev_i32_e32 v3, 31, v5
	s_wait_alu 0xfffe
	s_mov_b32 s37, s36
	s_wait_alu 0xfffe
	s_add_nc_u64 s[38:39], s[30:31], s[36:37]
	v_add_co_u32 v6, vcc_lo, v4, v3
	s_wait_alu 0xfffe
	s_xor_b64 s[38:39], s[38:39], s[36:37]
	s_wait_alu 0xfffd
	v_add_co_ci_u32_e64 v5, null, v5, v3, vcc_lo
	s_wait_alu 0xfffe
	s_cvt_f32_u32 s2, s38
	s_cvt_f32_u32 s16, s39
	s_sub_nc_u64 s[42:43], 0, s[38:39]
	v_xor_b32_e32 v11, v6, v3
	v_xor_b32_e32 v12, v5, v3
	s_wait_alu 0xfffe
	s_fmamk_f32 s2, s16, 0x4f800000, s2
	v_xor_b32_e32 v3, s36, v3
	s_wait_alu 0xfffe
	s_delay_alu instid0(SALU_CYCLE_1) | instskip(NEXT) | instid1(TRANS32_DEP_1)
	v_s_rcp_f32 s2, s2
	s_mul_f32 s2, s2, 0x5f7ffffc
	s_wait_alu 0xfffe
	s_delay_alu instid0(SALU_CYCLE_2) | instskip(SKIP_1) | instid1(SALU_CYCLE_2)
	s_mul_f32 s16, s2, 0x2f800000
	s_wait_alu 0xfffe
	s_trunc_f32 s16, s16
	s_wait_alu 0xfffe
	s_delay_alu instid0(SALU_CYCLE_2) | instskip(SKIP_2) | instid1(SALU_CYCLE_1)
	s_fmamk_f32 s2, s16, 0xcf800000, s2
	s_cvt_u32_f32 s41, s16
	s_wait_alu 0xfffe
	s_cvt_u32_f32 s40, s2
	s_wait_alu 0xfffe
	s_delay_alu instid0(SALU_CYCLE_2)
	s_mul_u64 s[44:45], s[42:43], s[40:41]
	s_wait_alu 0xfffe
	s_mul_hi_u32 s47, s40, s45
	s_mul_i32 s46, s40, s45
	s_mul_hi_u32 s16, s40, s44
	s_mul_i32 s37, s41, s44
	s_wait_alu 0xfffe
	s_add_nc_u64 s[46:47], s[16:17], s[46:47]
	s_mul_hi_u32 s2, s41, s44
	s_mul_hi_u32 s48, s41, s45
	s_wait_alu 0xfffe
	s_add_co_u32 s16, s46, s37
	s_add_co_ci_u32 s16, s47, s2
	s_mul_i32 s44, s41, s45
	s_add_co_ci_u32 s45, s48, 0
	s_wait_alu 0xfffe
	s_add_nc_u64 s[44:45], s[16:17], s[44:45]
	s_wait_alu 0xfffe
	s_add_co_u32 s40, s40, s44
	s_cselect_b32 s2, -1, 0
	s_wait_alu 0xfffe
	s_cmp_lg_u32 s2, 0
	s_add_co_ci_u32 s41, s41, s45
	s_wait_alu 0xfffe
	s_mul_u64 s[42:43], s[42:43], s[40:41]
	s_wait_alu 0xfffe
	s_mul_hi_u32 s45, s40, s43
	s_mul_i32 s44, s40, s43
	s_mul_hi_u32 s16, s40, s42
	s_mul_i32 s37, s41, s42
	s_wait_alu 0xfffe
	s_add_nc_u64 s[44:45], s[16:17], s[44:45]
	s_mul_hi_u32 s2, s41, s42
	s_mul_hi_u32 s46, s41, s43
	s_wait_alu 0xfffe
	s_add_co_u32 s16, s44, s37
	s_add_co_ci_u32 s16, s45, s2
	s_mul_i32 s42, s41, s43
	s_add_co_ci_u32 s43, s46, 0
	s_wait_alu 0xfffe
	s_add_nc_u64 s[42:43], s[16:17], s[42:43]
	s_wait_alu 0xfffe
	s_add_co_u32 s2, s40, s42
	s_cselect_b32 s16, -1, 0
	s_wait_alu 0xfffe
	v_mul_hi_u32 v13, v11, s2
	s_cmp_lg_u32 s16, 0
	v_mad_co_u64_u32 v[7:8], null, v12, s2, 0
	s_add_co_ci_u32 s16, s41, s43
	s_wait_alu 0xfffe
	v_mad_co_u64_u32 v[5:6], null, v11, s16, 0
	v_mad_co_u64_u32 v[9:10], null, v12, s16, 0
	s_delay_alu instid0(VALU_DEP_2) | instskip(SKIP_1) | instid1(VALU_DEP_3)
	v_add_co_u32 v5, vcc_lo, v13, v5
	s_wait_alu 0xfffd
	v_add_co_ci_u32_e64 v6, null, 0, v6, vcc_lo
	s_delay_alu instid0(VALU_DEP_2) | instskip(SKIP_1) | instid1(VALU_DEP_2)
	v_add_co_u32 v5, vcc_lo, v5, v7
	s_wait_alu 0xfffd
	v_add_co_ci_u32_e32 v5, vcc_lo, v6, v8, vcc_lo
	s_wait_alu 0xfffd
	v_add_co_ci_u32_e32 v6, vcc_lo, 0, v10, vcc_lo
	s_delay_alu instid0(VALU_DEP_2) | instskip(SKIP_1) | instid1(VALU_DEP_2)
	v_add_co_u32 v7, vcc_lo, v5, v9
	s_wait_alu 0xfffd
	v_add_co_ci_u32_e64 v8, null, 0, v6, vcc_lo
	s_delay_alu instid0(VALU_DEP_2) | instskip(SKIP_1) | instid1(VALU_DEP_3)
	v_mul_lo_u32 v9, s39, v7
	v_mad_co_u64_u32 v[5:6], null, s38, v7, 0
	v_mul_lo_u32 v10, s38, v8
	s_delay_alu instid0(VALU_DEP_2) | instskip(NEXT) | instid1(VALU_DEP_2)
	v_sub_co_u32 v5, vcc_lo, v11, v5
	v_add3_u32 v6, v6, v10, v9
	v_add_co_u32 v10, s2, v7, 2
	s_wait_alu 0xf1ff
	v_add_co_ci_u32_e64 v11, null, 0, v8, s2
	s_delay_alu instid0(VALU_DEP_3) | instskip(SKIP_3) | instid1(VALU_DEP_3)
	v_sub_nc_u32_e32 v9, v12, v6
	v_sub_co_u32 v13, s2, v5, s38
	s_wait_alu 0xfffd
	v_sub_co_ci_u32_e64 v6, null, v12, v6, vcc_lo
	v_subrev_co_ci_u32_e64 v9, null, s39, v9, vcc_lo
	s_delay_alu instid0(VALU_DEP_3) | instskip(SKIP_1) | instid1(VALU_DEP_2)
	v_cmp_le_u32_e32 vcc_lo, s38, v13
	s_wait_alu 0xf1ff
	v_subrev_co_ci_u32_e64 v9, null, 0, v9, s2
	s_wait_alu 0xfffd
	v_cndmask_b32_e64 v12, 0, -1, vcc_lo
	s_delay_alu instid0(VALU_DEP_2)
	v_cmp_le_u32_e32 vcc_lo, s39, v9
	s_wait_alu 0xfffd
	v_cndmask_b32_e64 v13, 0, -1, vcc_lo
	v_cmp_le_u32_e32 vcc_lo, s38, v5
	s_wait_alu 0xfffd
	v_cndmask_b32_e64 v5, 0, -1, vcc_lo
	v_cmp_le_u32_e32 vcc_lo, s39, v6
	s_wait_alu 0xfffd
	v_cndmask_b32_e64 v14, 0, -1, vcc_lo
	v_cmp_eq_u32_e32 vcc_lo, s39, v9
	s_wait_alu 0xfffd
	v_cndmask_b32_e32 v9, v13, v12, vcc_lo
	v_add_co_u32 v12, vcc_lo, v7, 1
	s_wait_alu 0xfffd
	v_add_co_ci_u32_e64 v13, null, 0, v8, vcc_lo
	v_cmp_eq_u32_e32 vcc_lo, s39, v6
	s_wait_alu 0xfffd
	v_cndmask_b32_e32 v5, v14, v5, vcc_lo
	v_cmp_ne_u32_e32 vcc_lo, 0, v9
	s_wait_alu 0xfffd
	v_cndmask_b32_e32 v6, v13, v11, vcc_lo
	s_delay_alu instid0(VALU_DEP_3) | instskip(SKIP_2) | instid1(VALU_DEP_2)
	v_cmp_ne_u32_e64 s2, 0, v5
	v_cndmask_b32_e32 v5, v12, v10, vcc_lo
	s_wait_alu 0xf1ff
	v_cndmask_b32_e64 v6, v8, v6, s2
	s_delay_alu instid0(VALU_DEP_2) | instskip(NEXT) | instid1(VALU_DEP_2)
	v_cndmask_b32_e64 v5, v7, v5, s2
	v_xor_b32_e32 v6, v6, v3
	s_delay_alu instid0(VALU_DEP_2) | instskip(NEXT) | instid1(VALU_DEP_1)
	v_xor_b32_e32 v5, v5, v3
	v_sub_co_u32 v8, vcc_lo, v5, v3
	s_wait_alu 0xfffd
	s_delay_alu instid0(VALU_DEP_3)
	v_sub_co_ci_u32_e64 v9, null, v6, v3, vcc_lo
.LBB5_9:                                ;   in Loop: Header=BB5_3 Depth=1
	s_wait_alu 0xfffe
	s_and_not1_saveexec_b32 s2, s35
	s_cbranch_execz .LBB5_11
; %bb.10:                               ;   in Loop: Header=BB5_3 Depth=1
	s_sub_co_i32 s16, 0, s30
	v_mov_b32_e32 v9, v2
	s_wait_alu 0xfffe
	v_mul_lo_u32 v3, s16, v19
	s_delay_alu instid0(VALU_DEP_1) | instskip(NEXT) | instid1(VALU_DEP_1)
	v_mul_hi_u32 v3, v19, v3
	v_add_nc_u32_e32 v3, v19, v3
	s_delay_alu instid0(VALU_DEP_1) | instskip(NEXT) | instid1(VALU_DEP_1)
	v_mul_hi_u32 v3, v4, v3
	v_mul_lo_u32 v5, v3, s30
	v_add_nc_u32_e32 v6, 1, v3
	s_delay_alu instid0(VALU_DEP_2) | instskip(NEXT) | instid1(VALU_DEP_1)
	v_sub_nc_u32_e32 v5, v4, v5
	v_cmp_le_u32_e32 vcc_lo, s30, v5
	v_subrev_nc_u32_e32 v7, s30, v5
	s_wait_alu 0xfffd
	v_cndmask_b32_e32 v3, v3, v6, vcc_lo
	s_delay_alu instid0(VALU_DEP_1) | instskip(NEXT) | instid1(VALU_DEP_3)
	v_add_nc_u32_e32 v6, 1, v3
	v_cndmask_b32_e32 v5, v5, v7, vcc_lo
	s_delay_alu instid0(VALU_DEP_1) | instskip(SKIP_1) | instid1(VALU_DEP_3)
	v_cmp_le_u32_e32 vcc_lo, s30, v5
	s_wait_alu 0xfffd
	v_cndmask_b32_e32 v8, v3, v6, vcc_lo
.LBB5_11:                               ;   in Loop: Header=BB5_3 Depth=1
	s_wait_alu 0xfffe
	s_or_b32 exec_lo, exec_lo, s2
	v_mad_co_u64_u32 v[5:6], null, v4, s8, 0
	s_delay_alu instid0(VALU_DEP_2) | instskip(SKIP_3) | instid1(VALU_DEP_2)
	v_mad_co_u64_u32 v[6:7], null, v8, s30, 0
	s_and_not1_b32 vcc_lo, exec_lo, s53
	v_sub_co_u32 v20, null, v0, v5
	v_sub_co_u32 v21, null, v4, v6
	v_mul_lo_u32 v3, s55, v20
	v_mul_lo_u32 v5, s56, v20
	s_delay_alu instid0(VALU_DEP_2) | instskip(NEXT) | instid1(VALU_DEP_1)
	v_mad_co_u64_u32 v[6:7], null, s22, v21, v[3:4]
	v_mad_co_u64_u32 v[4:5], null, s26, v21, v[5:6]
	s_wait_alu 0xfffe
	s_cbranch_vccnz .LBB5_38
; %bb.12:                               ;   in Loop: Header=BB5_3 Depth=1
	s_mov_b32 s35, 1
	s_and_not1_b32 vcc_lo, exec_lo, s57
	s_mov_b32 s16, s33
	s_mov_b32 s2, s33
	s_wait_alu 0xfffe
	s_cbranch_vccz .LBB5_15
; %bb.13:                               ;   in Loop: Header=BB5_3 Depth=1
	s_and_b32 vcc_lo, exec_lo, s58
	s_mov_b32 s16, s2
	s_wait_alu 0xfffe
	s_cbranch_vccnz .LBB5_20
	s_branch .LBB5_38
.LBB5_14:                               ;   in Loop: Header=BB5_15 Depth=2
	s_wait_alu 0xfffe
	s_or_b32 exec_lo, exec_lo, s2
	s_add_nc_u64 s[40:41], s[0:1], s[40:41]
	s_clause 0x1
	s_load_b32 s2, s[38:39], 0x6c
	s_load_b32 s37, s[40:41], 0x6c
	v_mul_lo_u32 v3, v10, s36
	s_add_co_i32 s16, s16, -1
	s_delay_alu instid0(VALU_DEP_1) | instskip(SKIP_2) | instid1(VALU_DEP_2)
	v_sub_nc_u32_e32 v3, v8, v3
	v_dual_mov_b32 v8, v10 :: v_dual_mov_b32 v9, v11
	s_wait_kmcnt 0x0
	v_mad_co_u64_u32 v[6:7], null, s2, v3, v[6:7]
	v_mad_co_u64_u32 v[4:5], null, s37, v3, v[4:5]
	s_xor_b32 s2, s52, s35
	s_add_co_i32 s35, s35, 1
	s_wait_alu 0xfffe
	s_cmp_lg_u32 s2, 2
	s_cbranch_scc0 .LBB5_19
.LBB5_15:                               ;   Parent Loop BB5_3 Depth=1
                                        ; =>  This Inner Loop Header: Depth=2
	s_lshl_b64 s[40:41], s[16:17], 2
                                        ; implicit-def: $vgpr10_vgpr11
	s_mov_b32 s2, exec_lo
	s_wait_alu 0xfffe
	s_add_nc_u64 s[38:39], s[12:13], s[40:41]
	s_load_b32 s36, s[38:39], 0x8
	s_wait_kmcnt 0x0
	s_ashr_i32 s37, s36, 31
	s_wait_alu 0xfffe
	v_or_b32_e32 v3, s37, v9
	s_delay_alu instid0(VALU_DEP_1)
	v_cmpx_ne_u64_e32 0, v[2:3]
	s_xor_b32 s46, exec_lo, s2
	s_cbranch_execz .LBB5_17
; %bb.16:                               ;   in Loop: Header=BB5_15 Depth=2
	s_ashr_i32 s42, s37, 31
	s_mov_b32 s63, s17
	s_wait_alu 0xfffe
	s_mov_b32 s43, s42
	s_mov_b32 s67, s17
	s_wait_alu 0xfffe
	s_add_nc_u64 s[44:45], s[36:37], s[42:43]
	v_ashrrev_i32_e32 v3, 31, v9
	s_wait_alu 0xfffe
	s_xor_b64 s[44:45], s[44:45], s[42:43]
	s_wait_alu 0xfffe
	s_cvt_f32_u32 s2, s44
	s_cvt_f32_u32 s37, s45
	s_sub_nc_u64 s[50:51], 0, s[44:45]
	v_add_co_u32 v5, vcc_lo, v8, v3
	s_wait_alu 0xfffe
	s_fmamk_f32 s2, s37, 0x4f800000, s2
	s_wait_alu 0xfffd
	v_add_co_ci_u32_e64 v7, null, v9, v3, vcc_lo
	v_xor_b32_e32 v5, v5, v3
	s_wait_alu 0xfffe
	v_s_rcp_f32 s2, s2
	s_delay_alu instid0(VALU_DEP_2) | instskip(SKIP_1) | instid1(TRANS32_DEP_1)
	v_xor_b32_e32 v7, v7, v3
	v_xor_b32_e32 v3, s42, v3
	s_mul_f32 s2, s2, 0x5f7ffffc
	s_wait_alu 0xfffe
	s_delay_alu instid0(SALU_CYCLE_2) | instskip(SKIP_1) | instid1(SALU_CYCLE_2)
	s_mul_f32 s37, s2, 0x2f800000
	s_wait_alu 0xfffe
	s_trunc_f32 s37, s37
	s_wait_alu 0xfffe
	s_delay_alu instid0(SALU_CYCLE_2) | instskip(SKIP_2) | instid1(SALU_CYCLE_1)
	s_fmamk_f32 s2, s37, 0xcf800000, s2
	s_cvt_u32_f32 s49, s37
	s_wait_alu 0xfffe
	s_cvt_u32_f32 s48, s2
	s_wait_alu 0xfffe
	s_delay_alu instid0(SALU_CYCLE_2) | instskip(NEXT) | instid1(SALU_CYCLE_1)
	s_mul_u64 s[64:65], s[50:51], s[48:49]
	s_mul_hi_u32 s69, s48, s65
	s_mul_i32 s68, s48, s65
	s_mul_hi_u32 s62, s48, s64
	s_mul_i32 s37, s49, s64
	s_wait_alu 0xfffe
	s_add_nc_u64 s[62:63], s[62:63], s[68:69]
	s_mul_hi_u32 s2, s49, s64
	s_mul_hi_u32 s43, s49, s65
	s_wait_alu 0xfffe
	s_add_co_u32 s37, s62, s37
	s_add_co_ci_u32 s66, s63, s2
	s_mul_i32 s64, s49, s65
	s_add_co_ci_u32 s65, s43, 0
	s_delay_alu instid0(SALU_CYCLE_1)
	s_add_nc_u64 s[62:63], s[66:67], s[64:65]
	s_mov_b32 s65, s17
	s_wait_alu 0xfffe
	s_add_co_u32 s48, s48, s62
	s_cselect_b32 s2, -1, 0
	s_wait_alu 0xfffe
	s_cmp_lg_u32 s2, 0
	s_add_co_ci_u32 s49, s49, s63
	s_mov_b32 s63, s17
	s_wait_alu 0xfffe
	s_mul_u64 s[50:51], s[50:51], s[48:49]
	s_wait_alu 0xfffe
	s_mul_hi_u32 s67, s48, s51
	s_mul_i32 s66, s48, s51
	s_mul_hi_u32 s64, s48, s50
	s_mul_i32 s37, s49, s50
	s_add_nc_u64 s[64:65], s[64:65], s[66:67]
	s_mul_hi_u32 s2, s49, s50
	s_mul_hi_u32 s43, s49, s51
	s_wait_alu 0xfffe
	s_add_co_u32 s37, s64, s37
	s_add_co_ci_u32 s62, s65, s2
	s_mul_i32 s50, s49, s51
	s_add_co_ci_u32 s51, s43, 0
	s_wait_alu 0xfffe
	s_add_nc_u64 s[50:51], s[62:63], s[50:51]
	s_wait_alu 0xfffe
	s_add_co_u32 s2, s48, s50
	s_cselect_b32 s37, -1, 0
	s_wait_alu 0xfffe
	v_mul_hi_u32 v15, v5, s2
	s_cmp_lg_u32 s37, 0
	v_mad_co_u64_u32 v[11:12], null, v7, s2, 0
	s_add_co_ci_u32 s37, s49, s51
	s_wait_alu 0xfffe
	v_mad_co_u64_u32 v[9:10], null, v5, s37, 0
	v_mad_co_u64_u32 v[13:14], null, v7, s37, 0
	s_delay_alu instid0(VALU_DEP_2) | instskip(SKIP_1) | instid1(VALU_DEP_3)
	v_add_co_u32 v9, vcc_lo, v15, v9
	s_wait_alu 0xfffd
	v_add_co_ci_u32_e64 v10, null, 0, v10, vcc_lo
	s_delay_alu instid0(VALU_DEP_2) | instskip(SKIP_1) | instid1(VALU_DEP_2)
	v_add_co_u32 v9, vcc_lo, v9, v11
	s_wait_alu 0xfffd
	v_add_co_ci_u32_e32 v9, vcc_lo, v10, v12, vcc_lo
	s_wait_alu 0xfffd
	v_add_co_ci_u32_e32 v10, vcc_lo, 0, v14, vcc_lo
	s_delay_alu instid0(VALU_DEP_2) | instskip(SKIP_1) | instid1(VALU_DEP_2)
	v_add_co_u32 v11, vcc_lo, v9, v13
	s_wait_alu 0xfffd
	v_add_co_ci_u32_e64 v12, null, 0, v10, vcc_lo
	s_delay_alu instid0(VALU_DEP_2) | instskip(SKIP_1) | instid1(VALU_DEP_3)
	v_mul_lo_u32 v13, s45, v11
	v_mad_co_u64_u32 v[9:10], null, s44, v11, 0
	v_mul_lo_u32 v14, s44, v12
	s_delay_alu instid0(VALU_DEP_2) | instskip(NEXT) | instid1(VALU_DEP_2)
	v_sub_co_u32 v5, vcc_lo, v5, v9
	v_add3_u32 v10, v10, v14, v13
	s_delay_alu instid0(VALU_DEP_1) | instskip(SKIP_2) | instid1(VALU_DEP_2)
	v_sub_nc_u32_e32 v13, v7, v10
	s_wait_alu 0xfffd
	v_sub_co_ci_u32_e64 v7, null, v7, v10, vcc_lo
	v_subrev_co_ci_u32_e64 v9, null, s45, v13, vcc_lo
	v_add_co_u32 v13, s2, v11, 2
	s_wait_alu 0xf1ff
	v_add_co_ci_u32_e64 v14, null, 0, v12, s2
	v_sub_co_u32 v15, s2, v5, s44
	s_wait_alu 0xf1ff
	v_subrev_co_ci_u32_e64 v9, null, 0, v9, s2
	s_delay_alu instid0(VALU_DEP_2) | instskip(SKIP_2) | instid1(VALU_DEP_3)
	v_cmp_le_u32_e32 vcc_lo, s44, v15
	s_wait_alu 0xfffd
	v_cndmask_b32_e64 v10, 0, -1, vcc_lo
	v_cmp_le_u32_e32 vcc_lo, s45, v9
	s_wait_alu 0xfffd
	v_cndmask_b32_e64 v15, 0, -1, vcc_lo
	;; [unrolled: 3-line block ×4, first 2 shown]
	v_cmp_eq_u32_e32 vcc_lo, s45, v9
	s_wait_alu 0xfffd
	v_cndmask_b32_e32 v9, v15, v10, vcc_lo
	v_add_co_u32 v10, vcc_lo, v11, 1
	s_wait_alu 0xfffd
	v_add_co_ci_u32_e64 v15, null, 0, v12, vcc_lo
	v_cmp_eq_u32_e32 vcc_lo, s45, v7
	s_wait_alu 0xfffd
	v_cndmask_b32_e32 v5, v16, v5, vcc_lo
	v_cmp_ne_u32_e32 vcc_lo, 0, v9
	s_delay_alu instid0(VALU_DEP_2) | instskip(SKIP_4) | instid1(VALU_DEP_2)
	v_cmp_ne_u32_e64 s2, 0, v5
	s_wait_alu 0xfffd
	v_cndmask_b32_e32 v5, v10, v13, vcc_lo
	v_cndmask_b32_e32 v7, v15, v14, vcc_lo
	s_wait_alu 0xf1ff
	v_cndmask_b32_e64 v5, v11, v5, s2
	s_delay_alu instid0(VALU_DEP_2) | instskip(NEXT) | instid1(VALU_DEP_2)
	v_cndmask_b32_e64 v7, v12, v7, s2
	v_xor_b32_e32 v5, v5, v3
	s_delay_alu instid0(VALU_DEP_2) | instskip(NEXT) | instid1(VALU_DEP_2)
	v_xor_b32_e32 v7, v7, v3
	v_sub_co_u32 v10, vcc_lo, v5, v3
	s_wait_alu 0xfffd
	s_delay_alu instid0(VALU_DEP_2)
	v_sub_co_ci_u32_e64 v11, null, v7, v3, vcc_lo
.LBB5_17:                               ;   in Loop: Header=BB5_15 Depth=2
	s_wait_alu 0xfffe
	s_and_not1_saveexec_b32 s2, s46
	s_cbranch_execz .LBB5_14
; %bb.18:                               ;   in Loop: Header=BB5_15 Depth=2
	v_cvt_f32_u32_e32 v3, s36
	s_sub_co_i32 s37, 0, s36
	v_mov_b32_e32 v11, v2
	s_delay_alu instid0(VALU_DEP_2) | instskip(NEXT) | instid1(TRANS32_DEP_1)
	v_rcp_iflag_f32_e32 v3, v3
	v_mul_f32_e32 v3, 0x4f7ffffe, v3
	s_delay_alu instid0(VALU_DEP_1) | instskip(SKIP_1) | instid1(VALU_DEP_1)
	v_cvt_u32_f32_e32 v3, v3
	s_wait_alu 0xfffe
	v_mul_lo_u32 v5, s37, v3
	s_delay_alu instid0(VALU_DEP_1) | instskip(NEXT) | instid1(VALU_DEP_1)
	v_mul_hi_u32 v5, v3, v5
	v_add_nc_u32_e32 v3, v3, v5
	s_delay_alu instid0(VALU_DEP_1) | instskip(NEXT) | instid1(VALU_DEP_1)
	v_mul_hi_u32 v3, v8, v3
	v_mul_lo_u32 v5, v3, s36
	v_add_nc_u32_e32 v7, 1, v3
	s_delay_alu instid0(VALU_DEP_2) | instskip(NEXT) | instid1(VALU_DEP_1)
	v_sub_nc_u32_e32 v5, v8, v5
	v_cmp_le_u32_e32 vcc_lo, s36, v5
	v_subrev_nc_u32_e32 v9, s36, v5
	s_wait_alu 0xfffd
	v_cndmask_b32_e32 v3, v3, v7, vcc_lo
	s_delay_alu instid0(VALU_DEP_1) | instskip(NEXT) | instid1(VALU_DEP_3)
	v_add_nc_u32_e32 v7, 1, v3
	v_cndmask_b32_e32 v5, v5, v9, vcc_lo
	s_delay_alu instid0(VALU_DEP_1) | instskip(SKIP_1) | instid1(VALU_DEP_3)
	v_cmp_le_u32_e32 vcc_lo, s36, v5
	s_wait_alu 0xfffd
	v_cndmask_b32_e32 v10, v3, v7, vcc_lo
	s_branch .LBB5_14
.LBB5_19:                               ;   in Loop: Header=BB5_3 Depth=1
	s_mov_b32 s2, s16
	s_and_b32 vcc_lo, exec_lo, s58
	s_wait_alu 0xfffe
	s_mov_b32 s16, s2
	s_cbranch_vccz .LBB5_38
.LBB5_20:                               ;   Parent Loop BB5_3 Depth=1
                                        ; =>  This Inner Loop Header: Depth=2
	s_wait_alu 0xfffe
	s_lshl_b64 s[46:47], s[16:17], 2
                                        ; implicit-def: $vgpr10_vgpr11
	s_mov_b32 s2, exec_lo
	s_wait_alu 0xfffe
	s_add_nc_u64 s[40:41], s[12:13], s[46:47]
	s_load_b32 s36, s[40:41], 0x8
	s_wait_kmcnt 0x0
	s_ashr_i32 s37, s36, 31
	s_wait_alu 0xfffe
	v_or_b32_e32 v3, s37, v9
	s_delay_alu instid0(VALU_DEP_1)
	v_cmpx_ne_u64_e32 0, v[2:3]
	s_xor_b32 s35, exec_lo, s2
	s_cbranch_execz .LBB5_22
; %bb.21:                               ;   in Loop: Header=BB5_20 Depth=2
	s_ashr_i32 s38, s37, 31
	s_mov_b32 s51, s17
	s_wait_alu 0xfffe
	s_mov_b32 s39, s38
	s_mov_b32 s65, s17
	s_wait_alu 0xfffe
	s_add_nc_u64 s[42:43], s[36:37], s[38:39]
	v_ashrrev_i32_e32 v3, 31, v9
	s_wait_alu 0xfffe
	s_xor_b64 s[42:43], s[42:43], s[38:39]
	s_wait_alu 0xfffe
	s_cvt_f32_u32 s2, s42
	s_cvt_f32_u32 s37, s43
	s_sub_nc_u64 s[48:49], 0, s[42:43]
	v_add_co_u32 v5, vcc_lo, v8, v3
	s_wait_alu 0xfffe
	s_fmamk_f32 s2, s37, 0x4f800000, s2
	s_wait_alu 0xfffd
	v_add_co_ci_u32_e64 v7, null, v9, v3, vcc_lo
	v_xor_b32_e32 v5, v5, v3
	s_wait_alu 0xfffe
	v_s_rcp_f32 s2, s2
	s_delay_alu instid0(VALU_DEP_2) | instskip(SKIP_1) | instid1(TRANS32_DEP_1)
	v_xor_b32_e32 v7, v7, v3
	v_xor_b32_e32 v3, s38, v3
	s_mul_f32 s2, s2, 0x5f7ffffc
	s_wait_alu 0xfffe
	s_delay_alu instid0(SALU_CYCLE_2) | instskip(SKIP_1) | instid1(SALU_CYCLE_2)
	s_mul_f32 s37, s2, 0x2f800000
	s_wait_alu 0xfffe
	s_trunc_f32 s37, s37
	s_wait_alu 0xfffe
	s_delay_alu instid0(SALU_CYCLE_2) | instskip(SKIP_2) | instid1(SALU_CYCLE_1)
	s_fmamk_f32 s2, s37, 0xcf800000, s2
	s_cvt_u32_f32 s45, s37
	s_wait_alu 0xfffe
	s_cvt_u32_f32 s44, s2
	s_wait_alu 0xfffe
	s_delay_alu instid0(SALU_CYCLE_2)
	s_mul_u64 s[62:63], s[48:49], s[44:45]
	s_wait_alu 0xfffe
	s_mul_hi_u32 s67, s44, s63
	s_mul_i32 s66, s44, s63
	s_mul_hi_u32 s50, s44, s62
	s_mul_i32 s37, s45, s62
	s_wait_alu 0xfffe
	s_add_nc_u64 s[50:51], s[50:51], s[66:67]
	s_mul_hi_u32 s2, s45, s62
	s_mul_hi_u32 s39, s45, s63
	s_wait_alu 0xfffe
	s_add_co_u32 s37, s50, s37
	s_add_co_ci_u32 s64, s51, s2
	s_mul_i32 s62, s45, s63
	s_add_co_ci_u32 s63, s39, 0
	s_wait_alu 0xfffe
	s_add_nc_u64 s[50:51], s[64:65], s[62:63]
	s_mov_b32 s63, s17
	s_wait_alu 0xfffe
	s_add_co_u32 s44, s44, s50
	s_cselect_b32 s2, -1, 0
	s_wait_alu 0xfffe
	s_cmp_lg_u32 s2, 0
	s_add_co_ci_u32 s45, s45, s51
	s_mov_b32 s51, s17
	s_wait_alu 0xfffe
	s_mul_u64 s[48:49], s[48:49], s[44:45]
	s_wait_alu 0xfffe
	s_mul_hi_u32 s65, s44, s49
	s_mul_i32 s64, s44, s49
	s_mul_hi_u32 s62, s44, s48
	s_mul_i32 s37, s45, s48
	s_wait_alu 0xfffe
	s_add_nc_u64 s[62:63], s[62:63], s[64:65]
	s_mul_hi_u32 s2, s45, s48
	s_mul_hi_u32 s39, s45, s49
	s_wait_alu 0xfffe
	s_add_co_u32 s37, s62, s37
	s_add_co_ci_u32 s50, s63, s2
	s_mul_i32 s48, s45, s49
	s_add_co_ci_u32 s49, s39, 0
	s_wait_alu 0xfffe
	s_add_nc_u64 s[48:49], s[50:51], s[48:49]
	s_wait_alu 0xfffe
	s_add_co_u32 s2, s44, s48
	s_cselect_b32 s37, -1, 0
	s_wait_alu 0xfffe
	v_mul_hi_u32 v15, v5, s2
	s_cmp_lg_u32 s37, 0
	v_mad_co_u64_u32 v[11:12], null, v7, s2, 0
	s_add_co_ci_u32 s37, s45, s49
	s_wait_alu 0xfffe
	v_mad_co_u64_u32 v[9:10], null, v5, s37, 0
	v_mad_co_u64_u32 v[13:14], null, v7, s37, 0
	s_delay_alu instid0(VALU_DEP_2) | instskip(SKIP_1) | instid1(VALU_DEP_3)
	v_add_co_u32 v9, vcc_lo, v15, v9
	s_wait_alu 0xfffd
	v_add_co_ci_u32_e64 v10, null, 0, v10, vcc_lo
	s_delay_alu instid0(VALU_DEP_2) | instskip(SKIP_1) | instid1(VALU_DEP_2)
	v_add_co_u32 v9, vcc_lo, v9, v11
	s_wait_alu 0xfffd
	v_add_co_ci_u32_e32 v9, vcc_lo, v10, v12, vcc_lo
	s_wait_alu 0xfffd
	v_add_co_ci_u32_e32 v10, vcc_lo, 0, v14, vcc_lo
	s_delay_alu instid0(VALU_DEP_2) | instskip(SKIP_1) | instid1(VALU_DEP_2)
	v_add_co_u32 v11, vcc_lo, v9, v13
	s_wait_alu 0xfffd
	v_add_co_ci_u32_e64 v12, null, 0, v10, vcc_lo
	s_delay_alu instid0(VALU_DEP_2) | instskip(SKIP_1) | instid1(VALU_DEP_3)
	v_mul_lo_u32 v13, s43, v11
	v_mad_co_u64_u32 v[9:10], null, s42, v11, 0
	v_mul_lo_u32 v14, s42, v12
	s_delay_alu instid0(VALU_DEP_2) | instskip(NEXT) | instid1(VALU_DEP_2)
	v_sub_co_u32 v5, vcc_lo, v5, v9
	v_add3_u32 v10, v10, v14, v13
	s_delay_alu instid0(VALU_DEP_1) | instskip(SKIP_2) | instid1(VALU_DEP_2)
	v_sub_nc_u32_e32 v13, v7, v10
	s_wait_alu 0xfffd
	v_sub_co_ci_u32_e64 v7, null, v7, v10, vcc_lo
	v_subrev_co_ci_u32_e64 v9, null, s43, v13, vcc_lo
	v_add_co_u32 v13, s2, v11, 2
	s_wait_alu 0xf1ff
	v_add_co_ci_u32_e64 v14, null, 0, v12, s2
	v_sub_co_u32 v15, s2, v5, s42
	s_wait_alu 0xf1ff
	v_subrev_co_ci_u32_e64 v9, null, 0, v9, s2
	s_delay_alu instid0(VALU_DEP_2) | instskip(SKIP_2) | instid1(VALU_DEP_3)
	v_cmp_le_u32_e32 vcc_lo, s42, v15
	s_wait_alu 0xfffd
	v_cndmask_b32_e64 v10, 0, -1, vcc_lo
	v_cmp_le_u32_e32 vcc_lo, s43, v9
	s_wait_alu 0xfffd
	v_cndmask_b32_e64 v15, 0, -1, vcc_lo
	;; [unrolled: 3-line block ×4, first 2 shown]
	v_cmp_eq_u32_e32 vcc_lo, s43, v9
	s_wait_alu 0xfffd
	v_cndmask_b32_e32 v9, v15, v10, vcc_lo
	v_add_co_u32 v10, vcc_lo, v11, 1
	s_wait_alu 0xfffd
	v_add_co_ci_u32_e64 v15, null, 0, v12, vcc_lo
	v_cmp_eq_u32_e32 vcc_lo, s43, v7
	s_wait_alu 0xfffd
	v_cndmask_b32_e32 v5, v16, v5, vcc_lo
	v_cmp_ne_u32_e32 vcc_lo, 0, v9
	s_delay_alu instid0(VALU_DEP_2) | instskip(SKIP_4) | instid1(VALU_DEP_2)
	v_cmp_ne_u32_e64 s2, 0, v5
	s_wait_alu 0xfffd
	v_cndmask_b32_e32 v5, v10, v13, vcc_lo
	v_cndmask_b32_e32 v7, v15, v14, vcc_lo
	s_wait_alu 0xf1ff
	v_cndmask_b32_e64 v5, v11, v5, s2
	s_delay_alu instid0(VALU_DEP_2) | instskip(NEXT) | instid1(VALU_DEP_2)
	v_cndmask_b32_e64 v7, v12, v7, s2
	v_xor_b32_e32 v5, v5, v3
	s_delay_alu instid0(VALU_DEP_2) | instskip(NEXT) | instid1(VALU_DEP_2)
	v_xor_b32_e32 v7, v7, v3
	v_sub_co_u32 v10, vcc_lo, v5, v3
	s_wait_alu 0xfffd
	s_delay_alu instid0(VALU_DEP_2)
	v_sub_co_ci_u32_e64 v11, null, v7, v3, vcc_lo
.LBB5_22:                               ;   in Loop: Header=BB5_20 Depth=2
	s_wait_alu 0xfffe
	s_and_not1_saveexec_b32 s2, s35
	s_cbranch_execz .LBB5_24
; %bb.23:                               ;   in Loop: Header=BB5_20 Depth=2
	v_cvt_f32_u32_e32 v3, s36
	s_sub_co_i32 s35, 0, s36
	v_mov_b32_e32 v11, v2
	s_delay_alu instid0(VALU_DEP_2) | instskip(NEXT) | instid1(TRANS32_DEP_1)
	v_rcp_iflag_f32_e32 v3, v3
	v_mul_f32_e32 v3, 0x4f7ffffe, v3
	s_delay_alu instid0(VALU_DEP_1) | instskip(SKIP_1) | instid1(VALU_DEP_1)
	v_cvt_u32_f32_e32 v3, v3
	s_wait_alu 0xfffe
	v_mul_lo_u32 v5, s35, v3
	s_delay_alu instid0(VALU_DEP_1) | instskip(NEXT) | instid1(VALU_DEP_1)
	v_mul_hi_u32 v5, v3, v5
	v_add_nc_u32_e32 v3, v3, v5
	s_delay_alu instid0(VALU_DEP_1) | instskip(NEXT) | instid1(VALU_DEP_1)
	v_mul_hi_u32 v3, v8, v3
	v_mul_lo_u32 v5, v3, s36
	v_add_nc_u32_e32 v7, 1, v3
	s_delay_alu instid0(VALU_DEP_2) | instskip(NEXT) | instid1(VALU_DEP_1)
	v_sub_nc_u32_e32 v5, v8, v5
	v_cmp_le_u32_e32 vcc_lo, s36, v5
	v_subrev_nc_u32_e32 v9, s36, v5
	s_wait_alu 0xfffd
	v_cndmask_b32_e32 v3, v3, v7, vcc_lo
	s_delay_alu instid0(VALU_DEP_1) | instskip(NEXT) | instid1(VALU_DEP_3)
	v_add_nc_u32_e32 v7, 1, v3
	v_cndmask_b32_e32 v5, v5, v9, vcc_lo
	s_delay_alu instid0(VALU_DEP_1) | instskip(SKIP_1) | instid1(VALU_DEP_3)
	v_cmp_le_u32_e32 vcc_lo, s36, v5
	s_wait_alu 0xfffd
	v_cndmask_b32_e32 v10, v3, v7, vcc_lo
.LBB5_24:                               ;   in Loop: Header=BB5_20 Depth=2
	s_wait_alu 0xfffe
	s_or_b32 exec_lo, exec_lo, s2
	s_add_co_i32 s38, s16, -1
	s_mov_b32 s39, s17
	s_add_nc_u64 s[46:47], s[0:1], s[46:47]
	s_wait_alu 0xfffe
	s_lshl_b64 s[44:45], s[38:39], 2
                                        ; implicit-def: $vgpr12_vgpr13
	s_mov_b32 s2, exec_lo
	s_wait_alu 0xfffe
	s_add_nc_u64 s[42:43], s[12:13], s[44:45]
	s_clause 0x2
	s_load_b32 s38, s[42:43], 0x8
	s_load_b32 s35, s[40:41], 0x6c
	;; [unrolled: 1-line block ×3, first 2 shown]
	s_wait_kmcnt 0x0
	s_ashr_i32 s39, s38, 31
	s_wait_alu 0xfffe
	v_or_b32_e32 v3, s39, v11
	s_delay_alu instid0(VALU_DEP_1)
	v_cmpx_ne_u64_e32 0, v[2:3]
	s_xor_b32 s48, exec_lo, s2
	s_cbranch_execz .LBB5_26
; %bb.25:                               ;   in Loop: Header=BB5_20 Depth=2
	s_ashr_i32 s40, s39, 31
	s_mov_b32 s65, s17
	s_wait_alu 0xfffe
	s_mov_b32 s41, s40
	s_mov_b32 s69, s17
	s_wait_alu 0xfffe
	s_add_nc_u64 s[46:47], s[38:39], s[40:41]
	v_ashrrev_i32_e32 v3, 31, v11
	s_wait_alu 0xfffe
	s_xor_b64 s[46:47], s[46:47], s[40:41]
	s_wait_alu 0xfffe
	s_cvt_f32_u32 s2, s46
	s_cvt_f32_u32 s39, s47
	s_sub_nc_u64 s[62:63], 0, s[46:47]
	v_add_co_u32 v5, vcc_lo, v10, v3
	s_wait_alu 0xfffe
	s_fmamk_f32 s2, s39, 0x4f800000, s2
	s_wait_alu 0xfffd
	v_add_co_ci_u32_e64 v7, null, v11, v3, vcc_lo
	v_xor_b32_e32 v5, v5, v3
	s_wait_alu 0xfffe
	v_s_rcp_f32 s2, s2
	s_delay_alu instid0(VALU_DEP_2) | instskip(SKIP_1) | instid1(TRANS32_DEP_1)
	v_xor_b32_e32 v7, v7, v3
	v_xor_b32_e32 v3, s40, v3
	s_mul_f32 s2, s2, 0x5f7ffffc
	s_wait_alu 0xfffe
	s_delay_alu instid0(SALU_CYCLE_2) | instskip(SKIP_1) | instid1(SALU_CYCLE_2)
	s_mul_f32 s39, s2, 0x2f800000
	s_wait_alu 0xfffe
	s_trunc_f32 s39, s39
	s_wait_alu 0xfffe
	s_delay_alu instid0(SALU_CYCLE_2) | instskip(SKIP_2) | instid1(SALU_CYCLE_1)
	s_fmamk_f32 s2, s39, 0xcf800000, s2
	s_cvt_u32_f32 s51, s39
	s_wait_alu 0xfffe
	s_cvt_u32_f32 s50, s2
	s_wait_alu 0xfffe
	s_delay_alu instid0(SALU_CYCLE_2) | instskip(NEXT) | instid1(SALU_CYCLE_1)
	s_mul_u64 s[66:67], s[62:63], s[50:51]
	s_mul_hi_u32 s71, s50, s67
	s_mul_i32 s70, s50, s67
	s_mul_hi_u32 s64, s50, s66
	s_mul_i32 s39, s51, s66
	s_add_nc_u64 s[64:65], s[64:65], s[70:71]
	s_mul_hi_u32 s2, s51, s66
	s_mul_hi_u32 s41, s51, s67
	s_wait_alu 0xfffe
	s_add_co_u32 s39, s64, s39
	s_add_co_ci_u32 s68, s65, s2
	s_mul_i32 s66, s51, s67
	s_add_co_ci_u32 s67, s41, 0
	s_delay_alu instid0(SALU_CYCLE_1)
	s_add_nc_u64 s[64:65], s[68:69], s[66:67]
	s_mov_b32 s67, s17
	s_add_co_u32 s50, s50, s64
	s_cselect_b32 s2, -1, 0
	s_wait_alu 0xfffe
	s_cmp_lg_u32 s2, 0
	s_add_co_ci_u32 s51, s51, s65
	s_mov_b32 s65, s17
	s_wait_alu 0xfffe
	s_mul_u64 s[62:63], s[62:63], s[50:51]
	s_wait_alu 0xfffe
	s_mul_hi_u32 s69, s50, s63
	s_mul_i32 s68, s50, s63
	s_mul_hi_u32 s66, s50, s62
	s_mul_i32 s39, s51, s62
	s_add_nc_u64 s[66:67], s[66:67], s[68:69]
	s_mul_hi_u32 s2, s51, s62
	s_mul_hi_u32 s41, s51, s63
	s_wait_alu 0xfffe
	s_add_co_u32 s39, s66, s39
	s_add_co_ci_u32 s64, s67, s2
	s_mul_i32 s62, s51, s63
	s_add_co_ci_u32 s63, s41, 0
	s_wait_alu 0xfffe
	s_add_nc_u64 s[62:63], s[64:65], s[62:63]
	s_wait_alu 0xfffe
	s_add_co_u32 s2, s50, s62
	s_cselect_b32 s39, -1, 0
	s_wait_alu 0xfffe
	v_mul_hi_u32 v9, v5, s2
	s_cmp_lg_u32 s39, 0
	v_mad_co_u64_u32 v[13:14], null, v7, s2, 0
	s_add_co_ci_u32 s39, s51, s63
	s_wait_alu 0xfffe
	v_mad_co_u64_u32 v[11:12], null, v5, s39, 0
	v_mad_co_u64_u32 v[15:16], null, v7, s39, 0
	s_delay_alu instid0(VALU_DEP_2) | instskip(SKIP_1) | instid1(VALU_DEP_3)
	v_add_co_u32 v9, vcc_lo, v9, v11
	s_wait_alu 0xfffd
	v_add_co_ci_u32_e64 v11, null, 0, v12, vcc_lo
	s_delay_alu instid0(VALU_DEP_2) | instskip(SKIP_1) | instid1(VALU_DEP_2)
	v_add_co_u32 v9, vcc_lo, v9, v13
	s_wait_alu 0xfffd
	v_add_co_ci_u32_e32 v9, vcc_lo, v11, v14, vcc_lo
	s_wait_alu 0xfffd
	v_add_co_ci_u32_e32 v11, vcc_lo, 0, v16, vcc_lo
	s_delay_alu instid0(VALU_DEP_2) | instskip(SKIP_1) | instid1(VALU_DEP_2)
	v_add_co_u32 v9, vcc_lo, v9, v15
	s_wait_alu 0xfffd
	v_add_co_ci_u32_e64 v13, null, 0, v11, vcc_lo
	s_delay_alu instid0(VALU_DEP_2) | instskip(SKIP_1) | instid1(VALU_DEP_3)
	v_mul_lo_u32 v14, s47, v9
	v_mad_co_u64_u32 v[11:12], null, s46, v9, 0
	v_mul_lo_u32 v15, s46, v13
	s_delay_alu instid0(VALU_DEP_2) | instskip(NEXT) | instid1(VALU_DEP_2)
	v_sub_co_u32 v5, vcc_lo, v5, v11
	v_add3_u32 v12, v12, v15, v14
	s_delay_alu instid0(VALU_DEP_1) | instskip(SKIP_2) | instid1(VALU_DEP_2)
	v_sub_nc_u32_e32 v14, v7, v12
	s_wait_alu 0xfffd
	v_sub_co_ci_u32_e64 v7, null, v7, v12, vcc_lo
	v_subrev_co_ci_u32_e64 v11, null, s47, v14, vcc_lo
	v_add_co_u32 v14, s2, v9, 2
	s_wait_alu 0xf1ff
	v_add_co_ci_u32_e64 v15, null, 0, v13, s2
	v_sub_co_u32 v16, s2, v5, s46
	s_wait_alu 0xf1ff
	v_subrev_co_ci_u32_e64 v11, null, 0, v11, s2
	s_delay_alu instid0(VALU_DEP_2) | instskip(SKIP_2) | instid1(VALU_DEP_3)
	v_cmp_le_u32_e32 vcc_lo, s46, v16
	s_wait_alu 0xfffd
	v_cndmask_b32_e64 v12, 0, -1, vcc_lo
	v_cmp_le_u32_e32 vcc_lo, s47, v11
	s_wait_alu 0xfffd
	v_cndmask_b32_e64 v16, 0, -1, vcc_lo
	v_cmp_le_u32_e32 vcc_lo, s46, v5
	s_wait_alu 0xfffd
	v_cndmask_b32_e64 v5, 0, -1, vcc_lo
	v_cmp_le_u32_e32 vcc_lo, s47, v7
	s_wait_alu 0xfffd
	v_cndmask_b32_e64 v17, 0, -1, vcc_lo
	v_cmp_eq_u32_e32 vcc_lo, s47, v11
	s_wait_alu 0xfffd
	v_cndmask_b32_e32 v11, v16, v12, vcc_lo
	v_add_co_u32 v12, vcc_lo, v9, 1
	s_wait_alu 0xfffd
	v_add_co_ci_u32_e64 v16, null, 0, v13, vcc_lo
	v_cmp_eq_u32_e32 vcc_lo, s47, v7
	s_wait_alu 0xfffd
	v_cndmask_b32_e32 v5, v17, v5, vcc_lo
	v_cmp_ne_u32_e32 vcc_lo, 0, v11
	s_delay_alu instid0(VALU_DEP_2) | instskip(SKIP_4) | instid1(VALU_DEP_2)
	v_cmp_ne_u32_e64 s2, 0, v5
	s_wait_alu 0xfffd
	v_cndmask_b32_e32 v5, v12, v14, vcc_lo
	v_cndmask_b32_e32 v7, v16, v15, vcc_lo
	s_wait_alu 0xf1ff
	v_cndmask_b32_e64 v5, v9, v5, s2
	s_delay_alu instid0(VALU_DEP_2) | instskip(NEXT) | instid1(VALU_DEP_2)
	v_cndmask_b32_e64 v7, v13, v7, s2
	v_xor_b32_e32 v5, v5, v3
	s_delay_alu instid0(VALU_DEP_2) | instskip(NEXT) | instid1(VALU_DEP_2)
	v_xor_b32_e32 v7, v7, v3
	v_sub_co_u32 v12, vcc_lo, v5, v3
	s_wait_alu 0xfffd
	s_delay_alu instid0(VALU_DEP_2)
	v_sub_co_ci_u32_e64 v13, null, v7, v3, vcc_lo
.LBB5_26:                               ;   in Loop: Header=BB5_20 Depth=2
	s_wait_alu 0xfffe
	s_and_not1_saveexec_b32 s2, s48
	s_cbranch_execz .LBB5_28
; %bb.27:                               ;   in Loop: Header=BB5_20 Depth=2
	v_cvt_f32_u32_e32 v3, s38
	s_sub_co_i32 s39, 0, s38
	v_mov_b32_e32 v13, v2
	s_delay_alu instid0(VALU_DEP_2) | instskip(NEXT) | instid1(TRANS32_DEP_1)
	v_rcp_iflag_f32_e32 v3, v3
	v_mul_f32_e32 v3, 0x4f7ffffe, v3
	s_delay_alu instid0(VALU_DEP_1) | instskip(SKIP_1) | instid1(VALU_DEP_1)
	v_cvt_u32_f32_e32 v3, v3
	s_wait_alu 0xfffe
	v_mul_lo_u32 v5, s39, v3
	s_delay_alu instid0(VALU_DEP_1) | instskip(NEXT) | instid1(VALU_DEP_1)
	v_mul_hi_u32 v5, v3, v5
	v_add_nc_u32_e32 v3, v3, v5
	s_delay_alu instid0(VALU_DEP_1) | instskip(NEXT) | instid1(VALU_DEP_1)
	v_mul_hi_u32 v3, v10, v3
	v_mul_lo_u32 v5, v3, s38
	v_add_nc_u32_e32 v7, 1, v3
	s_delay_alu instid0(VALU_DEP_2) | instskip(NEXT) | instid1(VALU_DEP_1)
	v_sub_nc_u32_e32 v5, v10, v5
	v_cmp_le_u32_e32 vcc_lo, s38, v5
	v_subrev_nc_u32_e32 v9, s38, v5
	s_wait_alu 0xfffd
	v_cndmask_b32_e32 v3, v3, v7, vcc_lo
	s_delay_alu instid0(VALU_DEP_1) | instskip(NEXT) | instid1(VALU_DEP_3)
	v_add_nc_u32_e32 v7, 1, v3
	v_cndmask_b32_e32 v5, v5, v9, vcc_lo
	s_delay_alu instid0(VALU_DEP_1) | instskip(SKIP_1) | instid1(VALU_DEP_3)
	v_cmp_le_u32_e32 vcc_lo, s38, v5
	s_wait_alu 0xfffd
	v_cndmask_b32_e32 v12, v3, v7, vcc_lo
.LBB5_28:                               ;   in Loop: Header=BB5_20 Depth=2
	s_wait_alu 0xfffe
	s_or_b32 exec_lo, exec_lo, s2
	s_add_co_i32 s40, s16, -2
	s_mov_b32 s41, s17
	s_add_nc_u64 s[44:45], s[0:1], s[44:45]
	s_wait_alu 0xfffe
	s_lshl_b64 s[50:51], s[40:41], 2
                                        ; implicit-def: $vgpr14_vgpr15
	s_mov_b32 s2, exec_lo
	s_wait_alu 0xfffe
	s_add_nc_u64 s[48:49], s[12:13], s[50:51]
	s_clause 0x2
	s_load_b32 s40, s[48:49], 0x8
	s_load_b32 s39, s[42:43], 0x6c
	;; [unrolled: 1-line block ×3, first 2 shown]
	s_wait_kmcnt 0x0
	s_ashr_i32 s41, s40, 31
	s_wait_alu 0xfffe
	v_or_b32_e32 v3, s41, v13
	s_delay_alu instid0(VALU_DEP_1)
	v_cmpx_ne_u64_e32 0, v[2:3]
	s_xor_b32 s46, exec_lo, s2
	s_cbranch_execz .LBB5_30
; %bb.29:                               ;   in Loop: Header=BB5_20 Depth=2
	s_ashr_i32 s42, s41, 31
	s_mov_b32 s69, s17
	s_wait_alu 0xfffe
	s_mov_b32 s43, s42
	s_mov_b32 s73, s17
	s_wait_alu 0xfffe
	s_add_nc_u64 s[44:45], s[40:41], s[42:43]
	v_ashrrev_i32_e32 v3, 31, v13
	s_wait_alu 0xfffe
	s_xor_b64 s[44:45], s[44:45], s[42:43]
	s_wait_alu 0xfffe
	s_cvt_f32_u32 s2, s44
	s_cvt_f32_u32 s41, s45
	s_sub_nc_u64 s[66:67], 0, s[44:45]
	v_add_co_u32 v5, vcc_lo, v12, v3
	s_wait_alu 0xfffe
	s_fmamk_f32 s2, s41, 0x4f800000, s2
	s_wait_alu 0xfffd
	v_add_co_ci_u32_e64 v7, null, v13, v3, vcc_lo
	v_xor_b32_e32 v5, v5, v3
	s_wait_alu 0xfffe
	v_s_rcp_f32 s2, s2
	s_delay_alu instid0(VALU_DEP_2) | instskip(SKIP_1) | instid1(TRANS32_DEP_1)
	v_xor_b32_e32 v7, v7, v3
	v_xor_b32_e32 v3, s42, v3
	s_mul_f32 s2, s2, 0x5f7ffffc
	s_wait_alu 0xfffe
	s_delay_alu instid0(SALU_CYCLE_2) | instskip(SKIP_1) | instid1(SALU_CYCLE_2)
	s_mul_f32 s41, s2, 0x2f800000
	s_wait_alu 0xfffe
	s_trunc_f32 s41, s41
	s_wait_alu 0xfffe
	s_delay_alu instid0(SALU_CYCLE_2) | instskip(SKIP_2) | instid1(SALU_CYCLE_1)
	s_fmamk_f32 s2, s41, 0xcf800000, s2
	s_cvt_u32_f32 s65, s41
	s_wait_alu 0xfffe
	s_cvt_u32_f32 s64, s2
	s_delay_alu instid0(SALU_CYCLE_3) | instskip(NEXT) | instid1(SALU_CYCLE_1)
	s_mul_u64 s[70:71], s[66:67], s[64:65]
	s_mul_hi_u32 s75, s64, s71
	s_mul_i32 s74, s64, s71
	s_mul_hi_u32 s68, s64, s70
	s_mul_i32 s41, s65, s70
	s_add_nc_u64 s[68:69], s[68:69], s[74:75]
	s_mul_hi_u32 s2, s65, s70
	s_mul_hi_u32 s43, s65, s71
	s_wait_alu 0xfffe
	s_add_co_u32 s41, s68, s41
	s_add_co_ci_u32 s72, s69, s2
	s_mul_i32 s70, s65, s71
	s_add_co_ci_u32 s71, s43, 0
	s_delay_alu instid0(SALU_CYCLE_1)
	s_add_nc_u64 s[68:69], s[72:73], s[70:71]
	s_mov_b32 s71, s17
	s_add_co_u32 s64, s64, s68
	s_cselect_b32 s2, -1, 0
	s_wait_alu 0xfffe
	s_cmp_lg_u32 s2, 0
	s_add_co_ci_u32 s65, s65, s69
	s_mov_b32 s69, s17
	s_mul_u64 s[66:67], s[66:67], s[64:65]
	s_delay_alu instid0(SALU_CYCLE_1)
	s_mul_hi_u32 s73, s64, s67
	s_mul_i32 s72, s64, s67
	s_mul_hi_u32 s70, s64, s66
	s_mul_i32 s41, s65, s66
	s_add_nc_u64 s[70:71], s[70:71], s[72:73]
	s_mul_hi_u32 s2, s65, s66
	s_mul_hi_u32 s43, s65, s67
	s_wait_alu 0xfffe
	s_add_co_u32 s41, s70, s41
	s_add_co_ci_u32 s68, s71, s2
	s_mul_i32 s66, s65, s67
	s_add_co_ci_u32 s67, s43, 0
	s_delay_alu instid0(SALU_CYCLE_1) | instskip(NEXT) | instid1(SALU_CYCLE_1)
	s_add_nc_u64 s[66:67], s[68:69], s[66:67]
	s_add_co_u32 s2, s64, s66
	s_cselect_b32 s41, -1, 0
	s_wait_alu 0xfffe
	v_mul_hi_u32 v9, v5, s2
	s_cmp_lg_u32 s41, 0
	v_mad_co_u64_u32 v[15:16], null, v7, s2, 0
	s_add_co_ci_u32 s41, s65, s67
	s_wait_alu 0xfffe
	v_mad_co_u64_u32 v[13:14], null, v5, s41, 0
	v_mad_co_u64_u32 v[22:23], null, v7, s41, 0
	s_delay_alu instid0(VALU_DEP_2) | instskip(SKIP_1) | instid1(VALU_DEP_3)
	v_add_co_u32 v9, vcc_lo, v9, v13
	s_wait_alu 0xfffd
	v_add_co_ci_u32_e64 v11, null, 0, v14, vcc_lo
	s_delay_alu instid0(VALU_DEP_2) | instskip(SKIP_1) | instid1(VALU_DEP_2)
	v_add_co_u32 v9, vcc_lo, v9, v15
	s_wait_alu 0xfffd
	v_add_co_ci_u32_e32 v9, vcc_lo, v11, v16, vcc_lo
	s_wait_alu 0xfffd
	v_add_co_ci_u32_e32 v11, vcc_lo, 0, v23, vcc_lo
	s_delay_alu instid0(VALU_DEP_2) | instskip(SKIP_1) | instid1(VALU_DEP_2)
	v_add_co_u32 v9, vcc_lo, v9, v22
	s_wait_alu 0xfffd
	v_add_co_ci_u32_e64 v11, null, 0, v11, vcc_lo
	s_delay_alu instid0(VALU_DEP_2) | instskip(SKIP_1) | instid1(VALU_DEP_3)
	v_mul_lo_u32 v15, s45, v9
	v_mad_co_u64_u32 v[13:14], null, s44, v9, 0
	v_mul_lo_u32 v16, s44, v11
	s_delay_alu instid0(VALU_DEP_2) | instskip(NEXT) | instid1(VALU_DEP_2)
	v_sub_co_u32 v5, vcc_lo, v5, v13
	v_add3_u32 v14, v14, v16, v15
	s_delay_alu instid0(VALU_DEP_1) | instskip(SKIP_2) | instid1(VALU_DEP_2)
	v_sub_nc_u32_e32 v15, v7, v14
	s_wait_alu 0xfffd
	v_sub_co_ci_u32_e64 v7, null, v7, v14, vcc_lo
	v_subrev_co_ci_u32_e64 v13, null, s45, v15, vcc_lo
	v_add_co_u32 v15, s2, v9, 2
	s_wait_alu 0xf1ff
	v_add_co_ci_u32_e64 v16, null, 0, v11, s2
	v_sub_co_u32 v17, s2, v5, s44
	s_wait_alu 0xf1ff
	v_subrev_co_ci_u32_e64 v13, null, 0, v13, s2
	s_delay_alu instid0(VALU_DEP_2) | instskip(SKIP_2) | instid1(VALU_DEP_3)
	v_cmp_le_u32_e32 vcc_lo, s44, v17
	s_wait_alu 0xfffd
	v_cndmask_b32_e64 v14, 0, -1, vcc_lo
	v_cmp_le_u32_e32 vcc_lo, s45, v13
	s_wait_alu 0xfffd
	v_cndmask_b32_e64 v17, 0, -1, vcc_lo
	;; [unrolled: 3-line block ×4, first 2 shown]
	v_cmp_eq_u32_e32 vcc_lo, s45, v13
	s_wait_alu 0xfffd
	v_cndmask_b32_e32 v13, v17, v14, vcc_lo
	v_add_co_u32 v14, vcc_lo, v9, 1
	s_wait_alu 0xfffd
	v_add_co_ci_u32_e64 v17, null, 0, v11, vcc_lo
	v_cmp_eq_u32_e32 vcc_lo, s45, v7
	s_wait_alu 0xfffd
	v_cndmask_b32_e32 v5, v22, v5, vcc_lo
	v_cmp_ne_u32_e32 vcc_lo, 0, v13
	s_delay_alu instid0(VALU_DEP_2) | instskip(SKIP_4) | instid1(VALU_DEP_2)
	v_cmp_ne_u32_e64 s2, 0, v5
	s_wait_alu 0xfffd
	v_cndmask_b32_e32 v5, v14, v15, vcc_lo
	v_cndmask_b32_e32 v7, v17, v16, vcc_lo
	s_wait_alu 0xf1ff
	v_cndmask_b32_e64 v5, v9, v5, s2
	s_delay_alu instid0(VALU_DEP_2) | instskip(NEXT) | instid1(VALU_DEP_2)
	v_cndmask_b32_e64 v7, v11, v7, s2
	v_xor_b32_e32 v5, v5, v3
	s_delay_alu instid0(VALU_DEP_2) | instskip(NEXT) | instid1(VALU_DEP_2)
	v_xor_b32_e32 v7, v7, v3
	v_sub_co_u32 v14, vcc_lo, v5, v3
	s_wait_alu 0xfffd
	s_delay_alu instid0(VALU_DEP_2)
	v_sub_co_ci_u32_e64 v15, null, v7, v3, vcc_lo
.LBB5_30:                               ;   in Loop: Header=BB5_20 Depth=2
	s_wait_alu 0xfffe
	s_and_not1_saveexec_b32 s2, s46
	s_cbranch_execz .LBB5_32
; %bb.31:                               ;   in Loop: Header=BB5_20 Depth=2
	v_cvt_f32_u32_e32 v3, s40
	s_sub_co_i32 s41, 0, s40
	v_mov_b32_e32 v15, v2
	s_delay_alu instid0(VALU_DEP_2) | instskip(NEXT) | instid1(TRANS32_DEP_1)
	v_rcp_iflag_f32_e32 v3, v3
	v_mul_f32_e32 v3, 0x4f7ffffe, v3
	s_delay_alu instid0(VALU_DEP_1) | instskip(SKIP_1) | instid1(VALU_DEP_1)
	v_cvt_u32_f32_e32 v3, v3
	s_wait_alu 0xfffe
	v_mul_lo_u32 v5, s41, v3
	s_delay_alu instid0(VALU_DEP_1) | instskip(NEXT) | instid1(VALU_DEP_1)
	v_mul_hi_u32 v5, v3, v5
	v_add_nc_u32_e32 v3, v3, v5
	s_delay_alu instid0(VALU_DEP_1) | instskip(NEXT) | instid1(VALU_DEP_1)
	v_mul_hi_u32 v3, v12, v3
	v_mul_lo_u32 v5, v3, s40
	v_add_nc_u32_e32 v7, 1, v3
	s_delay_alu instid0(VALU_DEP_2) | instskip(NEXT) | instid1(VALU_DEP_1)
	v_sub_nc_u32_e32 v5, v12, v5
	v_cmp_le_u32_e32 vcc_lo, s40, v5
	v_subrev_nc_u32_e32 v9, s40, v5
	s_wait_alu 0xfffd
	v_cndmask_b32_e32 v3, v3, v7, vcc_lo
	s_delay_alu instid0(VALU_DEP_1) | instskip(NEXT) | instid1(VALU_DEP_3)
	v_add_nc_u32_e32 v7, 1, v3
	v_cndmask_b32_e32 v5, v5, v9, vcc_lo
	s_delay_alu instid0(VALU_DEP_1) | instskip(SKIP_1) | instid1(VALU_DEP_3)
	v_cmp_le_u32_e32 vcc_lo, s40, v5
	s_wait_alu 0xfffd
	v_cndmask_b32_e32 v14, v3, v7, vcc_lo
.LBB5_32:                               ;   in Loop: Header=BB5_20 Depth=2
	s_wait_alu 0xfffe
	s_or_b32 exec_lo, exec_lo, s2
	s_add_co_i32 s42, s16, -3
	s_mov_b32 s43, s17
	s_add_nc_u64 s[50:51], s[0:1], s[50:51]
	s_wait_alu 0xfffe
	s_lshl_b64 s[46:47], s[42:43], 2
                                        ; implicit-def: $vgpr16_vgpr17
	s_mov_b32 s2, exec_lo
	s_wait_alu 0xfffe
	s_add_nc_u64 s[44:45], s[12:13], s[46:47]
	s_clause 0x2
	s_load_b32 s42, s[44:45], 0x8
	s_load_b32 s41, s[48:49], 0x6c
	;; [unrolled: 1-line block ×3, first 2 shown]
	s_wait_kmcnt 0x0
	s_ashr_i32 s43, s42, 31
	s_wait_alu 0xfffe
	v_or_b32_e32 v3, s43, v15
	s_delay_alu instid0(VALU_DEP_1)
	v_cmpx_ne_u64_e32 0, v[2:3]
	s_xor_b32 s64, exec_lo, s2
	s_cbranch_execz .LBB5_34
; %bb.33:                               ;   in Loop: Header=BB5_20 Depth=2
	s_ashr_i32 s48, s43, 31
	s_mov_b32 s71, s17
	s_wait_alu 0xfffe
	s_mov_b32 s49, s48
	s_mov_b32 s75, s17
	s_wait_alu 0xfffe
	s_add_nc_u64 s[50:51], s[42:43], s[48:49]
	v_ashrrev_i32_e32 v3, 31, v15
	s_wait_alu 0xfffe
	s_xor_b64 s[50:51], s[50:51], s[48:49]
	s_wait_alu 0xfffe
	s_cvt_f32_u32 s2, s50
	s_cvt_f32_u32 s43, s51
	s_sub_nc_u64 s[68:69], 0, s[50:51]
	v_add_co_u32 v5, vcc_lo, v14, v3
	s_wait_alu 0xfffe
	s_fmamk_f32 s2, s43, 0x4f800000, s2
	s_wait_alu 0xfffd
	v_add_co_ci_u32_e64 v7, null, v15, v3, vcc_lo
	v_xor_b32_e32 v5, v5, v3
	s_wait_alu 0xfffe
	v_s_rcp_f32 s2, s2
	s_delay_alu instid0(VALU_DEP_2) | instskip(SKIP_1) | instid1(TRANS32_DEP_1)
	v_xor_b32_e32 v7, v7, v3
	v_xor_b32_e32 v3, s48, v3
	s_mul_f32 s2, s2, 0x5f7ffffc
	s_wait_alu 0xfffe
	s_delay_alu instid0(SALU_CYCLE_2) | instskip(SKIP_1) | instid1(SALU_CYCLE_2)
	s_mul_f32 s43, s2, 0x2f800000
	s_wait_alu 0xfffe
	s_trunc_f32 s43, s43
	s_wait_alu 0xfffe
	s_delay_alu instid0(SALU_CYCLE_2) | instskip(SKIP_2) | instid1(SALU_CYCLE_1)
	s_fmamk_f32 s2, s43, 0xcf800000, s2
	s_cvt_u32_f32 s67, s43
	s_wait_alu 0xfffe
	s_cvt_u32_f32 s66, s2
	s_delay_alu instid0(SALU_CYCLE_3) | instskip(NEXT) | instid1(SALU_CYCLE_1)
	s_mul_u64 s[72:73], s[68:69], s[66:67]
	s_mul_hi_u32 s77, s66, s73
	s_mul_i32 s76, s66, s73
	s_mul_hi_u32 s70, s66, s72
	s_mul_i32 s43, s67, s72
	s_add_nc_u64 s[70:71], s[70:71], s[76:77]
	s_mul_hi_u32 s2, s67, s72
	s_mul_hi_u32 s49, s67, s73
	s_wait_alu 0xfffe
	s_add_co_u32 s43, s70, s43
	s_add_co_ci_u32 s74, s71, s2
	s_mul_i32 s72, s67, s73
	s_add_co_ci_u32 s73, s49, 0
	s_delay_alu instid0(SALU_CYCLE_1)
	s_add_nc_u64 s[70:71], s[74:75], s[72:73]
	s_mov_b32 s73, s17
	s_add_co_u32 s66, s66, s70
	s_cselect_b32 s2, -1, 0
	s_wait_alu 0xfffe
	s_cmp_lg_u32 s2, 0
	s_add_co_ci_u32 s67, s67, s71
	s_mov_b32 s71, s17
	s_mul_u64 s[68:69], s[68:69], s[66:67]
	s_delay_alu instid0(SALU_CYCLE_1)
	s_mul_hi_u32 s75, s66, s69
	s_mul_i32 s74, s66, s69
	s_mul_hi_u32 s72, s66, s68
	s_mul_i32 s43, s67, s68
	s_add_nc_u64 s[72:73], s[72:73], s[74:75]
	s_mul_hi_u32 s2, s67, s68
	s_mul_hi_u32 s49, s67, s69
	s_wait_alu 0xfffe
	s_add_co_u32 s43, s72, s43
	s_add_co_ci_u32 s70, s73, s2
	s_mul_i32 s68, s67, s69
	s_add_co_ci_u32 s69, s49, 0
	s_delay_alu instid0(SALU_CYCLE_1) | instskip(NEXT) | instid1(SALU_CYCLE_1)
	s_add_nc_u64 s[68:69], s[70:71], s[68:69]
	s_add_co_u32 s2, s66, s68
	s_cselect_b32 s43, -1, 0
	s_wait_alu 0xfffe
	v_mul_hi_u32 v9, v5, s2
	s_cmp_lg_u32 s43, 0
	v_mad_co_u64_u32 v[22:23], null, v7, s2, 0
	s_add_co_ci_u32 s43, s67, s69
	s_wait_alu 0xfffe
	v_mad_co_u64_u32 v[15:16], null, v5, s43, 0
	v_mad_co_u64_u32 v[24:25], null, v7, s43, 0
	s_delay_alu instid0(VALU_DEP_2) | instskip(SKIP_1) | instid1(VALU_DEP_3)
	v_add_co_u32 v9, vcc_lo, v9, v15
	s_wait_alu 0xfffd
	v_add_co_ci_u32_e64 v11, null, 0, v16, vcc_lo
	s_delay_alu instid0(VALU_DEP_2) | instskip(SKIP_1) | instid1(VALU_DEP_2)
	v_add_co_u32 v9, vcc_lo, v9, v22
	s_wait_alu 0xfffd
	v_add_co_ci_u32_e32 v9, vcc_lo, v11, v23, vcc_lo
	s_wait_alu 0xfffd
	v_add_co_ci_u32_e32 v11, vcc_lo, 0, v25, vcc_lo
	s_delay_alu instid0(VALU_DEP_2) | instskip(SKIP_1) | instid1(VALU_DEP_2)
	v_add_co_u32 v9, vcc_lo, v9, v24
	s_wait_alu 0xfffd
	v_add_co_ci_u32_e64 v11, null, 0, v11, vcc_lo
	s_delay_alu instid0(VALU_DEP_2) | instskip(SKIP_1) | instid1(VALU_DEP_3)
	v_mul_lo_u32 v13, s51, v9
	v_mad_co_u64_u32 v[15:16], null, s50, v9, 0
	v_mul_lo_u32 v17, s50, v11
	s_delay_alu instid0(VALU_DEP_2) | instskip(NEXT) | instid1(VALU_DEP_2)
	v_sub_co_u32 v5, vcc_lo, v5, v15
	v_add3_u32 v13, v16, v17, v13
	s_delay_alu instid0(VALU_DEP_1) | instskip(SKIP_2) | instid1(VALU_DEP_2)
	v_sub_nc_u32_e32 v16, v7, v13
	s_wait_alu 0xfffd
	v_sub_co_ci_u32_e64 v7, null, v7, v13, vcc_lo
	v_subrev_co_ci_u32_e64 v15, null, s51, v16, vcc_lo
	v_add_co_u32 v16, s2, v9, 2
	s_wait_alu 0xf1ff
	v_add_co_ci_u32_e64 v17, null, 0, v11, s2
	v_sub_co_u32 v22, s2, v5, s50
	s_wait_alu 0xf1ff
	v_subrev_co_ci_u32_e64 v15, null, 0, v15, s2
	s_delay_alu instid0(VALU_DEP_2) | instskip(SKIP_2) | instid1(VALU_DEP_3)
	v_cmp_le_u32_e32 vcc_lo, s50, v22
	s_wait_alu 0xfffd
	v_cndmask_b32_e64 v13, 0, -1, vcc_lo
	v_cmp_le_u32_e32 vcc_lo, s51, v15
	s_wait_alu 0xfffd
	v_cndmask_b32_e64 v22, 0, -1, vcc_lo
	;; [unrolled: 3-line block ×4, first 2 shown]
	v_cmp_eq_u32_e32 vcc_lo, s51, v15
	s_wait_alu 0xfffd
	v_cndmask_b32_e32 v13, v22, v13, vcc_lo
	v_add_co_u32 v15, vcc_lo, v9, 1
	s_wait_alu 0xfffd
	v_add_co_ci_u32_e64 v22, null, 0, v11, vcc_lo
	v_cmp_eq_u32_e32 vcc_lo, s51, v7
	s_wait_alu 0xfffd
	v_cndmask_b32_e32 v5, v23, v5, vcc_lo
	v_cmp_ne_u32_e32 vcc_lo, 0, v13
	s_delay_alu instid0(VALU_DEP_2) | instskip(SKIP_4) | instid1(VALU_DEP_2)
	v_cmp_ne_u32_e64 s2, 0, v5
	s_wait_alu 0xfffd
	v_cndmask_b32_e32 v5, v15, v16, vcc_lo
	v_cndmask_b32_e32 v7, v22, v17, vcc_lo
	s_wait_alu 0xf1ff
	v_cndmask_b32_e64 v5, v9, v5, s2
	s_delay_alu instid0(VALU_DEP_2) | instskip(NEXT) | instid1(VALU_DEP_2)
	v_cndmask_b32_e64 v7, v11, v7, s2
	v_xor_b32_e32 v5, v5, v3
	s_delay_alu instid0(VALU_DEP_2) | instskip(NEXT) | instid1(VALU_DEP_2)
	v_xor_b32_e32 v7, v7, v3
	v_sub_co_u32 v16, vcc_lo, v5, v3
	s_wait_alu 0xfffd
	s_delay_alu instid0(VALU_DEP_2)
	v_sub_co_ci_u32_e64 v17, null, v7, v3, vcc_lo
.LBB5_34:                               ;   in Loop: Header=BB5_20 Depth=2
	s_and_not1_saveexec_b32 s2, s64
	s_cbranch_execz .LBB5_36
; %bb.35:                               ;   in Loop: Header=BB5_20 Depth=2
	v_cvt_f32_u32_e32 v3, s42
	s_sub_co_i32 s43, 0, s42
	v_mov_b32_e32 v17, v2
	s_delay_alu instid0(VALU_DEP_2) | instskip(NEXT) | instid1(TRANS32_DEP_1)
	v_rcp_iflag_f32_e32 v3, v3
	v_mul_f32_e32 v3, 0x4f7ffffe, v3
	s_delay_alu instid0(VALU_DEP_1) | instskip(SKIP_1) | instid1(VALU_DEP_1)
	v_cvt_u32_f32_e32 v3, v3
	s_wait_alu 0xfffe
	v_mul_lo_u32 v5, s43, v3
	s_delay_alu instid0(VALU_DEP_1) | instskip(NEXT) | instid1(VALU_DEP_1)
	v_mul_hi_u32 v5, v3, v5
	v_add_nc_u32_e32 v3, v3, v5
	s_delay_alu instid0(VALU_DEP_1) | instskip(NEXT) | instid1(VALU_DEP_1)
	v_mul_hi_u32 v3, v14, v3
	v_mul_lo_u32 v5, v3, s42
	v_add_nc_u32_e32 v7, 1, v3
	s_delay_alu instid0(VALU_DEP_2) | instskip(NEXT) | instid1(VALU_DEP_1)
	v_sub_nc_u32_e32 v5, v14, v5
	v_cmp_le_u32_e32 vcc_lo, s42, v5
	v_subrev_nc_u32_e32 v9, s42, v5
	s_wait_alu 0xfffd
	v_cndmask_b32_e32 v3, v3, v7, vcc_lo
	s_delay_alu instid0(VALU_DEP_1) | instskip(NEXT) | instid1(VALU_DEP_3)
	v_add_nc_u32_e32 v7, 1, v3
	v_cndmask_b32_e32 v5, v5, v9, vcc_lo
	s_delay_alu instid0(VALU_DEP_1) | instskip(SKIP_1) | instid1(VALU_DEP_3)
	v_cmp_le_u32_e32 vcc_lo, s42, v5
	s_wait_alu 0xfffd
	v_cndmask_b32_e32 v16, v3, v7, vcc_lo
.LBB5_36:                               ;   in Loop: Header=BB5_20 Depth=2
	s_wait_alu 0xfffe
	s_or_b32 exec_lo, exec_lo, s2
	s_add_nc_u64 s[46:47], s[0:1], s[46:47]
	v_mul_lo_u32 v3, v10, s36
	s_clause 0x1
	s_load_b32 s2, s[44:45], 0x6c
	s_load_b32 s36, s[46:47], 0x6c
	v_mul_lo_u32 v5, v12, s38
	v_mul_lo_u32 v7, v14, s40
	;; [unrolled: 1-line block ×3, first 2 shown]
	s_add_co_i32 s16, s16, -4
	s_wait_alu 0xfffe
	s_cmp_eq_u32 s16, -1
	v_sub_nc_u32_e32 v3, v8, v3
	s_delay_alu instid0(VALU_DEP_4) | instskip(NEXT) | instid1(VALU_DEP_4)
	v_sub_nc_u32_e32 v5, v10, v5
	v_sub_nc_u32_e32 v7, v12, v7
	s_delay_alu instid0(VALU_DEP_4) | instskip(NEXT) | instid1(VALU_DEP_4)
	v_sub_nc_u32_e32 v8, v14, v9
	v_mul_lo_u32 v9, s35, v3
	v_mul_lo_u32 v3, s37, v3
	;; [unrolled: 1-line block ×6, first 2 shown]
	s_wait_kmcnt 0x0
	v_mul_lo_u32 v12, s2, v8
	v_mul_lo_u32 v8, s36, v8
	v_add3_u32 v6, v9, v6, v10
	v_add3_u32 v3, v3, v4, v5
	s_delay_alu instid0(VALU_DEP_2) | instskip(NEXT) | instid1(VALU_DEP_2)
	v_add3_u32 v6, v11, v6, v12
	v_add3_u32 v4, v7, v3, v8
	s_cbranch_scc1 .LBB5_38
; %bb.37:                               ;   in Loop: Header=BB5_20 Depth=2
	v_dual_mov_b32 v8, v16 :: v_dual_mov_b32 v9, v17
	s_branch .LBB5_20
.LBB5_38:                               ;   in Loop: Header=BB5_3 Depth=1
	v_sub_nc_u32_e32 v7, v20, v21
	v_mov_b32_e32 v3, 0
	s_mov_b32 s2, exec_lo
	s_delay_alu instid0(VALU_DEP_2) | instskip(NEXT) | instid1(VALU_DEP_1)
	v_ashrrev_i32_e32 v8, 31, v7
	v_cmpx_ge_i64_e64 s[4:5], v[7:8]
	s_cbranch_execz .LBB5_48
; %bb.39:                               ;   in Loop: Header=BB5_3 Depth=1
	v_dual_mov_b32 v3, 0 :: v_dual_mov_b32 v12, 0
	v_mov_b32_e32 v5, 0
	v_mov_b32_e32 v11, 0
	s_mov_b32 s16, exec_lo
	v_cmpx_gt_i32_e64 s3, v20
	s_cbranch_execz .LBB5_47
; %bb.40:                               ;   in Loop: Header=BB5_3 Depth=1
	v_ashrrev_i32_e32 v3, 31, v6
	v_add_co_u32 v9, vcc_lo, s10, v6
	v_dual_mov_b32 v12, 0 :: v_dual_add_nc_u32 v11, 1, v20
	s_wait_alu 0xfffd
	s_delay_alu instid0(VALU_DEP_3) | instskip(SKIP_1) | instid1(VALU_DEP_3)
	v_add_co_ci_u32_e64 v10, null, s11, v3, vcc_lo
	v_mov_b32_e32 v5, 0
	v_cmp_gt_i32_e32 vcc_lo, s3, v11
	v_mov_b32_e32 v11, 0
	global_load_u8 v3, v[9:10], off
	s_and_saveexec_b32 s35, vcc_lo
	s_wait_alu 0xfffe
	s_xor_b32 s35, exec_lo, s35
	s_cbranch_execz .LBB5_46
; %bb.41:                               ;   in Loop: Header=BB5_3 Depth=1
	v_add_co_u32 v9, vcc_lo, v9, s55
	s_wait_alu 0xfffd
	v_add_co_ci_u32_e64 v10, null, s59, v10, vcc_lo
	v_mov_b32_e32 v11, 0
	s_mov_b32 s36, exec_lo
	v_mov_b32_e32 v12, 0
	global_load_u8 v5, v[9:10], off
	v_add_nc_u32_e32 v9, 2, v20
	s_delay_alu instid0(VALU_DEP_1)
	v_cmpx_gt_i32_e64 s3, v9
	s_wait_alu 0xfffe
	s_xor_b32 s36, exec_lo, s36
	s_cbranch_execz .LBB5_45
; %bb.42:                               ;   in Loop: Header=BB5_3 Depth=1
	v_add_nc_u32_e32 v6, s23, v6
	s_mov_b32 s37, exec_lo
	v_mov_b32_e32 v12, 0
	s_delay_alu instid0(VALU_DEP_2) | instskip(SKIP_2) | instid1(VALU_DEP_2)
	v_ashrrev_i32_e32 v10, 31, v6
	v_add_co_u32 v9, vcc_lo, s10, v6
	s_wait_alu 0xfffd
	v_add_co_ci_u32_e64 v10, null, s11, v10, vcc_lo
	global_load_u8 v11, v[9:10], off
	v_add_nc_u32_e32 v9, 3, v20
	s_delay_alu instid0(VALU_DEP_1)
	v_cmpx_gt_i32_e64 s3, v9
	s_wait_alu 0xfffe
	s_xor_b32 s37, exec_lo, s37
	s_cbranch_execz .LBB5_44
; %bb.43:                               ;   in Loop: Header=BB5_3 Depth=1
	v_add_nc_u32_e32 v6, s55, v6
	s_delay_alu instid0(VALU_DEP_1) | instskip(SKIP_2) | instid1(VALU_DEP_2)
	v_ashrrev_i32_e32 v10, 31, v6
	v_add_co_u32 v9, vcc_lo, s10, v6
	s_wait_alu 0xfffd
	v_add_co_ci_u32_e64 v10, null, s11, v10, vcc_lo
	global_load_u8 v12, v[9:10], off
.LBB5_44:                               ;   in Loop: Header=BB5_3 Depth=1
	s_wait_alu 0xfffe
	s_or_b32 exec_lo, exec_lo, s37
.LBB5_45:                               ;   in Loop: Header=BB5_3 Depth=1
	s_wait_alu 0xfffe
	s_or_b32 exec_lo, exec_lo, s36
.LBB5_46:                               ;   in Loop: Header=BB5_3 Depth=1
	s_wait_alu 0xfffe
	s_or_b32 exec_lo, exec_lo, s35
.LBB5_47:                               ;   in Loop: Header=BB5_3 Depth=1
	s_wait_alu 0xfffe
	s_or_b32 exec_lo, exec_lo, s16
	v_add_nc_u32_e32 v9, 1, v7
	v_cmp_ge_i64_e32 vcc_lo, s[18:19], v[7:8]
	v_add_nc_u32_e32 v13, 3, v7
	s_delay_alu instid0(VALU_DEP_3)
	v_ashrrev_i32_e32 v10, 31, v9
	s_wait_loadcnt 0x0
	s_wait_alu 0xfffd
	v_cndmask_b32_e32 v3, 0, v3, vcc_lo
	v_ashrrev_i32_e32 v14, 31, v13
	v_cmp_ge_i64_e32 vcc_lo, s[20:21], v[9:10]
	s_wait_alu 0xfffd
	v_dual_cndmask_b32 v5, 0, v5 :: v_dual_add_nc_u32 v6, 2, v7
	s_delay_alu instid0(VALU_DEP_3) | instskip(NEXT) | instid1(VALU_DEP_2)
	v_cmp_ge_i64_e32 vcc_lo, s[28:29], v[13:14]
	v_ashrrev_i32_e32 v7, 31, v6
	s_delay_alu instid0(VALU_DEP_3) | instskip(SKIP_2) | instid1(VALU_DEP_3)
	v_lshlrev_b16 v5, 8, v5
	s_wait_alu 0xfffd
	v_cndmask_b32_e32 v8, 0, v12, vcc_lo
	v_cmp_ge_i64_e32 vcc_lo, s[24:25], v[6:7]
	s_delay_alu instid0(VALU_DEP_2) | instskip(SKIP_2) | instid1(VALU_DEP_1)
	v_lshlrev_b16 v7, 8, v8
	s_wait_alu 0xfffd
	v_cndmask_b32_e32 v6, 0, v11, vcc_lo
	v_and_b32_e32 v6, 0xff, v6
	v_and_b32_e32 v3, 0xff, v3
	s_delay_alu instid0(VALU_DEP_1) | instskip(NEXT) | instid1(VALU_DEP_3)
	v_or_b32_e32 v3, v3, v5
	v_or_b32_e32 v5, v6, v7
	s_delay_alu instid0(VALU_DEP_2) | instskip(NEXT) | instid1(VALU_DEP_2)
	v_and_b32_e32 v3, 0xffff, v3
	v_lshlrev_b32_e32 v5, 16, v5
	s_delay_alu instid0(VALU_DEP_1)
	v_or_b32_e32 v3, v3, v5
.LBB5_48:                               ;   in Loop: Header=BB5_3 Depth=1
	s_wait_alu 0xfffe
	s_or_b32 exec_lo, exec_lo, s2
	s_delay_alu instid0(SALU_CYCLE_1)
	s_mov_b32 s2, exec_lo
	v_cmpx_gt_i32_e64 s3, v20
	s_cbranch_execz .LBB5_2
; %bb.49:                               ;   in Loop: Header=BB5_3 Depth=1
	v_ashrrev_i32_e32 v6, 31, v4
	v_add_co_u32 v5, vcc_lo, s14, v4
	v_add_nc_u32_e32 v7, 1, v20
	s_mov_b32 s16, exec_lo
	s_wait_alu 0xfffd
	v_add_co_ci_u32_e64 v6, null, s15, v6, vcc_lo
	global_store_b8 v[5:6], v3, off
	v_cmpx_gt_i32_e64 s3, v7
	s_wait_alu 0xfffe
	s_xor_b32 s16, exec_lo, s16
	s_cbranch_execz .LBB5_2
; %bb.50:                               ;   in Loop: Header=BB5_3 Depth=1
	v_add_co_u32 v5, vcc_lo, v5, s56
	v_lshrrev_b32_e32 v7, 8, v3
	v_add_nc_u32_e32 v8, 2, v20
	s_wait_alu 0xfffd
	v_add_co_ci_u32_e64 v6, null, s60, v6, vcc_lo
	s_mov_b32 s16, exec_lo
	global_store_b8 v[5:6], v7, off
	v_cmpx_gt_i32_e64 s3, v8
	s_wait_alu 0xfffe
	s_xor_b32 s16, exec_lo, s16
	s_cbranch_execz .LBB5_2
; %bb.51:                               ;   in Loop: Header=BB5_3 Depth=1
	v_add_nc_u32_e32 v4, s27, v4
	v_add_nc_u32_e32 v7, 3, v20
	s_mov_b32 s16, exec_lo
	s_delay_alu instid0(VALU_DEP_2) | instskip(SKIP_2) | instid1(VALU_DEP_2)
	v_ashrrev_i32_e32 v6, 31, v4
	v_add_co_u32 v5, vcc_lo, s14, v4
	s_wait_alu 0xfffd
	v_add_co_ci_u32_e64 v6, null, s15, v6, vcc_lo
	global_store_d16_hi_b8 v[5:6], v3, off
	v_cmpx_gt_i32_e64 s3, v7
	s_wait_alu 0xfffe
	s_xor_b32 s16, exec_lo, s16
	s_cbranch_execz .LBB5_2
; %bb.52:                               ;   in Loop: Header=BB5_3 Depth=1
	v_add_nc_u32_e32 v4, s56, v4
	v_lshrrev_b32_e32 v6, 24, v3
	s_delay_alu instid0(VALU_DEP_2) | instskip(SKIP_2) | instid1(VALU_DEP_2)
	v_ashrrev_i32_e32 v5, 31, v4
	v_add_co_u32 v3, vcc_lo, s14, v4
	s_wait_alu 0xfffd
	v_add_co_ci_u32_e64 v4, null, s15, v5, vcc_lo
	global_store_b8 v[3:4], v6, off
	s_branch .LBB5_2
.LBB5_53:
	s_endpgm
	.section	.rodata,"a",@progbits
	.p2align	6, 0x0
	.amdhsa_kernel _ZN2at6native16triu_tril_kernelIaiLb0ELi4ELb0EEEvNS_4cuda6detail10TensorInfoIT_T0_EENS4_IKS5_S6_EEllS6_
		.amdhsa_group_segment_fixed_size 0
		.amdhsa_private_segment_fixed_size 0
		.amdhsa_kernarg_size 712
		.amdhsa_user_sgpr_count 2
		.amdhsa_user_sgpr_dispatch_ptr 0
		.amdhsa_user_sgpr_queue_ptr 0
		.amdhsa_user_sgpr_kernarg_segment_ptr 1
		.amdhsa_user_sgpr_dispatch_id 0
		.amdhsa_user_sgpr_private_segment_size 0
		.amdhsa_wavefront_size32 1
		.amdhsa_uses_dynamic_stack 0
		.amdhsa_enable_private_segment 0
		.amdhsa_system_sgpr_workgroup_id_x 1
		.amdhsa_system_sgpr_workgroup_id_y 0
		.amdhsa_system_sgpr_workgroup_id_z 0
		.amdhsa_system_sgpr_workgroup_info 0
		.amdhsa_system_vgpr_workitem_id 0
		.amdhsa_next_free_vgpr 26
		.amdhsa_next_free_sgpr 78
		.amdhsa_reserve_vcc 1
		.amdhsa_float_round_mode_32 0
		.amdhsa_float_round_mode_16_64 0
		.amdhsa_float_denorm_mode_32 3
		.amdhsa_float_denorm_mode_16_64 3
		.amdhsa_fp16_overflow 0
		.amdhsa_workgroup_processor_mode 1
		.amdhsa_memory_ordered 1
		.amdhsa_forward_progress 1
		.amdhsa_inst_pref_size 69
		.amdhsa_round_robin_scheduling 0
		.amdhsa_exception_fp_ieee_invalid_op 0
		.amdhsa_exception_fp_denorm_src 0
		.amdhsa_exception_fp_ieee_div_zero 0
		.amdhsa_exception_fp_ieee_overflow 0
		.amdhsa_exception_fp_ieee_underflow 0
		.amdhsa_exception_fp_ieee_inexact 0
		.amdhsa_exception_int_div_zero 0
	.end_amdhsa_kernel
	.section	.text._ZN2at6native16triu_tril_kernelIaiLb0ELi4ELb0EEEvNS_4cuda6detail10TensorInfoIT_T0_EENS4_IKS5_S6_EEllS6_,"axG",@progbits,_ZN2at6native16triu_tril_kernelIaiLb0ELi4ELb0EEEvNS_4cuda6detail10TensorInfoIT_T0_EENS4_IKS5_S6_EEllS6_,comdat
.Lfunc_end5:
	.size	_ZN2at6native16triu_tril_kernelIaiLb0ELi4ELb0EEEvNS_4cuda6detail10TensorInfoIT_T0_EENS4_IKS5_S6_EEllS6_, .Lfunc_end5-_ZN2at6native16triu_tril_kernelIaiLb0ELi4ELb0EEEvNS_4cuda6detail10TensorInfoIT_T0_EENS4_IKS5_S6_EEllS6_
                                        ; -- End function
	.set _ZN2at6native16triu_tril_kernelIaiLb0ELi4ELb0EEEvNS_4cuda6detail10TensorInfoIT_T0_EENS4_IKS5_S6_EEllS6_.num_vgpr, 26
	.set _ZN2at6native16triu_tril_kernelIaiLb0ELi4ELb0EEEvNS_4cuda6detail10TensorInfoIT_T0_EENS4_IKS5_S6_EEllS6_.num_agpr, 0
	.set _ZN2at6native16triu_tril_kernelIaiLb0ELi4ELb0EEEvNS_4cuda6detail10TensorInfoIT_T0_EENS4_IKS5_S6_EEllS6_.numbered_sgpr, 78
	.set _ZN2at6native16triu_tril_kernelIaiLb0ELi4ELb0EEEvNS_4cuda6detail10TensorInfoIT_T0_EENS4_IKS5_S6_EEllS6_.num_named_barrier, 0
	.set _ZN2at6native16triu_tril_kernelIaiLb0ELi4ELb0EEEvNS_4cuda6detail10TensorInfoIT_T0_EENS4_IKS5_S6_EEllS6_.private_seg_size, 0
	.set _ZN2at6native16triu_tril_kernelIaiLb0ELi4ELb0EEEvNS_4cuda6detail10TensorInfoIT_T0_EENS4_IKS5_S6_EEllS6_.uses_vcc, 1
	.set _ZN2at6native16triu_tril_kernelIaiLb0ELi4ELb0EEEvNS_4cuda6detail10TensorInfoIT_T0_EENS4_IKS5_S6_EEllS6_.uses_flat_scratch, 0
	.set _ZN2at6native16triu_tril_kernelIaiLb0ELi4ELb0EEEvNS_4cuda6detail10TensorInfoIT_T0_EENS4_IKS5_S6_EEllS6_.has_dyn_sized_stack, 0
	.set _ZN2at6native16triu_tril_kernelIaiLb0ELi4ELb0EEEvNS_4cuda6detail10TensorInfoIT_T0_EENS4_IKS5_S6_EEllS6_.has_recursion, 0
	.set _ZN2at6native16triu_tril_kernelIaiLb0ELi4ELb0EEEvNS_4cuda6detail10TensorInfoIT_T0_EENS4_IKS5_S6_EEllS6_.has_indirect_call, 0
	.section	.AMDGPU.csdata,"",@progbits
; Kernel info:
; codeLenInByte = 8736
; TotalNumSgprs: 80
; NumVgprs: 26
; ScratchSize: 0
; MemoryBound: 0
; FloatMode: 240
; IeeeMode: 1
; LDSByteSize: 0 bytes/workgroup (compile time only)
; SGPRBlocks: 0
; VGPRBlocks: 3
; NumSGPRsForWavesPerEU: 80
; NumVGPRsForWavesPerEU: 26
; Occupancy: 16
; WaveLimiterHint : 1
; COMPUTE_PGM_RSRC2:SCRATCH_EN: 0
; COMPUTE_PGM_RSRC2:USER_SGPR: 2
; COMPUTE_PGM_RSRC2:TRAP_HANDLER: 0
; COMPUTE_PGM_RSRC2:TGID_X_EN: 1
; COMPUTE_PGM_RSRC2:TGID_Y_EN: 0
; COMPUTE_PGM_RSRC2:TGID_Z_EN: 0
; COMPUTE_PGM_RSRC2:TIDIG_COMP_CNT: 0
	.section	.text._ZN2at6native16triu_tril_kernelIalLb0ELi4ELb1EEEvNS_4cuda6detail10TensorInfoIT_T0_EENS4_IKS5_S6_EEllS6_,"axG",@progbits,_ZN2at6native16triu_tril_kernelIalLb0ELi4ELb1EEEvNS_4cuda6detail10TensorInfoIT_T0_EENS4_IKS5_S6_EEllS6_,comdat
	.protected	_ZN2at6native16triu_tril_kernelIalLb0ELi4ELb1EEEvNS_4cuda6detail10TensorInfoIT_T0_EENS4_IKS5_S6_EEllS6_ ; -- Begin function _ZN2at6native16triu_tril_kernelIalLb0ELi4ELb1EEEvNS_4cuda6detail10TensorInfoIT_T0_EENS4_IKS5_S6_EEllS6_
	.globl	_ZN2at6native16triu_tril_kernelIalLb0ELi4ELb1EEEvNS_4cuda6detail10TensorInfoIT_T0_EENS4_IKS5_S6_EEllS6_
	.p2align	8
	.type	_ZN2at6native16triu_tril_kernelIalLb0ELi4ELb1EEEvNS_4cuda6detail10TensorInfoIT_T0_EENS4_IKS5_S6_EEllS6_,@function
_ZN2at6native16triu_tril_kernelIalLb0ELi4ELb1EEEvNS_4cuda6detail10TensorInfoIT_T0_EENS4_IKS5_S6_EEllS6_: ; @_ZN2at6native16triu_tril_kernelIalLb0ELi4ELb1EEEvNS_4cuda6detail10TensorInfoIT_T0_EENS4_IKS5_S6_EEllS6_
; %bb.0:
	s_clause 0x1
	s_load_b32 s2, s[0:1], 0x364
	s_load_b128 s[4:7], s[0:1], 0x340
	v_mov_b32_e32 v2, 0
	s_mov_b32 s3, exec_lo
	s_delay_alu instid0(VALU_DEP_1)
	v_mov_b32_e32 v1, v2
	s_wait_kmcnt 0x0
	s_and_b32 s2, s2, 0xffff
	s_delay_alu instid0(VALU_DEP_1) | instid1(SALU_CYCLE_1)
	v_mad_co_u64_u32 v[0:1], null, s2, ttmp9, v[0:1]
	s_delay_alu instid0(VALU_DEP_1) | instskip(NEXT) | instid1(VALU_DEP_1)
	v_lshlrev_b64_e32 v[0:1], 2, v[0:1]
	v_cmpx_gt_i64_e64 s[6:7], v[0:1]
	s_cbranch_execz .LBB6_49
; %bb.1:
	s_load_b32 s22, s[0:1], 0x338
	s_add_nc_u64 s[12:13], s[0:1], 0x358
	s_clause 0x1
	s_load_b64 s[8:9], s[0:1], 0x350
	s_load_b64 s[10:11], s[0:1], 0x0
	s_add_nc_u64 s[28:29], s[0:1], 0x1a0
	s_load_b32 s3, s[12:13], 0x0
	s_movk_i32 s18, 0xffe0
	s_add_nc_u64 s[16:17], s[0:1], 0xb8
	s_mov_b32 s19, -1
	s_add_nc_u64 s[34:35], s[0:1], 0x190
	s_mov_b32 s65, 0
	s_wait_kmcnt 0x0
	s_add_co_i32 s14, s22, -2
	v_cvt_f32_u32_e32 v3, s8
	s_ashr_i32 s15, s14, 31
	s_add_co_i32 s20, s22, -3
	s_lshl_b64 s[12:13], s[14:15], 3
	s_ashr_i32 s23, s22, 31
	s_add_nc_u64 s[12:13], s[28:29], s[12:13]
	v_rcp_iflag_f32_e32 v3, v3
	s_load_b64 s[12:13], s[12:13], 0x8
	s_mul_i32 s24, s3, s2
	s_and_b32 s25, s20, 3
	s_lshl_b64 s[2:3], s[22:23], 3
	s_ashr_i32 s21, s20, 31
	s_and_b32 s14, s14, 3
	s_lshl_b32 s62, s24, 2
	s_cmp_lg_u32 s25, 3
	v_cmp_gt_i64_e64 s33, s[22:23], 2
	s_cselect_b32 s63, -1, 0
	s_cmp_gt_u32 s20, 2
	s_wait_alu 0xfffe
	s_add_nc_u64 s[22:23], s[0:1], s[2:3]
	s_add_nc_u64 s[24:25], s[28:29], s[2:3]
	s_cselect_b32 s64, -1, 0
	s_lshl_b64 s[2:3], s[20:21], 3
	s_mov_b32 s15, 0
	s_wait_alu 0xfffe
	s_add_nc_u64 s[30:31], s[0:1], s[2:3]
	s_add_nc_u64 s[2:3], s[28:29], s[2:3]
	s_mov_b64 s[26:27], s[14:15]
	s_add_nc_u64 s[28:29], s[30:31], 0xd0
	s_wait_kmcnt 0x0
	v_cvt_f32_u32_e32 v4, s12
	s_wait_alu 0xfffe
	s_add_nc_u64 s[30:31], s[2:3], 8
	s_ashr_i32 s36, s9, 31
	s_delay_alu instid0(VALU_DEP_1) | instskip(NEXT) | instid1(TRANS32_DEP_1)
	v_rcp_iflag_f32_e32 v4, v4
	v_dual_mul_f32 v3, 0x4f7ffffe, v3 :: v_dual_mul_f32 v4, 0x4f7ffffe, v4
	s_delay_alu instid0(VALU_DEP_1) | instskip(NEXT) | instid1(VALU_DEP_2)
	v_cvt_u32_f32_e32 v20, v3
	v_cvt_u32_f32_e32 v21, v4
	s_branch .LBB6_3
.LBB6_2:                                ;   in Loop: Header=BB6_3 Depth=1
	s_wait_alu 0xfffe
	s_or_b32 exec_lo, exec_lo, s37
	v_add_co_u32 v0, vcc_lo, v0, s62
	s_wait_alu 0xfffd
	v_add_co_ci_u32_e64 v1, null, 0, v1, vcc_lo
	s_delay_alu instid0(VALU_DEP_1) | instskip(SKIP_1) | instid1(SALU_CYCLE_1)
	v_cmp_le_i64_e32 vcc_lo, s[6:7], v[0:1]
	s_or_b32 s65, vcc_lo, s65
	s_and_not1_b32 exec_lo, exec_lo, s65
	s_cbranch_execz .LBB6_49
.LBB6_3:                                ; =>This Loop Header: Depth=1
                                        ;     Child Loop BB6_17 Depth 2
                                        ;     Child Loop BB6_22 Depth 2
	v_or_b32_e32 v3, s9, v1
                                        ; implicit-def: $vgpr6_vgpr7
	s_mov_b32 s0, exec_lo
	s_delay_alu instid0(VALU_DEP_1)
	v_cmpx_ne_u64_e32 0, v[2:3]
	s_wait_alu 0xfffe
	s_xor_b32 s1, exec_lo, s0
	s_cbranch_execz .LBB6_5
; %bb.4:                                ;   in Loop: Header=BB6_3 Depth=1
	s_mov_b32 s37, s36
	v_ashrrev_i32_e32 v9, 31, v1
	s_wait_alu 0xfffe
	s_add_nc_u64 s[2:3], s[8:9], s[36:37]
	s_wait_alu 0xfffe
	s_xor_b64 s[2:3], s[2:3], s[36:37]
	v_add_co_u32 v3, vcc_lo, v0, v9
	s_wait_alu 0xfffe
	s_cvt_f32_u32 s0, s2
	s_cvt_f32_u32 s14, s3
	s_sub_nc_u64 s[40:41], 0, s[2:3]
	s_wait_alu 0xfffd
	v_add_co_ci_u32_e64 v4, null, v1, v9, vcc_lo
	s_wait_alu 0xfffe
	s_fmamk_f32 s0, s14, 0x4f800000, s0
	v_xor_b32_e32 v10, v3, v9
	s_delay_alu instid0(VALU_DEP_2) | instskip(SKIP_2) | instid1(TRANS32_DEP_1)
	v_xor_b32_e32 v11, v4, v9
	s_wait_alu 0xfffe
	v_s_rcp_f32 s0, s0
	s_mul_f32 s0, s0, 0x5f7ffffc
	s_wait_alu 0xfffe
	s_delay_alu instid0(SALU_CYCLE_2) | instskip(SKIP_1) | instid1(SALU_CYCLE_2)
	s_mul_f32 s14, s0, 0x2f800000
	s_wait_alu 0xfffe
	s_trunc_f32 s14, s14
	s_wait_alu 0xfffe
	s_delay_alu instid0(SALU_CYCLE_2) | instskip(SKIP_2) | instid1(SALU_CYCLE_1)
	s_fmamk_f32 s0, s14, 0xcf800000, s0
	s_cvt_u32_f32 s39, s14
	s_wait_alu 0xfffe
	s_cvt_u32_f32 s38, s0
	s_wait_alu 0xfffe
	s_delay_alu instid0(SALU_CYCLE_2) | instskip(NEXT) | instid1(SALU_CYCLE_1)
	s_mul_u64 s[42:43], s[40:41], s[38:39]
	s_mul_hi_u32 s45, s38, s43
	s_mul_i32 s44, s38, s43
	s_mul_hi_u32 s14, s38, s42
	s_mul_i32 s37, s39, s42
	s_wait_alu 0xfffe
	s_add_nc_u64 s[44:45], s[14:15], s[44:45]
	s_mul_hi_u32 s0, s39, s42
	s_mul_hi_u32 s46, s39, s43
	s_wait_alu 0xfffe
	s_add_co_u32 s14, s44, s37
	s_add_co_ci_u32 s14, s45, s0
	s_mul_i32 s42, s39, s43
	s_add_co_ci_u32 s43, s46, 0
	s_wait_alu 0xfffe
	s_add_nc_u64 s[42:43], s[14:15], s[42:43]
	s_delay_alu instid0(SALU_CYCLE_1)
	s_add_co_u32 s38, s38, s42
	s_cselect_b32 s0, -1, 0
	s_wait_alu 0xfffe
	s_cmp_lg_u32 s0, 0
	s_add_co_ci_u32 s39, s39, s43
	s_wait_alu 0xfffe
	s_mul_u64 s[40:41], s[40:41], s[38:39]
	s_wait_alu 0xfffe
	s_mul_hi_u32 s43, s38, s41
	s_mul_i32 s42, s38, s41
	s_mul_hi_u32 s14, s38, s40
	s_mul_i32 s37, s39, s40
	s_wait_alu 0xfffe
	s_add_nc_u64 s[42:43], s[14:15], s[42:43]
	s_mul_hi_u32 s0, s39, s40
	s_mul_hi_u32 s44, s39, s41
	s_add_co_u32 s14, s42, s37
	s_wait_alu 0xfffe
	s_add_co_ci_u32 s14, s43, s0
	s_mul_i32 s40, s39, s41
	s_add_co_ci_u32 s41, s44, 0
	s_wait_alu 0xfffe
	s_add_nc_u64 s[40:41], s[14:15], s[40:41]
	s_wait_alu 0xfffe
	s_add_co_u32 s0, s38, s40
	s_cselect_b32 s14, -1, 0
	s_wait_alu 0xfffe
	v_mul_hi_u32 v12, v10, s0
	s_cmp_lg_u32 s14, 0
	v_mad_co_u64_u32 v[5:6], null, v11, s0, 0
	s_add_co_ci_u32 s14, s39, s41
	s_wait_alu 0xfffe
	v_mad_co_u64_u32 v[3:4], null, v10, s14, 0
	v_mad_co_u64_u32 v[7:8], null, v11, s14, 0
	s_delay_alu instid0(VALU_DEP_2) | instskip(SKIP_1) | instid1(VALU_DEP_3)
	v_add_co_u32 v3, vcc_lo, v12, v3
	s_wait_alu 0xfffd
	v_add_co_ci_u32_e64 v4, null, 0, v4, vcc_lo
	s_delay_alu instid0(VALU_DEP_2) | instskip(SKIP_1) | instid1(VALU_DEP_2)
	v_add_co_u32 v3, vcc_lo, v3, v5
	s_wait_alu 0xfffd
	v_add_co_ci_u32_e32 v3, vcc_lo, v4, v6, vcc_lo
	s_wait_alu 0xfffd
	v_add_co_ci_u32_e32 v4, vcc_lo, 0, v8, vcc_lo
	s_delay_alu instid0(VALU_DEP_2) | instskip(SKIP_1) | instid1(VALU_DEP_2)
	v_add_co_u32 v5, vcc_lo, v3, v7
	s_wait_alu 0xfffd
	v_add_co_ci_u32_e64 v6, null, 0, v4, vcc_lo
	s_delay_alu instid0(VALU_DEP_2) | instskip(SKIP_1) | instid1(VALU_DEP_3)
	v_mul_lo_u32 v7, s3, v5
	v_mad_co_u64_u32 v[3:4], null, s2, v5, 0
	v_mul_lo_u32 v8, s2, v6
	s_delay_alu instid0(VALU_DEP_2) | instskip(NEXT) | instid1(VALU_DEP_2)
	v_sub_co_u32 v3, vcc_lo, v10, v3
	v_add3_u32 v4, v4, v8, v7
	v_add_co_u32 v8, s0, v5, 2
	s_wait_alu 0xf1ff
	v_add_co_ci_u32_e64 v10, null, 0, v6, s0
	s_delay_alu instid0(VALU_DEP_3) | instskip(SKIP_3) | instid1(VALU_DEP_3)
	v_sub_nc_u32_e32 v7, v11, v4
	v_sub_co_u32 v12, s0, v3, s2
	s_wait_alu 0xfffd
	v_sub_co_ci_u32_e64 v4, null, v11, v4, vcc_lo
	v_subrev_co_ci_u32_e64 v7, null, s3, v7, vcc_lo
	s_delay_alu instid0(VALU_DEP_3) | instskip(SKIP_1) | instid1(VALU_DEP_2)
	v_cmp_le_u32_e32 vcc_lo, s2, v12
	s_wait_alu 0xf1ff
	v_subrev_co_ci_u32_e64 v7, null, 0, v7, s0
	s_wait_alu 0xfffd
	v_cndmask_b32_e64 v11, 0, -1, vcc_lo
	s_delay_alu instid0(VALU_DEP_2)
	v_cmp_le_u32_e32 vcc_lo, s3, v7
	s_wait_alu 0xfffd
	v_cndmask_b32_e64 v12, 0, -1, vcc_lo
	v_cmp_le_u32_e32 vcc_lo, s2, v3
	s_wait_alu 0xfffd
	v_cndmask_b32_e64 v3, 0, -1, vcc_lo
	;; [unrolled: 3-line block ×3, first 2 shown]
	v_cmp_eq_u32_e32 vcc_lo, s3, v7
	s_wait_alu 0xfffd
	v_cndmask_b32_e32 v7, v12, v11, vcc_lo
	v_add_co_u32 v11, vcc_lo, v5, 1
	s_wait_alu 0xfffd
	v_add_co_ci_u32_e64 v12, null, 0, v6, vcc_lo
	v_cmp_eq_u32_e32 vcc_lo, s3, v4
	s_wait_alu 0xfffd
	v_cndmask_b32_e32 v3, v13, v3, vcc_lo
	v_cmp_ne_u32_e32 vcc_lo, 0, v7
	v_xor_b32_e32 v7, s36, v9
	s_wait_alu 0xfffd
	v_cndmask_b32_e32 v4, v12, v10, vcc_lo
	v_cmp_ne_u32_e64 s0, 0, v3
	v_cndmask_b32_e32 v3, v11, v8, vcc_lo
	s_wait_alu 0xf1ff
	s_delay_alu instid0(VALU_DEP_2) | instskip(NEXT) | instid1(VALU_DEP_2)
	v_cndmask_b32_e64 v4, v6, v4, s0
	v_cndmask_b32_e64 v3, v5, v3, s0
	s_delay_alu instid0(VALU_DEP_2) | instskip(NEXT) | instid1(VALU_DEP_2)
	v_xor_b32_e32 v4, v4, v7
	v_xor_b32_e32 v3, v3, v7
	s_delay_alu instid0(VALU_DEP_1) | instskip(SKIP_1) | instid1(VALU_DEP_3)
	v_sub_co_u32 v6, vcc_lo, v3, v7
	s_wait_alu 0xfffd
	v_sub_co_ci_u32_e64 v7, null, v4, v7, vcc_lo
.LBB6_5:                                ;   in Loop: Header=BB6_3 Depth=1
	s_wait_alu 0xfffe
	s_and_not1_saveexec_b32 s0, s1
	s_cbranch_execz .LBB6_7
; %bb.6:                                ;   in Loop: Header=BB6_3 Depth=1
	s_sub_co_i32 s1, 0, s8
	v_mov_b32_e32 v7, v2
	s_wait_alu 0xfffe
	v_mul_lo_u32 v3, s1, v20
	s_delay_alu instid0(VALU_DEP_1) | instskip(NEXT) | instid1(VALU_DEP_1)
	v_mul_hi_u32 v3, v20, v3
	v_add_nc_u32_e32 v3, v20, v3
	s_delay_alu instid0(VALU_DEP_1) | instskip(NEXT) | instid1(VALU_DEP_1)
	v_mul_hi_u32 v3, v0, v3
	v_mul_lo_u32 v4, v3, s8
	s_delay_alu instid0(VALU_DEP_1) | instskip(NEXT) | instid1(VALU_DEP_1)
	v_sub_nc_u32_e32 v4, v0, v4
	v_subrev_nc_u32_e32 v6, s8, v4
	v_cmp_le_u32_e32 vcc_lo, s8, v4
	s_wait_alu 0xfffd
	s_delay_alu instid0(VALU_DEP_2) | instskip(NEXT) | instid1(VALU_DEP_1)
	v_dual_cndmask_b32 v4, v4, v6 :: v_dual_add_nc_u32 v5, 1, v3
	v_cndmask_b32_e32 v3, v3, v5, vcc_lo
	s_delay_alu instid0(VALU_DEP_2) | instskip(NEXT) | instid1(VALU_DEP_2)
	v_cmp_le_u32_e32 vcc_lo, s8, v4
	v_add_nc_u32_e32 v5, 1, v3
	s_wait_alu 0xfffd
	s_delay_alu instid0(VALU_DEP_1)
	v_cndmask_b32_e32 v6, v3, v5, vcc_lo
.LBB6_7:                                ;   in Loop: Header=BB6_3 Depth=1
	s_wait_alu 0xfffe
	s_or_b32 exec_lo, exec_lo, s0
	v_or_b32_e32 v3, s13, v7
                                        ; implicit-def: $vgpr10_vgpr11
	s_mov_b32 s0, exec_lo
	s_delay_alu instid0(VALU_DEP_1)
	v_cmpx_ne_u64_e32 0, v[2:3]
	s_wait_alu 0xfffe
	s_xor_b32 s1, exec_lo, s0
	s_cbranch_execz .LBB6_9
; %bb.8:                                ;   in Loop: Header=BB6_3 Depth=1
	s_ashr_i32 s2, s13, 31
	v_ashrrev_i32_e32 v5, 31, v7
	s_wait_alu 0xfffe
	s_mov_b32 s3, s2
	s_wait_alu 0xfffe
	s_add_nc_u64 s[38:39], s[12:13], s[2:3]
	v_add_co_u32 v3, vcc_lo, v6, v5
	s_wait_alu 0xfffe
	s_xor_b64 s[38:39], s[38:39], s[2:3]
	s_wait_alu 0xfffd
	v_add_co_ci_u32_e64 v4, null, v7, v5, vcc_lo
	s_wait_alu 0xfffe
	s_cvt_f32_u32 s0, s38
	s_cvt_f32_u32 s3, s39
	s_sub_nc_u64 s[42:43], 0, s[38:39]
	v_xor_b32_e32 v12, v3, v5
	v_xor_b32_e32 v13, v4, v5
	s_wait_alu 0xfffe
	s_fmamk_f32 s0, s3, 0x4f800000, s0
	v_xor_b32_e32 v5, s2, v5
	s_wait_alu 0xfffe
	s_delay_alu instid0(SALU_CYCLE_1) | instskip(NEXT) | instid1(TRANS32_DEP_1)
	v_s_rcp_f32 s0, s0
	s_mul_f32 s0, s0, 0x5f7ffffc
	s_wait_alu 0xfffe
	s_delay_alu instid0(SALU_CYCLE_2) | instskip(SKIP_1) | instid1(SALU_CYCLE_2)
	s_mul_f32 s3, s0, 0x2f800000
	s_wait_alu 0xfffe
	s_trunc_f32 s3, s3
	s_wait_alu 0xfffe
	s_delay_alu instid0(SALU_CYCLE_2) | instskip(SKIP_2) | instid1(SALU_CYCLE_1)
	s_fmamk_f32 s0, s3, 0xcf800000, s0
	s_cvt_u32_f32 s41, s3
	s_wait_alu 0xfffe
	s_cvt_u32_f32 s40, s0
	s_wait_alu 0xfffe
	s_delay_alu instid0(SALU_CYCLE_2)
	s_mul_u64 s[44:45], s[42:43], s[40:41]
	s_wait_alu 0xfffe
	s_mul_hi_u32 s47, s40, s45
	s_mul_i32 s46, s40, s45
	s_mul_hi_u32 s14, s40, s44
	s_mul_i32 s3, s41, s44
	s_wait_alu 0xfffe
	s_add_nc_u64 s[46:47], s[14:15], s[46:47]
	s_mul_hi_u32 s0, s41, s44
	s_mul_hi_u32 s37, s41, s45
	s_wait_alu 0xfffe
	s_add_co_u32 s3, s46, s3
	s_add_co_ci_u32 s14, s47, s0
	s_mul_i32 s44, s41, s45
	s_add_co_ci_u32 s45, s37, 0
	s_wait_alu 0xfffe
	s_add_nc_u64 s[44:45], s[14:15], s[44:45]
	s_wait_alu 0xfffe
	s_add_co_u32 s40, s40, s44
	s_cselect_b32 s0, -1, 0
	s_wait_alu 0xfffe
	s_cmp_lg_u32 s0, 0
	s_add_co_ci_u32 s41, s41, s45
	s_wait_alu 0xfffe
	s_mul_u64 s[42:43], s[42:43], s[40:41]
	s_delay_alu instid0(SALU_CYCLE_1)
	s_mul_hi_u32 s45, s40, s43
	s_mul_i32 s44, s40, s43
	s_mul_hi_u32 s14, s40, s42
	s_mul_i32 s3, s41, s42
	s_wait_alu 0xfffe
	s_add_nc_u64 s[44:45], s[14:15], s[44:45]
	s_mul_hi_u32 s0, s41, s42
	s_mul_hi_u32 s37, s41, s43
	s_wait_alu 0xfffe
	s_add_co_u32 s3, s44, s3
	s_add_co_ci_u32 s14, s45, s0
	s_mul_i32 s42, s41, s43
	s_add_co_ci_u32 s43, s37, 0
	s_wait_alu 0xfffe
	s_add_nc_u64 s[42:43], s[14:15], s[42:43]
	s_delay_alu instid0(SALU_CYCLE_1)
	s_add_co_u32 s0, s40, s42
	s_cselect_b32 s3, -1, 0
	s_wait_alu 0xfffe
	v_mul_hi_u32 v14, v12, s0
	s_cmp_lg_u32 s3, 0
	v_mad_co_u64_u32 v[8:9], null, v13, s0, 0
	s_add_co_ci_u32 s3, s41, s43
	s_wait_alu 0xfffe
	v_mad_co_u64_u32 v[3:4], null, v12, s3, 0
	v_mad_co_u64_u32 v[10:11], null, v13, s3, 0
	s_delay_alu instid0(VALU_DEP_2) | instskip(SKIP_1) | instid1(VALU_DEP_3)
	v_add_co_u32 v3, vcc_lo, v14, v3
	s_wait_alu 0xfffd
	v_add_co_ci_u32_e64 v4, null, 0, v4, vcc_lo
	s_delay_alu instid0(VALU_DEP_2) | instskip(SKIP_1) | instid1(VALU_DEP_2)
	v_add_co_u32 v3, vcc_lo, v3, v8
	s_wait_alu 0xfffd
	v_add_co_ci_u32_e32 v3, vcc_lo, v4, v9, vcc_lo
	s_wait_alu 0xfffd
	v_add_co_ci_u32_e32 v4, vcc_lo, 0, v11, vcc_lo
	s_delay_alu instid0(VALU_DEP_2) | instskip(SKIP_1) | instid1(VALU_DEP_2)
	v_add_co_u32 v8, vcc_lo, v3, v10
	s_wait_alu 0xfffd
	v_add_co_ci_u32_e64 v9, null, 0, v4, vcc_lo
	s_delay_alu instid0(VALU_DEP_2) | instskip(SKIP_1) | instid1(VALU_DEP_3)
	v_mul_lo_u32 v10, s39, v8
	v_mad_co_u64_u32 v[3:4], null, s38, v8, 0
	v_mul_lo_u32 v11, s38, v9
	s_delay_alu instid0(VALU_DEP_2) | instskip(NEXT) | instid1(VALU_DEP_2)
	v_sub_co_u32 v3, vcc_lo, v12, v3
	v_add3_u32 v4, v4, v11, v10
	v_add_co_u32 v11, s0, v8, 2
	s_wait_alu 0xf1ff
	v_add_co_ci_u32_e64 v12, null, 0, v9, s0
	s_delay_alu instid0(VALU_DEP_3) | instskip(SKIP_3) | instid1(VALU_DEP_3)
	v_sub_nc_u32_e32 v10, v13, v4
	v_sub_co_u32 v14, s0, v3, s38
	s_wait_alu 0xfffd
	v_sub_co_ci_u32_e64 v4, null, v13, v4, vcc_lo
	v_subrev_co_ci_u32_e64 v10, null, s39, v10, vcc_lo
	s_delay_alu instid0(VALU_DEP_3) | instskip(SKIP_1) | instid1(VALU_DEP_2)
	v_cmp_le_u32_e32 vcc_lo, s38, v14
	s_wait_alu 0xf1ff
	v_subrev_co_ci_u32_e64 v10, null, 0, v10, s0
	s_wait_alu 0xfffd
	v_cndmask_b32_e64 v13, 0, -1, vcc_lo
	s_delay_alu instid0(VALU_DEP_2)
	v_cmp_le_u32_e32 vcc_lo, s39, v10
	s_wait_alu 0xfffd
	v_cndmask_b32_e64 v14, 0, -1, vcc_lo
	v_cmp_le_u32_e32 vcc_lo, s38, v3
	s_wait_alu 0xfffd
	v_cndmask_b32_e64 v3, 0, -1, vcc_lo
	;; [unrolled: 3-line block ×3, first 2 shown]
	v_cmp_eq_u32_e32 vcc_lo, s39, v10
	s_wait_alu 0xfffd
	v_cndmask_b32_e32 v10, v14, v13, vcc_lo
	v_add_co_u32 v13, vcc_lo, v8, 1
	s_wait_alu 0xfffd
	v_add_co_ci_u32_e64 v14, null, 0, v9, vcc_lo
	v_cmp_eq_u32_e32 vcc_lo, s39, v4
	s_wait_alu 0xfffd
	v_cndmask_b32_e32 v3, v15, v3, vcc_lo
	v_cmp_ne_u32_e32 vcc_lo, 0, v10
	s_delay_alu instid0(VALU_DEP_2) | instskip(SKIP_3) | instid1(VALU_DEP_1)
	v_cmp_ne_u32_e64 s0, 0, v3
	s_wait_alu 0xfffd
	v_dual_cndmask_b32 v4, v14, v12 :: v_dual_cndmask_b32 v3, v13, v11
	s_wait_alu 0xf1ff
	v_cndmask_b32_e64 v4, v9, v4, s0
	s_delay_alu instid0(VALU_DEP_2) | instskip(NEXT) | instid1(VALU_DEP_2)
	v_cndmask_b32_e64 v3, v8, v3, s0
	v_xor_b32_e32 v4, v4, v5
	s_delay_alu instid0(VALU_DEP_2) | instskip(NEXT) | instid1(VALU_DEP_1)
	v_xor_b32_e32 v3, v3, v5
	v_sub_co_u32 v10, vcc_lo, v3, v5
	s_wait_alu 0xfffd
	s_delay_alu instid0(VALU_DEP_3)
	v_sub_co_ci_u32_e64 v11, null, v4, v5, vcc_lo
.LBB6_9:                                ;   in Loop: Header=BB6_3 Depth=1
	s_wait_alu 0xfffe
	s_and_not1_saveexec_b32 s0, s1
	s_cbranch_execz .LBB6_11
; %bb.10:                               ;   in Loop: Header=BB6_3 Depth=1
	s_sub_co_i32 s1, 0, s12
	v_mov_b32_e32 v11, v2
	s_wait_alu 0xfffe
	v_mul_lo_u32 v3, s1, v21
	s_delay_alu instid0(VALU_DEP_1) | instskip(NEXT) | instid1(VALU_DEP_1)
	v_mul_hi_u32 v3, v21, v3
	v_add_nc_u32_e32 v3, v21, v3
	s_delay_alu instid0(VALU_DEP_1) | instskip(NEXT) | instid1(VALU_DEP_1)
	v_mul_hi_u32 v3, v6, v3
	v_mul_lo_u32 v4, v3, s12
	v_add_nc_u32_e32 v5, 1, v3
	s_delay_alu instid0(VALU_DEP_2) | instskip(NEXT) | instid1(VALU_DEP_1)
	v_sub_nc_u32_e32 v4, v6, v4
	v_subrev_nc_u32_e32 v8, s12, v4
	v_cmp_le_u32_e32 vcc_lo, s12, v4
	s_wait_alu 0xfffd
	s_delay_alu instid0(VALU_DEP_2) | instskip(NEXT) | instid1(VALU_DEP_1)
	v_dual_cndmask_b32 v4, v4, v8 :: v_dual_cndmask_b32 v3, v3, v5
	v_cmp_le_u32_e32 vcc_lo, s12, v4
	s_delay_alu instid0(VALU_DEP_2) | instskip(SKIP_1) | instid1(VALU_DEP_1)
	v_add_nc_u32_e32 v5, 1, v3
	s_wait_alu 0xfffd
	v_cndmask_b32_e32 v10, v3, v5, vcc_lo
.LBB6_11:                               ;   in Loop: Header=BB6_3 Depth=1
	s_wait_alu 0xfffe
	s_or_b32 exec_lo, exec_lo, s0
	v_mul_lo_u32 v5, v7, s8
	v_mul_lo_u32 v12, v6, s9
	v_mad_co_u64_u32 v[3:4], null, v6, s8, 0
	v_mul_lo_u32 v13, v11, s12
	v_mul_lo_u32 v14, v10, s13
	v_mad_co_u64_u32 v[8:9], null, v10, s12, 0
	s_mov_b32 s37, exec_lo
	v_add3_u32 v5, v4, v12, v5
	v_sub_co_u32 v4, vcc_lo, v0, v3
	v_add3_u32 v9, v9, v14, v13
	s_wait_alu 0xfffd
	s_delay_alu instid0(VALU_DEP_3) | instskip(SKIP_3) | instid1(VALU_DEP_2)
	v_sub_co_ci_u32_e64 v5, null, v1, v5, vcc_lo
	v_sub_co_u32 v22, vcc_lo, v6, v8
	s_wait_alu 0xfffd
	v_sub_co_ci_u32_e64 v23, null, v7, v9, vcc_lo
	v_sub_co_u32 v6, vcc_lo, v4, v22
	s_wait_alu 0xfffd
	s_delay_alu instid0(VALU_DEP_2) | instskip(NEXT) | instid1(VALU_DEP_2)
	v_sub_co_ci_u32_e64 v7, null, v5, v23, vcc_lo
	v_add_co_u32 v8, vcc_lo, v6, 4
	s_wait_alu 0xfffd
	s_delay_alu instid0(VALU_DEP_2) | instskip(NEXT) | instid1(VALU_DEP_1)
	v_add_co_ci_u32_e64 v9, null, 0, v7, vcc_lo
	v_cmpx_lt_i64_e64 s[4:5], v[8:9]
	s_cbranch_execz .LBB6_2
; %bb.12:                               ;   in Loop: Header=BB6_3 Depth=1
	s_load_b128 s[0:3], s[22:23], 0xc0
	s_and_not1_b32 vcc_lo, exec_lo, s33
	s_wait_kmcnt 0x0
	v_mul_lo_u32 v3, s3, v4
	v_mul_lo_u32 v12, s2, v5
	v_mad_co_u64_u32 v[8:9], null, s2, v4, 0
	s_delay_alu instid0(VALU_DEP_1) | instskip(SKIP_2) | instid1(VALU_DEP_3)
	v_add3_u32 v9, v9, v12, v3
	v_mul_lo_u32 v3, s0, v23
	v_mul_lo_u32 v12, s1, v22
	v_mad_co_u64_u32 v[8:9], null, s0, v22, v[8:9]
	s_delay_alu instid0(VALU_DEP_1)
	v_add3_u32 v9, v12, v9, v3
	s_wait_alu 0xfffe
	s_cbranch_vccnz .LBB6_38
; %bb.13:                               ;   in Loop: Header=BB6_3 Depth=1
	s_mov_b64 s[38:39], s[26:27]
	s_mov_b64 s[40:41], s[30:31]
	s_and_not1_b32 vcc_lo, exec_lo, s63
	s_mov_b64 s[44:45], s[28:29]
	s_mov_b64 s[42:43], s[20:21]
	s_wait_alu 0xfffe
	s_cbranch_vccz .LBB6_17
.LBB6_14:                               ;   in Loop: Header=BB6_3 Depth=1
	s_and_not1_b32 vcc_lo, exec_lo, s64
	s_wait_alu 0xfffe
	s_cbranch_vccnz .LBB6_38
; %bb.15:                               ;   in Loop: Header=BB6_3 Depth=1
	s_lshl_b64 s[0:1], s[42:43], 3
	s_add_nc_u64 s[42:43], s[42:43], 1
	s_wait_alu 0xfffe
	s_add_nc_u64 s[38:39], s[16:17], s[0:1]
	s_add_nc_u64 s[40:41], s[34:35], s[0:1]
	s_branch .LBB6_22
.LBB6_16:                               ;   in Loop: Header=BB6_17 Depth=2
	s_wait_alu 0xfffe
	s_or_b32 exec_lo, exec_lo, s0
	s_load_b64 s[0:1], s[44:45], 0x0
	v_mul_lo_u32 v3, v13, s46
	v_mul_lo_u32 v16, v12, s47
	v_mad_co_u64_u32 v[14:15], null, v12, s46, 0
	s_add_nc_u64 s[38:39], s[38:39], -1
	s_add_nc_u64 s[42:43], s[42:43], -1
	;; [unrolled: 1-line block ×3, first 2 shown]
	s_wait_alu 0xfffe
	s_cmp_lg_u64 s[38:39], 0
	s_add_nc_u64 s[40:41], s[40:41], -8
	v_add3_u32 v3, v15, v16, v3
	v_sub_co_u32 v10, vcc_lo, v10, v14
	s_wait_alu 0xfffd
	s_delay_alu instid0(VALU_DEP_2) | instskip(SKIP_1) | instid1(VALU_DEP_2)
	v_sub_co_ci_u32_e64 v3, null, v11, v3, vcc_lo
	s_wait_kmcnt 0x0
	v_mul_lo_u32 v11, s1, v10
	s_delay_alu instid0(VALU_DEP_2) | instskip(SKIP_1) | instid1(VALU_DEP_1)
	v_mul_lo_u32 v3, s0, v3
	v_mad_co_u64_u32 v[8:9], null, s0, v10, v[8:9]
	v_add3_u32 v9, v11, v9, v3
	v_dual_mov_b32 v10, v12 :: v_dual_mov_b32 v11, v13
	s_cbranch_scc0 .LBB6_14
.LBB6_17:                               ;   Parent Loop BB6_3 Depth=1
                                        ; =>  This Inner Loop Header: Depth=2
	s_load_b64 s[46:47], s[40:41], 0x0
                                        ; implicit-def: $vgpr12_vgpr13
	s_mov_b32 s0, exec_lo
	s_wait_kmcnt 0x0
	v_or_b32_e32 v3, s47, v11
	s_delay_alu instid0(VALU_DEP_1)
	v_cmpx_ne_u64_e32 0, v[2:3]
	s_wait_alu 0xfffe
	s_xor_b32 s1, exec_lo, s0
	s_cbranch_execz .LBB6_19
; %bb.18:                               ;   in Loop: Header=BB6_17 Depth=2
	s_ashr_i32 s48, s47, 31
	v_ashrrev_i32_e32 v3, 31, v11
	s_wait_alu 0xfffe
	s_mov_b32 s49, s48
	s_wait_alu 0xfffe
	s_add_nc_u64 s[50:51], s[46:47], s[48:49]
	v_add_co_u32 v12, vcc_lo, v10, v3
	s_wait_alu 0xfffe
	s_xor_b64 s[50:51], s[50:51], s[48:49]
	s_wait_alu 0xfffd
	v_add_co_ci_u32_e64 v13, null, v11, v3, vcc_lo
	s_wait_alu 0xfffe
	s_cvt_f32_u32 s0, s50
	s_cvt_f32_u32 s14, s51
	s_sub_nc_u64 s[54:55], 0, s[50:51]
	v_xor_b32_e32 v18, v12, v3
	v_xor_b32_e32 v19, v13, v3
	s_wait_alu 0xfffe
	s_fmamk_f32 s0, s14, 0x4f800000, s0
	v_xor_b32_e32 v3, s48, v3
	s_wait_alu 0xfffe
	s_delay_alu instid0(SALU_CYCLE_1) | instskip(NEXT) | instid1(TRANS32_DEP_1)
	v_s_rcp_f32 s0, s0
	s_mul_f32 s0, s0, 0x5f7ffffc
	s_wait_alu 0xfffe
	s_delay_alu instid0(SALU_CYCLE_2) | instskip(SKIP_1) | instid1(SALU_CYCLE_2)
	s_mul_f32 s14, s0, 0x2f800000
	s_wait_alu 0xfffe
	s_trunc_f32 s14, s14
	s_wait_alu 0xfffe
	s_delay_alu instid0(SALU_CYCLE_2) | instskip(SKIP_2) | instid1(SALU_CYCLE_1)
	s_fmamk_f32 s0, s14, 0xcf800000, s0
	s_cvt_u32_f32 s53, s14
	s_wait_alu 0xfffe
	s_cvt_u32_f32 s52, s0
	s_wait_alu 0xfffe
	s_delay_alu instid0(SALU_CYCLE_2)
	s_mul_u64 s[56:57], s[54:55], s[52:53]
	s_wait_alu 0xfffe
	s_mul_hi_u32 s59, s52, s57
	s_mul_i32 s58, s52, s57
	s_mul_hi_u32 s14, s52, s56
	s_mul_i32 s49, s53, s56
	s_wait_alu 0xfffe
	s_add_nc_u64 s[58:59], s[14:15], s[58:59]
	s_mul_hi_u32 s0, s53, s56
	s_mul_hi_u32 s60, s53, s57
	s_wait_alu 0xfffe
	s_add_co_u32 s14, s58, s49
	s_add_co_ci_u32 s14, s59, s0
	s_mul_i32 s56, s53, s57
	s_add_co_ci_u32 s57, s60, 0
	s_wait_alu 0xfffe
	s_add_nc_u64 s[56:57], s[14:15], s[56:57]
	s_wait_alu 0xfffe
	s_add_co_u32 s52, s52, s56
	s_cselect_b32 s0, -1, 0
	s_wait_alu 0xfffe
	s_cmp_lg_u32 s0, 0
	s_add_co_ci_u32 s53, s53, s57
	s_wait_alu 0xfffe
	s_mul_u64 s[54:55], s[54:55], s[52:53]
	s_wait_alu 0xfffe
	s_mul_hi_u32 s57, s52, s55
	s_mul_i32 s56, s52, s55
	s_mul_hi_u32 s14, s52, s54
	s_mul_i32 s49, s53, s54
	s_wait_alu 0xfffe
	s_add_nc_u64 s[56:57], s[14:15], s[56:57]
	s_mul_hi_u32 s0, s53, s54
	s_mul_hi_u32 s58, s53, s55
	s_wait_alu 0xfffe
	s_add_co_u32 s14, s56, s49
	s_add_co_ci_u32 s14, s57, s0
	s_mul_i32 s54, s53, s55
	s_add_co_ci_u32 s55, s58, 0
	s_wait_alu 0xfffe
	s_add_nc_u64 s[54:55], s[14:15], s[54:55]
	s_wait_alu 0xfffe
	s_add_co_u32 s0, s52, s54
	s_cselect_b32 s14, -1, 0
	s_wait_alu 0xfffe
	v_mul_hi_u32 v24, v18, s0
	s_cmp_lg_u32 s14, 0
	v_mad_co_u64_u32 v[14:15], null, v19, s0, 0
	s_add_co_ci_u32 s14, s53, s55
	s_wait_alu 0xfffe
	v_mad_co_u64_u32 v[12:13], null, v18, s14, 0
	v_mad_co_u64_u32 v[16:17], null, v19, s14, 0
	s_delay_alu instid0(VALU_DEP_2) | instskip(SKIP_1) | instid1(VALU_DEP_3)
	v_add_co_u32 v12, vcc_lo, v24, v12
	s_wait_alu 0xfffd
	v_add_co_ci_u32_e64 v13, null, 0, v13, vcc_lo
	s_delay_alu instid0(VALU_DEP_2) | instskip(SKIP_1) | instid1(VALU_DEP_2)
	v_add_co_u32 v12, vcc_lo, v12, v14
	s_wait_alu 0xfffd
	v_add_co_ci_u32_e32 v12, vcc_lo, v13, v15, vcc_lo
	s_wait_alu 0xfffd
	v_add_co_ci_u32_e32 v13, vcc_lo, 0, v17, vcc_lo
	s_delay_alu instid0(VALU_DEP_2) | instskip(SKIP_1) | instid1(VALU_DEP_2)
	v_add_co_u32 v14, vcc_lo, v12, v16
	s_wait_alu 0xfffd
	v_add_co_ci_u32_e64 v15, null, 0, v13, vcc_lo
	s_delay_alu instid0(VALU_DEP_2) | instskip(SKIP_1) | instid1(VALU_DEP_3)
	v_mul_lo_u32 v16, s51, v14
	v_mad_co_u64_u32 v[12:13], null, s50, v14, 0
	v_mul_lo_u32 v17, s50, v15
	s_delay_alu instid0(VALU_DEP_2) | instskip(NEXT) | instid1(VALU_DEP_2)
	v_sub_co_u32 v12, vcc_lo, v18, v12
	v_add3_u32 v13, v13, v17, v16
	v_add_co_u32 v17, s0, v14, 2
	s_wait_alu 0xf1ff
	v_add_co_ci_u32_e64 v18, null, 0, v15, s0
	s_delay_alu instid0(VALU_DEP_3) | instskip(SKIP_3) | instid1(VALU_DEP_3)
	v_sub_nc_u32_e32 v16, v19, v13
	v_sub_co_u32 v24, s0, v12, s50
	s_wait_alu 0xfffd
	v_sub_co_ci_u32_e64 v13, null, v19, v13, vcc_lo
	v_subrev_co_ci_u32_e64 v16, null, s51, v16, vcc_lo
	s_delay_alu instid0(VALU_DEP_3) | instskip(SKIP_1) | instid1(VALU_DEP_2)
	v_cmp_le_u32_e32 vcc_lo, s50, v24
	s_wait_alu 0xf1ff
	v_subrev_co_ci_u32_e64 v16, null, 0, v16, s0
	s_wait_alu 0xfffd
	v_cndmask_b32_e64 v19, 0, -1, vcc_lo
	s_delay_alu instid0(VALU_DEP_2)
	v_cmp_le_u32_e32 vcc_lo, s51, v16
	s_wait_alu 0xfffd
	v_cndmask_b32_e64 v24, 0, -1, vcc_lo
	v_cmp_le_u32_e32 vcc_lo, s50, v12
	s_wait_alu 0xfffd
	v_cndmask_b32_e64 v12, 0, -1, vcc_lo
	;; [unrolled: 3-line block ×3, first 2 shown]
	v_cmp_eq_u32_e32 vcc_lo, s51, v16
	s_wait_alu 0xfffd
	v_cndmask_b32_e32 v16, v24, v19, vcc_lo
	v_add_co_u32 v19, vcc_lo, v14, 1
	s_wait_alu 0xfffd
	v_add_co_ci_u32_e64 v24, null, 0, v15, vcc_lo
	v_cmp_eq_u32_e32 vcc_lo, s51, v13
	s_wait_alu 0xfffd
	v_cndmask_b32_e32 v12, v25, v12, vcc_lo
	v_cmp_ne_u32_e32 vcc_lo, 0, v16
	s_wait_alu 0xfffd
	v_cndmask_b32_e32 v13, v24, v18, vcc_lo
	s_delay_alu instid0(VALU_DEP_3) | instskip(SKIP_2) | instid1(VALU_DEP_2)
	v_cmp_ne_u32_e64 s0, 0, v12
	v_cndmask_b32_e32 v12, v19, v17, vcc_lo
	s_wait_alu 0xf1ff
	v_cndmask_b32_e64 v13, v15, v13, s0
	s_delay_alu instid0(VALU_DEP_2) | instskip(NEXT) | instid1(VALU_DEP_2)
	v_cndmask_b32_e64 v12, v14, v12, s0
	v_xor_b32_e32 v13, v13, v3
	s_delay_alu instid0(VALU_DEP_2) | instskip(NEXT) | instid1(VALU_DEP_1)
	v_xor_b32_e32 v12, v12, v3
	v_sub_co_u32 v12, vcc_lo, v12, v3
	s_wait_alu 0xfffd
	s_delay_alu instid0(VALU_DEP_3)
	v_sub_co_ci_u32_e64 v13, null, v13, v3, vcc_lo
.LBB6_19:                               ;   in Loop: Header=BB6_17 Depth=2
	s_wait_alu 0xfffe
	s_and_not1_saveexec_b32 s0, s1
	s_cbranch_execz .LBB6_16
; %bb.20:                               ;   in Loop: Header=BB6_17 Depth=2
	v_cvt_f32_u32_e32 v3, s46
	s_sub_co_i32 s1, 0, s46
	s_delay_alu instid0(VALU_DEP_1) | instskip(NEXT) | instid1(TRANS32_DEP_1)
	v_rcp_iflag_f32_e32 v3, v3
	v_mul_f32_e32 v3, 0x4f7ffffe, v3
	s_delay_alu instid0(VALU_DEP_1) | instskip(SKIP_1) | instid1(VALU_DEP_1)
	v_cvt_u32_f32_e32 v3, v3
	s_wait_alu 0xfffe
	v_mul_lo_u32 v12, s1, v3
	s_delay_alu instid0(VALU_DEP_1) | instskip(NEXT) | instid1(VALU_DEP_1)
	v_mul_hi_u32 v12, v3, v12
	v_add_nc_u32_e32 v3, v3, v12
	s_delay_alu instid0(VALU_DEP_1) | instskip(NEXT) | instid1(VALU_DEP_1)
	v_mul_hi_u32 v3, v10, v3
	v_mul_lo_u32 v12, v3, s46
	v_add_nc_u32_e32 v13, 1, v3
	s_delay_alu instid0(VALU_DEP_2) | instskip(NEXT) | instid1(VALU_DEP_1)
	v_sub_nc_u32_e32 v12, v10, v12
	v_subrev_nc_u32_e32 v14, s46, v12
	v_cmp_le_u32_e32 vcc_lo, s46, v12
	s_wait_alu 0xfffd
	s_delay_alu instid0(VALU_DEP_2) | instskip(NEXT) | instid1(VALU_DEP_1)
	v_dual_cndmask_b32 v12, v12, v14 :: v_dual_cndmask_b32 v3, v3, v13
	v_cmp_le_u32_e32 vcc_lo, s46, v12
	s_delay_alu instid0(VALU_DEP_2) | instskip(SKIP_1) | instid1(VALU_DEP_1)
	v_add_nc_u32_e32 v13, 1, v3
	s_wait_alu 0xfffd
	v_dual_cndmask_b32 v12, v3, v13 :: v_dual_mov_b32 v13, v2
	s_branch .LBB6_16
.LBB6_21:                               ;   in Loop: Header=BB6_22 Depth=2
	s_wait_alu 0xfffe
	s_or_b32 exec_lo, exec_lo, s0
	v_mul_lo_u32 v3, v13, s44
	v_mul_lo_u32 v28, v12, s45
	v_mad_co_u64_u32 v[24:25], null, v12, s44, 0
	v_mul_lo_u32 v29, v15, s48
	v_mul_lo_u32 v30, v14, s49
	v_mad_co_u64_u32 v[26:27], null, v14, s48, 0
	s_load_b64 s[0:1], s[38:39], 0x0
	s_add_nc_u64 s[42:43], s[42:43], -4
	v_add3_u32 v3, v25, v28, v3
	v_sub_co_u32 v10, vcc_lo, v10, v24
	v_mul_lo_u32 v24, v17, s52
	v_add3_u32 v25, v27, v30, v29
	s_wait_alu 0xfffd
	v_sub_co_ci_u32_e64 v3, null, v11, v3, vcc_lo
	v_mul_lo_u32 v27, s47, v10
	v_mad_co_u64_u32 v[8:9], null, s46, v10, v[8:9]
	s_delay_alu instid0(VALU_DEP_3)
	v_mul_lo_u32 v3, s46, v3
	v_mul_lo_u32 v28, v16, s53
	v_mad_co_u64_u32 v[10:11], null, v16, s52, 0
	v_sub_co_u32 v12, vcc_lo, v12, v26
	s_wait_alu 0xfffd
	v_sub_co_ci_u32_e64 v13, null, v13, v25, vcc_lo
	v_add3_u32 v9, v27, v9, v3
	s_add_nc_u64 s[38:39], s[38:39], s[18:19]
	s_delay_alu instid0(VALU_DEP_4)
	v_add3_u32 v3, v11, v28, v24
	v_mul_lo_u32 v24, s51, v12
	v_mul_lo_u32 v13, s50, v13
	v_mad_co_u64_u32 v[8:9], null, s50, v12, v[8:9]
	v_sub_co_u32 v12, vcc_lo, v14, v10
	s_wait_alu 0xfffd
	v_sub_co_ci_u32_e64 v3, null, v15, v3, vcc_lo
	v_mul_lo_u32 v14, v19, s56
	v_mul_lo_u32 v15, v18, s57
	v_mad_co_u64_u32 v[10:11], null, v18, s56, 0
	v_add3_u32 v9, v24, v9, v13
	v_mul_lo_u32 v3, s54, v3
	s_cmp_eq_u64 s[42:43], 0
	s_add_nc_u64 s[40:41], s[40:41], s[18:19]
	s_delay_alu instid0(VALU_DEP_2) | instskip(SKIP_4) | instid1(VALU_DEP_2)
	v_mad_co_u64_u32 v[8:9], null, s54, v12, v[8:9]
	v_mul_lo_u32 v12, s55, v12
	v_add3_u32 v11, v11, v15, v14
	v_sub_co_u32 v10, vcc_lo, v16, v10
	s_wait_alu 0xfffd
	v_sub_co_ci_u32_e64 v11, null, v17, v11, vcc_lo
	s_delay_alu instid0(VALU_DEP_4) | instskip(SKIP_1) | instid1(VALU_DEP_2)
	v_add3_u32 v9, v12, v9, v3
	s_wait_kmcnt 0x0
	v_mul_lo_u32 v3, s0, v11
	v_mul_lo_u32 v11, s1, v10
	s_delay_alu instid0(VALU_DEP_3) | instskip(NEXT) | instid1(VALU_DEP_1)
	v_mad_co_u64_u32 v[8:9], null, s0, v10, v[8:9]
	v_add3_u32 v9, v11, v9, v3
	v_dual_mov_b32 v10, v18 :: v_dual_mov_b32 v11, v19
	s_cbranch_scc1 .LBB6_38
.LBB6_22:                               ;   Parent Loop BB6_3 Depth=1
                                        ; =>  This Inner Loop Header: Depth=2
	s_load_b64 s[44:45], s[40:41], 0x18
                                        ; implicit-def: $vgpr12_vgpr13
	s_mov_b32 s0, exec_lo
	s_wait_kmcnt 0x0
	v_or_b32_e32 v3, s45, v11
	s_delay_alu instid0(VALU_DEP_1)
	v_cmpx_ne_u64_e32 0, v[2:3]
	s_wait_alu 0xfffe
	s_xor_b32 s1, exec_lo, s0
	s_cbranch_execz .LBB6_24
; %bb.23:                               ;   in Loop: Header=BB6_22 Depth=2
	s_ashr_i32 s46, s45, 31
	v_ashrrev_i32_e32 v3, 31, v11
	s_wait_alu 0xfffe
	s_mov_b32 s47, s46
	s_wait_alu 0xfffe
	s_add_nc_u64 s[48:49], s[44:45], s[46:47]
	v_add_co_u32 v12, vcc_lo, v10, v3
	s_wait_alu 0xfffe
	s_xor_b64 s[48:49], s[48:49], s[46:47]
	s_wait_alu 0xfffd
	v_add_co_ci_u32_e64 v13, null, v11, v3, vcc_lo
	s_wait_alu 0xfffe
	s_cvt_f32_u32 s0, s48
	s_cvt_f32_u32 s14, s49
	s_sub_nc_u64 s[52:53], 0, s[48:49]
	v_xor_b32_e32 v18, v12, v3
	v_xor_b32_e32 v19, v13, v3
	s_wait_alu 0xfffe
	s_fmamk_f32 s0, s14, 0x4f800000, s0
	v_xor_b32_e32 v3, s46, v3
	s_wait_alu 0xfffe
	s_delay_alu instid0(SALU_CYCLE_1) | instskip(NEXT) | instid1(TRANS32_DEP_1)
	v_s_rcp_f32 s0, s0
	s_mul_f32 s0, s0, 0x5f7ffffc
	s_wait_alu 0xfffe
	s_delay_alu instid0(SALU_CYCLE_2) | instskip(SKIP_1) | instid1(SALU_CYCLE_2)
	s_mul_f32 s14, s0, 0x2f800000
	s_wait_alu 0xfffe
	s_trunc_f32 s14, s14
	s_wait_alu 0xfffe
	s_delay_alu instid0(SALU_CYCLE_2) | instskip(SKIP_2) | instid1(SALU_CYCLE_1)
	s_fmamk_f32 s0, s14, 0xcf800000, s0
	s_cvt_u32_f32 s51, s14
	s_wait_alu 0xfffe
	s_cvt_u32_f32 s50, s0
	s_wait_alu 0xfffe
	s_delay_alu instid0(SALU_CYCLE_2)
	s_mul_u64 s[54:55], s[52:53], s[50:51]
	s_wait_alu 0xfffe
	s_mul_hi_u32 s57, s50, s55
	s_mul_i32 s56, s50, s55
	s_mul_hi_u32 s14, s50, s54
	s_mul_i32 s47, s51, s54
	s_wait_alu 0xfffe
	s_add_nc_u64 s[56:57], s[14:15], s[56:57]
	s_mul_hi_u32 s0, s51, s54
	s_mul_hi_u32 s58, s51, s55
	s_wait_alu 0xfffe
	s_add_co_u32 s14, s56, s47
	s_add_co_ci_u32 s14, s57, s0
	s_mul_i32 s54, s51, s55
	s_add_co_ci_u32 s55, s58, 0
	s_wait_alu 0xfffe
	s_add_nc_u64 s[54:55], s[14:15], s[54:55]
	s_wait_alu 0xfffe
	s_add_co_u32 s50, s50, s54
	s_cselect_b32 s0, -1, 0
	s_wait_alu 0xfffe
	s_cmp_lg_u32 s0, 0
	s_add_co_ci_u32 s51, s51, s55
	s_wait_alu 0xfffe
	s_mul_u64 s[52:53], s[52:53], s[50:51]
	s_wait_alu 0xfffe
	s_mul_hi_u32 s55, s50, s53
	s_mul_i32 s54, s50, s53
	s_mul_hi_u32 s14, s50, s52
	s_mul_i32 s47, s51, s52
	s_wait_alu 0xfffe
	s_add_nc_u64 s[54:55], s[14:15], s[54:55]
	s_mul_hi_u32 s0, s51, s52
	s_mul_hi_u32 s56, s51, s53
	s_wait_alu 0xfffe
	s_add_co_u32 s14, s54, s47
	s_add_co_ci_u32 s14, s55, s0
	s_mul_i32 s52, s51, s53
	s_add_co_ci_u32 s53, s56, 0
	s_wait_alu 0xfffe
	s_add_nc_u64 s[52:53], s[14:15], s[52:53]
	s_wait_alu 0xfffe
	s_add_co_u32 s0, s50, s52
	s_cselect_b32 s14, -1, 0
	s_wait_alu 0xfffe
	v_mul_hi_u32 v24, v18, s0
	s_cmp_lg_u32 s14, 0
	v_mad_co_u64_u32 v[14:15], null, v19, s0, 0
	s_add_co_ci_u32 s14, s51, s53
	s_wait_alu 0xfffe
	v_mad_co_u64_u32 v[12:13], null, v18, s14, 0
	v_mad_co_u64_u32 v[16:17], null, v19, s14, 0
	s_delay_alu instid0(VALU_DEP_2) | instskip(SKIP_1) | instid1(VALU_DEP_3)
	v_add_co_u32 v12, vcc_lo, v24, v12
	s_wait_alu 0xfffd
	v_add_co_ci_u32_e64 v13, null, 0, v13, vcc_lo
	s_delay_alu instid0(VALU_DEP_2) | instskip(SKIP_1) | instid1(VALU_DEP_2)
	v_add_co_u32 v12, vcc_lo, v12, v14
	s_wait_alu 0xfffd
	v_add_co_ci_u32_e32 v12, vcc_lo, v13, v15, vcc_lo
	s_wait_alu 0xfffd
	v_add_co_ci_u32_e32 v13, vcc_lo, 0, v17, vcc_lo
	s_delay_alu instid0(VALU_DEP_2) | instskip(SKIP_1) | instid1(VALU_DEP_2)
	v_add_co_u32 v14, vcc_lo, v12, v16
	s_wait_alu 0xfffd
	v_add_co_ci_u32_e64 v15, null, 0, v13, vcc_lo
	s_delay_alu instid0(VALU_DEP_2) | instskip(SKIP_1) | instid1(VALU_DEP_3)
	v_mul_lo_u32 v16, s49, v14
	v_mad_co_u64_u32 v[12:13], null, s48, v14, 0
	v_mul_lo_u32 v17, s48, v15
	s_delay_alu instid0(VALU_DEP_2) | instskip(NEXT) | instid1(VALU_DEP_2)
	v_sub_co_u32 v12, vcc_lo, v18, v12
	v_add3_u32 v13, v13, v17, v16
	v_add_co_u32 v17, s0, v14, 2
	s_wait_alu 0xf1ff
	v_add_co_ci_u32_e64 v18, null, 0, v15, s0
	s_delay_alu instid0(VALU_DEP_3) | instskip(SKIP_3) | instid1(VALU_DEP_3)
	v_sub_nc_u32_e32 v16, v19, v13
	v_sub_co_u32 v24, s0, v12, s48
	s_wait_alu 0xfffd
	v_sub_co_ci_u32_e64 v13, null, v19, v13, vcc_lo
	v_subrev_co_ci_u32_e64 v16, null, s49, v16, vcc_lo
	s_delay_alu instid0(VALU_DEP_3) | instskip(SKIP_1) | instid1(VALU_DEP_2)
	v_cmp_le_u32_e32 vcc_lo, s48, v24
	s_wait_alu 0xf1ff
	v_subrev_co_ci_u32_e64 v16, null, 0, v16, s0
	s_wait_alu 0xfffd
	v_cndmask_b32_e64 v19, 0, -1, vcc_lo
	s_delay_alu instid0(VALU_DEP_2)
	v_cmp_le_u32_e32 vcc_lo, s49, v16
	s_wait_alu 0xfffd
	v_cndmask_b32_e64 v24, 0, -1, vcc_lo
	v_cmp_le_u32_e32 vcc_lo, s48, v12
	s_wait_alu 0xfffd
	v_cndmask_b32_e64 v12, 0, -1, vcc_lo
	;; [unrolled: 3-line block ×3, first 2 shown]
	v_cmp_eq_u32_e32 vcc_lo, s49, v16
	s_wait_alu 0xfffd
	v_cndmask_b32_e32 v16, v24, v19, vcc_lo
	v_add_co_u32 v19, vcc_lo, v14, 1
	s_wait_alu 0xfffd
	v_add_co_ci_u32_e64 v24, null, 0, v15, vcc_lo
	v_cmp_eq_u32_e32 vcc_lo, s49, v13
	s_wait_alu 0xfffd
	v_cndmask_b32_e32 v12, v25, v12, vcc_lo
	v_cmp_ne_u32_e32 vcc_lo, 0, v16
	s_wait_alu 0xfffd
	v_cndmask_b32_e32 v13, v24, v18, vcc_lo
	s_delay_alu instid0(VALU_DEP_3) | instskip(SKIP_2) | instid1(VALU_DEP_2)
	v_cmp_ne_u32_e64 s0, 0, v12
	v_cndmask_b32_e32 v12, v19, v17, vcc_lo
	s_wait_alu 0xf1ff
	v_cndmask_b32_e64 v13, v15, v13, s0
	s_delay_alu instid0(VALU_DEP_2) | instskip(NEXT) | instid1(VALU_DEP_2)
	v_cndmask_b32_e64 v12, v14, v12, s0
	v_xor_b32_e32 v13, v13, v3
	s_delay_alu instid0(VALU_DEP_2) | instskip(NEXT) | instid1(VALU_DEP_1)
	v_xor_b32_e32 v12, v12, v3
	v_sub_co_u32 v12, vcc_lo, v12, v3
	s_wait_alu 0xfffd
	s_delay_alu instid0(VALU_DEP_3)
	v_sub_co_ci_u32_e64 v13, null, v13, v3, vcc_lo
.LBB6_24:                               ;   in Loop: Header=BB6_22 Depth=2
	s_wait_alu 0xfffe
	s_and_not1_saveexec_b32 s0, s1
	s_cbranch_execz .LBB6_26
; %bb.25:                               ;   in Loop: Header=BB6_22 Depth=2
	v_cvt_f32_u32_e32 v3, s44
	s_sub_co_i32 s1, 0, s44
	s_delay_alu instid0(VALU_DEP_1) | instskip(NEXT) | instid1(TRANS32_DEP_1)
	v_rcp_iflag_f32_e32 v3, v3
	v_mul_f32_e32 v3, 0x4f7ffffe, v3
	s_delay_alu instid0(VALU_DEP_1) | instskip(SKIP_1) | instid1(VALU_DEP_1)
	v_cvt_u32_f32_e32 v3, v3
	s_wait_alu 0xfffe
	v_mul_lo_u32 v12, s1, v3
	s_delay_alu instid0(VALU_DEP_1) | instskip(NEXT) | instid1(VALU_DEP_1)
	v_mul_hi_u32 v12, v3, v12
	v_add_nc_u32_e32 v3, v3, v12
	s_delay_alu instid0(VALU_DEP_1) | instskip(NEXT) | instid1(VALU_DEP_1)
	v_mul_hi_u32 v3, v10, v3
	v_mul_lo_u32 v12, v3, s44
	v_add_nc_u32_e32 v13, 1, v3
	s_delay_alu instid0(VALU_DEP_2) | instskip(NEXT) | instid1(VALU_DEP_1)
	v_sub_nc_u32_e32 v12, v10, v12
	v_subrev_nc_u32_e32 v14, s44, v12
	v_cmp_le_u32_e32 vcc_lo, s44, v12
	s_wait_alu 0xfffd
	s_delay_alu instid0(VALU_DEP_2) | instskip(NEXT) | instid1(VALU_DEP_1)
	v_dual_cndmask_b32 v12, v12, v14 :: v_dual_cndmask_b32 v3, v3, v13
	v_cmp_le_u32_e32 vcc_lo, s44, v12
	s_delay_alu instid0(VALU_DEP_2) | instskip(SKIP_1) | instid1(VALU_DEP_1)
	v_add_nc_u32_e32 v13, 1, v3
	s_wait_alu 0xfffd
	v_dual_cndmask_b32 v12, v3, v13 :: v_dual_mov_b32 v13, v2
.LBB6_26:                               ;   in Loop: Header=BB6_22 Depth=2
	s_wait_alu 0xfffe
	s_or_b32 exec_lo, exec_lo, s0
	s_load_b64 s[48:49], s[40:41], 0x10
	s_load_b64 s[46:47], s[38:39], 0x18
                                        ; implicit-def: $vgpr14_vgpr15
	s_mov_b32 s0, exec_lo
	s_wait_kmcnt 0x0
	v_or_b32_e32 v3, s49, v13
	s_delay_alu instid0(VALU_DEP_1)
	v_cmpx_ne_u64_e32 0, v[2:3]
	s_wait_alu 0xfffe
	s_xor_b32 s1, exec_lo, s0
	s_cbranch_execz .LBB6_28
; %bb.27:                               ;   in Loop: Header=BB6_22 Depth=2
	s_ashr_i32 s50, s49, 31
	v_ashrrev_i32_e32 v3, 31, v13
	s_wait_alu 0xfffe
	s_mov_b32 s51, s50
	s_wait_alu 0xfffe
	s_add_nc_u64 s[52:53], s[48:49], s[50:51]
	v_add_co_u32 v14, vcc_lo, v12, v3
	s_wait_alu 0xfffe
	s_xor_b64 s[52:53], s[52:53], s[50:51]
	s_wait_alu 0xfffd
	v_add_co_ci_u32_e64 v15, null, v13, v3, vcc_lo
	s_wait_alu 0xfffe
	s_cvt_f32_u32 s0, s52
	s_cvt_f32_u32 s14, s53
	s_sub_nc_u64 s[56:57], 0, s[52:53]
	v_xor_b32_e32 v24, v14, v3
	v_xor_b32_e32 v25, v15, v3
	s_wait_alu 0xfffe
	s_fmamk_f32 s0, s14, 0x4f800000, s0
	v_xor_b32_e32 v3, s50, v3
	s_wait_alu 0xfffe
	s_delay_alu instid0(SALU_CYCLE_1) | instskip(NEXT) | instid1(TRANS32_DEP_1)
	v_s_rcp_f32 s0, s0
	s_mul_f32 s0, s0, 0x5f7ffffc
	s_wait_alu 0xfffe
	s_delay_alu instid0(SALU_CYCLE_2) | instskip(SKIP_1) | instid1(SALU_CYCLE_2)
	s_mul_f32 s14, s0, 0x2f800000
	s_wait_alu 0xfffe
	s_trunc_f32 s14, s14
	s_wait_alu 0xfffe
	s_delay_alu instid0(SALU_CYCLE_2) | instskip(SKIP_2) | instid1(SALU_CYCLE_1)
	s_fmamk_f32 s0, s14, 0xcf800000, s0
	s_cvt_u32_f32 s55, s14
	s_wait_alu 0xfffe
	s_cvt_u32_f32 s54, s0
	s_wait_alu 0xfffe
	s_delay_alu instid0(SALU_CYCLE_2)
	s_mul_u64 s[58:59], s[56:57], s[54:55]
	s_wait_alu 0xfffe
	s_mul_hi_u32 s61, s54, s59
	s_mul_i32 s60, s54, s59
	s_mul_hi_u32 s14, s54, s58
	s_mul_i32 s51, s55, s58
	s_wait_alu 0xfffe
	s_add_nc_u64 s[60:61], s[14:15], s[60:61]
	s_mul_hi_u32 s0, s55, s58
	s_mul_hi_u32 s66, s55, s59
	s_wait_alu 0xfffe
	s_add_co_u32 s14, s60, s51
	s_add_co_ci_u32 s14, s61, s0
	s_mul_i32 s58, s55, s59
	s_add_co_ci_u32 s59, s66, 0
	s_wait_alu 0xfffe
	s_add_nc_u64 s[58:59], s[14:15], s[58:59]
	s_wait_alu 0xfffe
	s_add_co_u32 s54, s54, s58
	s_cselect_b32 s0, -1, 0
	s_wait_alu 0xfffe
	s_cmp_lg_u32 s0, 0
	s_add_co_ci_u32 s55, s55, s59
	s_wait_alu 0xfffe
	s_mul_u64 s[56:57], s[56:57], s[54:55]
	s_wait_alu 0xfffe
	s_mul_hi_u32 s59, s54, s57
	s_mul_i32 s58, s54, s57
	s_mul_hi_u32 s14, s54, s56
	s_mul_i32 s51, s55, s56
	s_wait_alu 0xfffe
	s_add_nc_u64 s[58:59], s[14:15], s[58:59]
	s_mul_hi_u32 s0, s55, s56
	s_mul_hi_u32 s60, s55, s57
	s_wait_alu 0xfffe
	s_add_co_u32 s14, s58, s51
	s_add_co_ci_u32 s14, s59, s0
	s_mul_i32 s56, s55, s57
	s_add_co_ci_u32 s57, s60, 0
	s_wait_alu 0xfffe
	s_add_nc_u64 s[56:57], s[14:15], s[56:57]
	s_wait_alu 0xfffe
	s_add_co_u32 s0, s54, s56
	s_cselect_b32 s14, -1, 0
	s_wait_alu 0xfffe
	v_mul_hi_u32 v26, v24, s0
	s_cmp_lg_u32 s14, 0
	v_mad_co_u64_u32 v[16:17], null, v25, s0, 0
	s_add_co_ci_u32 s14, s55, s57
	s_wait_alu 0xfffe
	v_mad_co_u64_u32 v[14:15], null, v24, s14, 0
	v_mad_co_u64_u32 v[18:19], null, v25, s14, 0
	s_delay_alu instid0(VALU_DEP_2) | instskip(SKIP_1) | instid1(VALU_DEP_3)
	v_add_co_u32 v14, vcc_lo, v26, v14
	s_wait_alu 0xfffd
	v_add_co_ci_u32_e64 v15, null, 0, v15, vcc_lo
	s_delay_alu instid0(VALU_DEP_2) | instskip(SKIP_1) | instid1(VALU_DEP_2)
	v_add_co_u32 v14, vcc_lo, v14, v16
	s_wait_alu 0xfffd
	v_add_co_ci_u32_e32 v14, vcc_lo, v15, v17, vcc_lo
	s_wait_alu 0xfffd
	v_add_co_ci_u32_e32 v15, vcc_lo, 0, v19, vcc_lo
	s_delay_alu instid0(VALU_DEP_2) | instskip(SKIP_1) | instid1(VALU_DEP_2)
	v_add_co_u32 v16, vcc_lo, v14, v18
	s_wait_alu 0xfffd
	v_add_co_ci_u32_e64 v17, null, 0, v15, vcc_lo
	s_delay_alu instid0(VALU_DEP_2) | instskip(SKIP_1) | instid1(VALU_DEP_3)
	v_mul_lo_u32 v18, s53, v16
	v_mad_co_u64_u32 v[14:15], null, s52, v16, 0
	v_mul_lo_u32 v19, s52, v17
	s_delay_alu instid0(VALU_DEP_2) | instskip(NEXT) | instid1(VALU_DEP_2)
	v_sub_co_u32 v14, vcc_lo, v24, v14
	v_add3_u32 v15, v15, v19, v18
	v_add_co_u32 v19, s0, v16, 2
	s_wait_alu 0xf1ff
	v_add_co_ci_u32_e64 v24, null, 0, v17, s0
	s_delay_alu instid0(VALU_DEP_3) | instskip(SKIP_3) | instid1(VALU_DEP_3)
	v_sub_nc_u32_e32 v18, v25, v15
	v_sub_co_u32 v26, s0, v14, s52
	s_wait_alu 0xfffd
	v_sub_co_ci_u32_e64 v15, null, v25, v15, vcc_lo
	v_subrev_co_ci_u32_e64 v18, null, s53, v18, vcc_lo
	s_delay_alu instid0(VALU_DEP_3) | instskip(SKIP_1) | instid1(VALU_DEP_2)
	v_cmp_le_u32_e32 vcc_lo, s52, v26
	s_wait_alu 0xf1ff
	v_subrev_co_ci_u32_e64 v18, null, 0, v18, s0
	s_wait_alu 0xfffd
	v_cndmask_b32_e64 v25, 0, -1, vcc_lo
	s_delay_alu instid0(VALU_DEP_2)
	v_cmp_le_u32_e32 vcc_lo, s53, v18
	s_wait_alu 0xfffd
	v_cndmask_b32_e64 v26, 0, -1, vcc_lo
	v_cmp_le_u32_e32 vcc_lo, s52, v14
	s_wait_alu 0xfffd
	v_cndmask_b32_e64 v14, 0, -1, vcc_lo
	;; [unrolled: 3-line block ×3, first 2 shown]
	v_cmp_eq_u32_e32 vcc_lo, s53, v18
	s_wait_alu 0xfffd
	v_cndmask_b32_e32 v18, v26, v25, vcc_lo
	v_add_co_u32 v25, vcc_lo, v16, 1
	s_wait_alu 0xfffd
	v_add_co_ci_u32_e64 v26, null, 0, v17, vcc_lo
	v_cmp_eq_u32_e32 vcc_lo, s53, v15
	s_wait_alu 0xfffd
	v_cndmask_b32_e32 v14, v27, v14, vcc_lo
	v_cmp_ne_u32_e32 vcc_lo, 0, v18
	s_wait_alu 0xfffd
	v_cndmask_b32_e32 v15, v26, v24, vcc_lo
	s_delay_alu instid0(VALU_DEP_3) | instskip(SKIP_2) | instid1(VALU_DEP_2)
	v_cmp_ne_u32_e64 s0, 0, v14
	v_cndmask_b32_e32 v14, v25, v19, vcc_lo
	s_wait_alu 0xf1ff
	v_cndmask_b32_e64 v15, v17, v15, s0
	s_delay_alu instid0(VALU_DEP_2) | instskip(NEXT) | instid1(VALU_DEP_2)
	v_cndmask_b32_e64 v14, v16, v14, s0
	v_xor_b32_e32 v15, v15, v3
	s_delay_alu instid0(VALU_DEP_2) | instskip(NEXT) | instid1(VALU_DEP_1)
	v_xor_b32_e32 v14, v14, v3
	v_sub_co_u32 v14, vcc_lo, v14, v3
	s_wait_alu 0xfffd
	s_delay_alu instid0(VALU_DEP_3)
	v_sub_co_ci_u32_e64 v15, null, v15, v3, vcc_lo
.LBB6_28:                               ;   in Loop: Header=BB6_22 Depth=2
	s_wait_alu 0xfffe
	s_and_not1_saveexec_b32 s0, s1
	s_cbranch_execz .LBB6_30
; %bb.29:                               ;   in Loop: Header=BB6_22 Depth=2
	v_cvt_f32_u32_e32 v3, s48
	s_sub_co_i32 s1, 0, s48
	s_delay_alu instid0(VALU_DEP_1) | instskip(NEXT) | instid1(TRANS32_DEP_1)
	v_rcp_iflag_f32_e32 v3, v3
	v_mul_f32_e32 v3, 0x4f7ffffe, v3
	s_delay_alu instid0(VALU_DEP_1) | instskip(SKIP_1) | instid1(VALU_DEP_1)
	v_cvt_u32_f32_e32 v3, v3
	s_wait_alu 0xfffe
	v_mul_lo_u32 v14, s1, v3
	s_delay_alu instid0(VALU_DEP_1) | instskip(NEXT) | instid1(VALU_DEP_1)
	v_mul_hi_u32 v14, v3, v14
	v_add_nc_u32_e32 v3, v3, v14
	s_delay_alu instid0(VALU_DEP_1) | instskip(NEXT) | instid1(VALU_DEP_1)
	v_mul_hi_u32 v3, v12, v3
	v_mul_lo_u32 v14, v3, s48
	v_add_nc_u32_e32 v15, 1, v3
	s_delay_alu instid0(VALU_DEP_2) | instskip(NEXT) | instid1(VALU_DEP_1)
	v_sub_nc_u32_e32 v14, v12, v14
	v_subrev_nc_u32_e32 v16, s48, v14
	v_cmp_le_u32_e32 vcc_lo, s48, v14
	s_wait_alu 0xfffd
	s_delay_alu instid0(VALU_DEP_2) | instskip(NEXT) | instid1(VALU_DEP_1)
	v_dual_cndmask_b32 v14, v14, v16 :: v_dual_cndmask_b32 v3, v3, v15
	v_cmp_le_u32_e32 vcc_lo, s48, v14
	s_delay_alu instid0(VALU_DEP_2) | instskip(SKIP_1) | instid1(VALU_DEP_1)
	v_add_nc_u32_e32 v15, 1, v3
	s_wait_alu 0xfffd
	v_dual_cndmask_b32 v14, v3, v15 :: v_dual_mov_b32 v15, v2
.LBB6_30:                               ;   in Loop: Header=BB6_22 Depth=2
	s_wait_alu 0xfffe
	s_or_b32 exec_lo, exec_lo, s0
	s_load_b64 s[52:53], s[40:41], 0x8
	s_load_b64 s[50:51], s[38:39], 0x10
                                        ; implicit-def: $vgpr16_vgpr17
	s_mov_b32 s0, exec_lo
	s_wait_kmcnt 0x0
	v_or_b32_e32 v3, s53, v15
	s_delay_alu instid0(VALU_DEP_1)
	v_cmpx_ne_u64_e32 0, v[2:3]
	s_wait_alu 0xfffe
	s_xor_b32 s1, exec_lo, s0
	s_cbranch_execz .LBB6_32
; %bb.31:                               ;   in Loop: Header=BB6_22 Depth=2
	s_ashr_i32 s54, s53, 31
	v_ashrrev_i32_e32 v3, 31, v15
	s_wait_alu 0xfffe
	s_mov_b32 s55, s54
	s_wait_alu 0xfffe
	s_add_nc_u64 s[56:57], s[52:53], s[54:55]
	v_add_co_u32 v16, vcc_lo, v14, v3
	s_wait_alu 0xfffe
	s_xor_b64 s[56:57], s[56:57], s[54:55]
	s_wait_alu 0xfffd
	v_add_co_ci_u32_e64 v17, null, v15, v3, vcc_lo
	s_wait_alu 0xfffe
	s_cvt_f32_u32 s0, s56
	s_cvt_f32_u32 s14, s57
	s_sub_nc_u64 s[60:61], 0, s[56:57]
	v_xor_b32_e32 v26, v16, v3
	v_xor_b32_e32 v27, v17, v3
	s_wait_alu 0xfffe
	s_fmamk_f32 s0, s14, 0x4f800000, s0
	v_xor_b32_e32 v3, s54, v3
	s_wait_alu 0xfffe
	s_delay_alu instid0(SALU_CYCLE_1) | instskip(NEXT) | instid1(TRANS32_DEP_1)
	v_s_rcp_f32 s0, s0
	s_mul_f32 s0, s0, 0x5f7ffffc
	s_wait_alu 0xfffe
	s_delay_alu instid0(SALU_CYCLE_2) | instskip(SKIP_1) | instid1(SALU_CYCLE_2)
	s_mul_f32 s14, s0, 0x2f800000
	s_wait_alu 0xfffe
	s_trunc_f32 s14, s14
	s_wait_alu 0xfffe
	s_delay_alu instid0(SALU_CYCLE_2) | instskip(SKIP_2) | instid1(SALU_CYCLE_1)
	s_fmamk_f32 s0, s14, 0xcf800000, s0
	s_cvt_u32_f32 s59, s14
	s_wait_alu 0xfffe
	s_cvt_u32_f32 s58, s0
	s_wait_alu 0xfffe
	s_delay_alu instid0(SALU_CYCLE_2) | instskip(NEXT) | instid1(SALU_CYCLE_1)
	s_mul_u64 s[66:67], s[60:61], s[58:59]
	s_mul_hi_u32 s69, s58, s67
	s_mul_i32 s68, s58, s67
	s_mul_hi_u32 s14, s58, s66
	s_mul_i32 s55, s59, s66
	s_wait_alu 0xfffe
	s_add_nc_u64 s[68:69], s[14:15], s[68:69]
	s_mul_hi_u32 s0, s59, s66
	s_mul_hi_u32 s70, s59, s67
	s_add_co_u32 s14, s68, s55
	s_wait_alu 0xfffe
	s_add_co_ci_u32 s14, s69, s0
	s_mul_i32 s66, s59, s67
	s_add_co_ci_u32 s67, s70, 0
	s_wait_alu 0xfffe
	s_add_nc_u64 s[66:67], s[14:15], s[66:67]
	s_delay_alu instid0(SALU_CYCLE_1)
	s_add_co_u32 s58, s58, s66
	s_cselect_b32 s0, -1, 0
	s_wait_alu 0xfffe
	s_cmp_lg_u32 s0, 0
	s_add_co_ci_u32 s59, s59, s67
	s_wait_alu 0xfffe
	s_mul_u64 s[60:61], s[60:61], s[58:59]
	s_wait_alu 0xfffe
	s_mul_hi_u32 s67, s58, s61
	s_mul_i32 s66, s58, s61
	s_mul_hi_u32 s14, s58, s60
	s_mul_i32 s55, s59, s60
	s_wait_alu 0xfffe
	s_add_nc_u64 s[66:67], s[14:15], s[66:67]
	s_mul_hi_u32 s0, s59, s60
	s_mul_hi_u32 s68, s59, s61
	s_add_co_u32 s14, s66, s55
	s_wait_alu 0xfffe
	s_add_co_ci_u32 s14, s67, s0
	s_mul_i32 s60, s59, s61
	s_add_co_ci_u32 s61, s68, 0
	s_wait_alu 0xfffe
	s_add_nc_u64 s[60:61], s[14:15], s[60:61]
	s_wait_alu 0xfffe
	s_add_co_u32 s0, s58, s60
	s_cselect_b32 s14, -1, 0
	s_wait_alu 0xfffe
	v_mul_hi_u32 v28, v26, s0
	s_cmp_lg_u32 s14, 0
	v_mad_co_u64_u32 v[18:19], null, v27, s0, 0
	s_add_co_ci_u32 s14, s59, s61
	s_wait_alu 0xfffe
	v_mad_co_u64_u32 v[16:17], null, v26, s14, 0
	v_mad_co_u64_u32 v[24:25], null, v27, s14, 0
	s_delay_alu instid0(VALU_DEP_2) | instskip(SKIP_1) | instid1(VALU_DEP_3)
	v_add_co_u32 v16, vcc_lo, v28, v16
	s_wait_alu 0xfffd
	v_add_co_ci_u32_e64 v17, null, 0, v17, vcc_lo
	s_delay_alu instid0(VALU_DEP_2) | instskip(SKIP_1) | instid1(VALU_DEP_2)
	v_add_co_u32 v16, vcc_lo, v16, v18
	s_wait_alu 0xfffd
	v_add_co_ci_u32_e32 v16, vcc_lo, v17, v19, vcc_lo
	s_wait_alu 0xfffd
	v_add_co_ci_u32_e32 v17, vcc_lo, 0, v25, vcc_lo
	s_delay_alu instid0(VALU_DEP_2) | instskip(SKIP_1) | instid1(VALU_DEP_2)
	v_add_co_u32 v18, vcc_lo, v16, v24
	s_wait_alu 0xfffd
	v_add_co_ci_u32_e64 v19, null, 0, v17, vcc_lo
	s_delay_alu instid0(VALU_DEP_2) | instskip(SKIP_1) | instid1(VALU_DEP_3)
	v_mul_lo_u32 v24, s57, v18
	v_mad_co_u64_u32 v[16:17], null, s56, v18, 0
	v_mul_lo_u32 v25, s56, v19
	s_delay_alu instid0(VALU_DEP_2) | instskip(NEXT) | instid1(VALU_DEP_2)
	v_sub_co_u32 v16, vcc_lo, v26, v16
	v_add3_u32 v17, v17, v25, v24
	v_add_co_u32 v25, s0, v18, 2
	s_wait_alu 0xf1ff
	v_add_co_ci_u32_e64 v26, null, 0, v19, s0
	s_delay_alu instid0(VALU_DEP_3) | instskip(SKIP_3) | instid1(VALU_DEP_3)
	v_sub_nc_u32_e32 v24, v27, v17
	v_sub_co_u32 v28, s0, v16, s56
	s_wait_alu 0xfffd
	v_sub_co_ci_u32_e64 v17, null, v27, v17, vcc_lo
	v_subrev_co_ci_u32_e64 v24, null, s57, v24, vcc_lo
	s_delay_alu instid0(VALU_DEP_3) | instskip(SKIP_1) | instid1(VALU_DEP_2)
	v_cmp_le_u32_e32 vcc_lo, s56, v28
	s_wait_alu 0xf1ff
	v_subrev_co_ci_u32_e64 v24, null, 0, v24, s0
	s_wait_alu 0xfffd
	v_cndmask_b32_e64 v27, 0, -1, vcc_lo
	s_delay_alu instid0(VALU_DEP_2)
	v_cmp_le_u32_e32 vcc_lo, s57, v24
	s_wait_alu 0xfffd
	v_cndmask_b32_e64 v28, 0, -1, vcc_lo
	v_cmp_le_u32_e32 vcc_lo, s56, v16
	s_wait_alu 0xfffd
	v_cndmask_b32_e64 v16, 0, -1, vcc_lo
	;; [unrolled: 3-line block ×3, first 2 shown]
	v_cmp_eq_u32_e32 vcc_lo, s57, v24
	s_wait_alu 0xfffd
	v_cndmask_b32_e32 v24, v28, v27, vcc_lo
	v_add_co_u32 v27, vcc_lo, v18, 1
	s_wait_alu 0xfffd
	v_add_co_ci_u32_e64 v28, null, 0, v19, vcc_lo
	v_cmp_eq_u32_e32 vcc_lo, s57, v17
	s_wait_alu 0xfffd
	v_cndmask_b32_e32 v16, v29, v16, vcc_lo
	v_cmp_ne_u32_e32 vcc_lo, 0, v24
	s_wait_alu 0xfffd
	v_cndmask_b32_e32 v17, v28, v26, vcc_lo
	s_delay_alu instid0(VALU_DEP_3) | instskip(SKIP_2) | instid1(VALU_DEP_2)
	v_cmp_ne_u32_e64 s0, 0, v16
	v_cndmask_b32_e32 v16, v27, v25, vcc_lo
	s_wait_alu 0xf1ff
	v_cndmask_b32_e64 v17, v19, v17, s0
	s_delay_alu instid0(VALU_DEP_2) | instskip(NEXT) | instid1(VALU_DEP_2)
	v_cndmask_b32_e64 v16, v18, v16, s0
	v_xor_b32_e32 v17, v17, v3
	s_delay_alu instid0(VALU_DEP_2) | instskip(NEXT) | instid1(VALU_DEP_1)
	v_xor_b32_e32 v16, v16, v3
	v_sub_co_u32 v16, vcc_lo, v16, v3
	s_wait_alu 0xfffd
	s_delay_alu instid0(VALU_DEP_3)
	v_sub_co_ci_u32_e64 v17, null, v17, v3, vcc_lo
.LBB6_32:                               ;   in Loop: Header=BB6_22 Depth=2
	s_wait_alu 0xfffe
	s_and_not1_saveexec_b32 s0, s1
	s_cbranch_execz .LBB6_34
; %bb.33:                               ;   in Loop: Header=BB6_22 Depth=2
	v_cvt_f32_u32_e32 v3, s52
	s_sub_co_i32 s1, 0, s52
	s_delay_alu instid0(VALU_DEP_1) | instskip(NEXT) | instid1(TRANS32_DEP_1)
	v_rcp_iflag_f32_e32 v3, v3
	v_mul_f32_e32 v3, 0x4f7ffffe, v3
	s_delay_alu instid0(VALU_DEP_1) | instskip(SKIP_1) | instid1(VALU_DEP_1)
	v_cvt_u32_f32_e32 v3, v3
	s_wait_alu 0xfffe
	v_mul_lo_u32 v16, s1, v3
	s_delay_alu instid0(VALU_DEP_1) | instskip(NEXT) | instid1(VALU_DEP_1)
	v_mul_hi_u32 v16, v3, v16
	v_add_nc_u32_e32 v3, v3, v16
	s_delay_alu instid0(VALU_DEP_1) | instskip(NEXT) | instid1(VALU_DEP_1)
	v_mul_hi_u32 v3, v14, v3
	v_mul_lo_u32 v16, v3, s52
	v_add_nc_u32_e32 v17, 1, v3
	s_delay_alu instid0(VALU_DEP_2) | instskip(NEXT) | instid1(VALU_DEP_1)
	v_sub_nc_u32_e32 v16, v14, v16
	v_subrev_nc_u32_e32 v18, s52, v16
	v_cmp_le_u32_e32 vcc_lo, s52, v16
	s_wait_alu 0xfffd
	s_delay_alu instid0(VALU_DEP_2) | instskip(NEXT) | instid1(VALU_DEP_1)
	v_dual_cndmask_b32 v16, v16, v18 :: v_dual_cndmask_b32 v3, v3, v17
	v_cmp_le_u32_e32 vcc_lo, s52, v16
	s_delay_alu instid0(VALU_DEP_2) | instskip(SKIP_1) | instid1(VALU_DEP_1)
	v_add_nc_u32_e32 v17, 1, v3
	s_wait_alu 0xfffd
	v_dual_cndmask_b32 v16, v3, v17 :: v_dual_mov_b32 v17, v2
.LBB6_34:                               ;   in Loop: Header=BB6_22 Depth=2
	s_wait_alu 0xfffe
	s_or_b32 exec_lo, exec_lo, s0
	s_load_b64 s[56:57], s[40:41], 0x0
	s_load_b64 s[54:55], s[38:39], 0x8
                                        ; implicit-def: $vgpr18_vgpr19
	s_mov_b32 s0, exec_lo
	s_wait_kmcnt 0x0
	v_or_b32_e32 v3, s57, v17
	s_delay_alu instid0(VALU_DEP_1)
	v_cmpx_ne_u64_e32 0, v[2:3]
	s_wait_alu 0xfffe
	s_xor_b32 s1, exec_lo, s0
	s_cbranch_execz .LBB6_36
; %bb.35:                               ;   in Loop: Header=BB6_22 Depth=2
	s_ashr_i32 s58, s57, 31
	v_ashrrev_i32_e32 v3, 31, v17
	s_wait_alu 0xfffe
	s_mov_b32 s59, s58
	s_wait_alu 0xfffe
	s_add_nc_u64 s[60:61], s[56:57], s[58:59]
	v_add_co_u32 v18, vcc_lo, v16, v3
	s_wait_alu 0xfffe
	s_xor_b64 s[60:61], s[60:61], s[58:59]
	s_wait_alu 0xfffd
	v_add_co_ci_u32_e64 v19, null, v17, v3, vcc_lo
	s_wait_alu 0xfffe
	s_cvt_f32_u32 s0, s60
	s_cvt_f32_u32 s14, s61
	s_sub_nc_u64 s[68:69], 0, s[60:61]
	v_xor_b32_e32 v28, v18, v3
	v_xor_b32_e32 v29, v19, v3
	s_wait_alu 0xfffe
	s_fmamk_f32 s0, s14, 0x4f800000, s0
	v_xor_b32_e32 v3, s58, v3
	s_wait_alu 0xfffe
	s_delay_alu instid0(SALU_CYCLE_1) | instskip(NEXT) | instid1(TRANS32_DEP_1)
	v_s_rcp_f32 s0, s0
	s_mul_f32 s0, s0, 0x5f7ffffc
	s_wait_alu 0xfffe
	s_delay_alu instid0(SALU_CYCLE_2) | instskip(SKIP_1) | instid1(SALU_CYCLE_2)
	s_mul_f32 s14, s0, 0x2f800000
	s_wait_alu 0xfffe
	s_trunc_f32 s14, s14
	s_wait_alu 0xfffe
	s_delay_alu instid0(SALU_CYCLE_2) | instskip(SKIP_2) | instid1(SALU_CYCLE_1)
	s_fmamk_f32 s0, s14, 0xcf800000, s0
	s_cvt_u32_f32 s67, s14
	s_wait_alu 0xfffe
	s_cvt_u32_f32 s66, s0
	s_delay_alu instid0(SALU_CYCLE_3) | instskip(NEXT) | instid1(SALU_CYCLE_1)
	s_mul_u64 s[70:71], s[68:69], s[66:67]
	s_mul_hi_u32 s73, s66, s71
	s_mul_i32 s72, s66, s71
	s_mul_hi_u32 s14, s66, s70
	s_mul_i32 s59, s67, s70
	s_wait_alu 0xfffe
	s_add_nc_u64 s[72:73], s[14:15], s[72:73]
	s_mul_hi_u32 s0, s67, s70
	s_mul_hi_u32 s74, s67, s71
	s_add_co_u32 s14, s72, s59
	s_wait_alu 0xfffe
	s_add_co_ci_u32 s14, s73, s0
	s_mul_i32 s70, s67, s71
	s_add_co_ci_u32 s71, s74, 0
	s_wait_alu 0xfffe
	s_add_nc_u64 s[70:71], s[14:15], s[70:71]
	s_delay_alu instid0(SALU_CYCLE_1) | instskip(SKIP_4) | instid1(SALU_CYCLE_1)
	s_add_co_u32 s66, s66, s70
	s_cselect_b32 s0, -1, 0
	s_wait_alu 0xfffe
	s_cmp_lg_u32 s0, 0
	s_add_co_ci_u32 s67, s67, s71
	s_mul_u64 s[68:69], s[68:69], s[66:67]
	s_delay_alu instid0(SALU_CYCLE_1)
	s_mul_hi_u32 s71, s66, s69
	s_mul_i32 s70, s66, s69
	s_mul_hi_u32 s14, s66, s68
	s_mul_i32 s59, s67, s68
	s_wait_alu 0xfffe
	s_add_nc_u64 s[70:71], s[14:15], s[70:71]
	s_mul_hi_u32 s0, s67, s68
	s_mul_hi_u32 s72, s67, s69
	s_add_co_u32 s14, s70, s59
	s_wait_alu 0xfffe
	s_add_co_ci_u32 s14, s71, s0
	s_mul_i32 s68, s67, s69
	s_add_co_ci_u32 s69, s72, 0
	s_wait_alu 0xfffe
	s_add_nc_u64 s[68:69], s[14:15], s[68:69]
	s_delay_alu instid0(SALU_CYCLE_1)
	s_add_co_u32 s0, s66, s68
	s_cselect_b32 s14, -1, 0
	s_wait_alu 0xfffe
	v_mul_hi_u32 v30, v28, s0
	s_cmp_lg_u32 s14, 0
	v_mad_co_u64_u32 v[24:25], null, v29, s0, 0
	s_add_co_ci_u32 s14, s67, s69
	s_wait_alu 0xfffe
	v_mad_co_u64_u32 v[18:19], null, v28, s14, 0
	v_mad_co_u64_u32 v[26:27], null, v29, s14, 0
	s_delay_alu instid0(VALU_DEP_2) | instskip(SKIP_1) | instid1(VALU_DEP_3)
	v_add_co_u32 v18, vcc_lo, v30, v18
	s_wait_alu 0xfffd
	v_add_co_ci_u32_e64 v19, null, 0, v19, vcc_lo
	s_delay_alu instid0(VALU_DEP_2) | instskip(SKIP_1) | instid1(VALU_DEP_2)
	v_add_co_u32 v18, vcc_lo, v18, v24
	s_wait_alu 0xfffd
	v_add_co_ci_u32_e32 v18, vcc_lo, v19, v25, vcc_lo
	s_wait_alu 0xfffd
	v_add_co_ci_u32_e32 v19, vcc_lo, 0, v27, vcc_lo
	s_delay_alu instid0(VALU_DEP_2) | instskip(SKIP_1) | instid1(VALU_DEP_2)
	v_add_co_u32 v24, vcc_lo, v18, v26
	s_wait_alu 0xfffd
	v_add_co_ci_u32_e64 v25, null, 0, v19, vcc_lo
	s_delay_alu instid0(VALU_DEP_2) | instskip(SKIP_1) | instid1(VALU_DEP_3)
	v_mul_lo_u32 v26, s61, v24
	v_mad_co_u64_u32 v[18:19], null, s60, v24, 0
	v_mul_lo_u32 v27, s60, v25
	s_delay_alu instid0(VALU_DEP_2) | instskip(NEXT) | instid1(VALU_DEP_2)
	v_sub_co_u32 v18, vcc_lo, v28, v18
	v_add3_u32 v19, v19, v27, v26
	v_add_co_u32 v27, s0, v24, 2
	s_wait_alu 0xf1ff
	v_add_co_ci_u32_e64 v28, null, 0, v25, s0
	s_delay_alu instid0(VALU_DEP_3) | instskip(SKIP_3) | instid1(VALU_DEP_3)
	v_sub_nc_u32_e32 v26, v29, v19
	v_sub_co_u32 v30, s0, v18, s60
	s_wait_alu 0xfffd
	v_sub_co_ci_u32_e64 v19, null, v29, v19, vcc_lo
	v_subrev_co_ci_u32_e64 v26, null, s61, v26, vcc_lo
	s_delay_alu instid0(VALU_DEP_3) | instskip(SKIP_1) | instid1(VALU_DEP_2)
	v_cmp_le_u32_e32 vcc_lo, s60, v30
	s_wait_alu 0xf1ff
	v_subrev_co_ci_u32_e64 v26, null, 0, v26, s0
	s_wait_alu 0xfffd
	v_cndmask_b32_e64 v29, 0, -1, vcc_lo
	s_delay_alu instid0(VALU_DEP_2)
	v_cmp_le_u32_e32 vcc_lo, s61, v26
	s_wait_alu 0xfffd
	v_cndmask_b32_e64 v30, 0, -1, vcc_lo
	v_cmp_le_u32_e32 vcc_lo, s60, v18
	s_wait_alu 0xfffd
	v_cndmask_b32_e64 v18, 0, -1, vcc_lo
	;; [unrolled: 3-line block ×3, first 2 shown]
	v_cmp_eq_u32_e32 vcc_lo, s61, v26
	s_wait_alu 0xfffd
	v_cndmask_b32_e32 v26, v30, v29, vcc_lo
	v_add_co_u32 v29, vcc_lo, v24, 1
	s_wait_alu 0xfffd
	v_add_co_ci_u32_e64 v30, null, 0, v25, vcc_lo
	v_cmp_eq_u32_e32 vcc_lo, s61, v19
	s_wait_alu 0xfffd
	v_cndmask_b32_e32 v18, v31, v18, vcc_lo
	v_cmp_ne_u32_e32 vcc_lo, 0, v26
	s_wait_alu 0xfffd
	v_cndmask_b32_e32 v19, v30, v28, vcc_lo
	s_delay_alu instid0(VALU_DEP_3) | instskip(SKIP_2) | instid1(VALU_DEP_2)
	v_cmp_ne_u32_e64 s0, 0, v18
	v_cndmask_b32_e32 v18, v29, v27, vcc_lo
	s_wait_alu 0xf1ff
	v_cndmask_b32_e64 v19, v25, v19, s0
	s_delay_alu instid0(VALU_DEP_2) | instskip(NEXT) | instid1(VALU_DEP_2)
	v_cndmask_b32_e64 v18, v24, v18, s0
	v_xor_b32_e32 v19, v19, v3
	s_delay_alu instid0(VALU_DEP_2) | instskip(NEXT) | instid1(VALU_DEP_1)
	v_xor_b32_e32 v18, v18, v3
	v_sub_co_u32 v18, vcc_lo, v18, v3
	s_wait_alu 0xfffd
	s_delay_alu instid0(VALU_DEP_3)
	v_sub_co_ci_u32_e64 v19, null, v19, v3, vcc_lo
.LBB6_36:                               ;   in Loop: Header=BB6_22 Depth=2
	s_wait_alu 0xfffe
	s_and_not1_saveexec_b32 s0, s1
	s_cbranch_execz .LBB6_21
; %bb.37:                               ;   in Loop: Header=BB6_22 Depth=2
	v_cvt_f32_u32_e32 v3, s56
	s_sub_co_i32 s1, 0, s56
	s_delay_alu instid0(VALU_DEP_1) | instskip(NEXT) | instid1(TRANS32_DEP_1)
	v_rcp_iflag_f32_e32 v3, v3
	v_mul_f32_e32 v3, 0x4f7ffffe, v3
	s_delay_alu instid0(VALU_DEP_1) | instskip(SKIP_1) | instid1(VALU_DEP_1)
	v_cvt_u32_f32_e32 v3, v3
	s_wait_alu 0xfffe
	v_mul_lo_u32 v18, s1, v3
	s_delay_alu instid0(VALU_DEP_1) | instskip(NEXT) | instid1(VALU_DEP_1)
	v_mul_hi_u32 v18, v3, v18
	v_add_nc_u32_e32 v3, v3, v18
	s_delay_alu instid0(VALU_DEP_1) | instskip(NEXT) | instid1(VALU_DEP_1)
	v_mul_hi_u32 v3, v16, v3
	v_mul_lo_u32 v18, v3, s56
	v_add_nc_u32_e32 v19, 1, v3
	s_delay_alu instid0(VALU_DEP_2) | instskip(NEXT) | instid1(VALU_DEP_1)
	v_sub_nc_u32_e32 v18, v16, v18
	v_subrev_nc_u32_e32 v24, s56, v18
	v_cmp_le_u32_e32 vcc_lo, s56, v18
	s_wait_alu 0xfffd
	s_delay_alu instid0(VALU_DEP_2) | instskip(NEXT) | instid1(VALU_DEP_1)
	v_dual_cndmask_b32 v18, v18, v24 :: v_dual_cndmask_b32 v3, v3, v19
	v_cmp_le_u32_e32 vcc_lo, s56, v18
	s_delay_alu instid0(VALU_DEP_2) | instskip(SKIP_1) | instid1(VALU_DEP_1)
	v_add_nc_u32_e32 v19, 1, v3
	s_wait_alu 0xfffd
	v_dual_cndmask_b32 v18, v3, v19 :: v_dual_mov_b32 v19, v2
	s_branch .LBB6_21
.LBB6_38:                               ;   in Loop: Header=BB6_3 Depth=1
	s_load_b64 s[38:39], s[24:25], 0x0
	s_wait_kmcnt 0x0
	v_cmp_gt_i64_e32 vcc_lo, s[38:39], v[4:5]
	s_and_b32 exec_lo, exec_lo, vcc_lo
	s_cbranch_execz .LBB6_2
; %bb.39:                               ;   in Loop: Header=BB6_3 Depth=1
	v_cmp_lt_i64_e32 vcc_lo, s[4:5], v[6:7]
	v_add_co_u32 v6, s0, s10, v8
	s_wait_alu 0xf1ff
	v_add_co_ci_u32_e64 v7, null, s11, v9, s0
	s_and_saveexec_b32 s0, vcc_lo
	s_cbranch_execz .LBB6_41
; %bb.40:                               ;   in Loop: Header=BB6_3 Depth=1
	global_store_b8 v[6:7], v2, off
.LBB6_41:                               ;   in Loop: Header=BB6_3 Depth=1
	s_wait_alu 0xfffe
	s_or_b32 exec_lo, exec_lo, s0
	v_add_co_u32 v8, vcc_lo, v4, 1
	s_wait_alu 0xfffd
	v_add_co_ci_u32_e64 v9, null, 0, v5, vcc_lo
	s_delay_alu instid0(VALU_DEP_1)
	v_cmp_gt_i64_e32 vcc_lo, s[38:39], v[8:9]
	s_and_b32 exec_lo, exec_lo, vcc_lo
	s_cbranch_execz .LBB6_2
; %bb.42:                               ;   in Loop: Header=BB6_3 Depth=1
	v_sub_co_u32 v8, vcc_lo, v8, v22
	s_wait_alu 0xfffd
	v_sub_co_ci_u32_e64 v9, null, v9, v23, vcc_lo
	s_mov_b32 s0, exec_lo
	v_cmpx_lt_i64_e64 s[4:5], v[8:9]
	s_cbranch_execz .LBB6_44
; %bb.43:                               ;   in Loop: Header=BB6_3 Depth=1
	v_add_co_u32 v8, vcc_lo, v6, s2
	s_wait_alu 0xfffd
	v_add_co_ci_u32_e64 v9, null, s3, v7, vcc_lo
	global_store_b8 v[8:9], v2, off
.LBB6_44:                               ;   in Loop: Header=BB6_3 Depth=1
	s_wait_alu 0xfffe
	s_or_b32 exec_lo, exec_lo, s0
	v_add_co_u32 v8, vcc_lo, v4, 2
	s_wait_alu 0xfffd
	v_add_co_ci_u32_e64 v9, null, 0, v5, vcc_lo
	s_delay_alu instid0(VALU_DEP_1)
	v_cmp_gt_i64_e32 vcc_lo, s[38:39], v[8:9]
	s_and_b32 exec_lo, exec_lo, vcc_lo
	s_cbranch_execz .LBB6_2
; %bb.45:                               ;   in Loop: Header=BB6_3 Depth=1
	v_sub_co_u32 v8, vcc_lo, v8, v22
	s_wait_alu 0xfffd
	v_sub_co_ci_u32_e64 v9, null, v9, v23, vcc_lo
	s_mov_b32 s0, exec_lo
	v_cmpx_lt_i64_e64 s[4:5], v[8:9]
	s_cbranch_execz .LBB6_47
; %bb.46:                               ;   in Loop: Header=BB6_3 Depth=1
	s_lshl_b64 s[40:41], s[2:3], 1
	s_wait_alu 0xfffe
	v_add_co_u32 v8, vcc_lo, v6, s40
	s_wait_alu 0xfffd
	v_add_co_ci_u32_e64 v9, null, s41, v7, vcc_lo
	global_store_b8 v[8:9], v2, off
.LBB6_47:                               ;   in Loop: Header=BB6_3 Depth=1
	s_wait_alu 0xfffe
	s_or_b32 exec_lo, exec_lo, s0
	v_add_co_u32 v3, vcc_lo, v4, 3
	s_wait_alu 0xfffd
	v_add_co_ci_u32_e64 v4, null, 0, v5, vcc_lo
	s_delay_alu instid0(VALU_DEP_2) | instskip(SKIP_1) | instid1(VALU_DEP_2)
	v_sub_co_u32 v8, vcc_lo, v3, v22
	s_wait_alu 0xfffd
	v_sub_co_ci_u32_e64 v9, null, v4, v23, vcc_lo
	v_cmp_gt_i64_e32 vcc_lo, s[38:39], v[3:4]
	s_delay_alu instid0(VALU_DEP_2)
	v_cmp_lt_i64_e64 s0, s[4:5], v[8:9]
	s_and_b32 s0, vcc_lo, s0
	s_wait_alu 0xfffe
	s_and_b32 exec_lo, exec_lo, s0
	s_cbranch_execz .LBB6_2
; %bb.48:                               ;   in Loop: Header=BB6_3 Depth=1
	v_mad_co_u64_u32 v[3:4], null, s2, 3, v[6:7]
	s_delay_alu instid0(VALU_DEP_1)
	v_mad_co_u64_u32 v[4:5], null, s3, 3, v[4:5]
	global_store_b8 v[3:4], v2, off
	s_branch .LBB6_2
.LBB6_49:
	s_endpgm
	.section	.rodata,"a",@progbits
	.p2align	6, 0x0
	.amdhsa_kernel _ZN2at6native16triu_tril_kernelIalLb0ELi4ELb1EEEvNS_4cuda6detail10TensorInfoIT_T0_EENS4_IKS5_S6_EEllS6_
		.amdhsa_group_segment_fixed_size 0
		.amdhsa_private_segment_fixed_size 0
		.amdhsa_kernarg_size 1112
		.amdhsa_user_sgpr_count 2
		.amdhsa_user_sgpr_dispatch_ptr 0
		.amdhsa_user_sgpr_queue_ptr 0
		.amdhsa_user_sgpr_kernarg_segment_ptr 1
		.amdhsa_user_sgpr_dispatch_id 0
		.amdhsa_user_sgpr_private_segment_size 0
		.amdhsa_wavefront_size32 1
		.amdhsa_uses_dynamic_stack 0
		.amdhsa_enable_private_segment 0
		.amdhsa_system_sgpr_workgroup_id_x 1
		.amdhsa_system_sgpr_workgroup_id_y 0
		.amdhsa_system_sgpr_workgroup_id_z 0
		.amdhsa_system_sgpr_workgroup_info 0
		.amdhsa_system_vgpr_workitem_id 0
		.amdhsa_next_free_vgpr 32
		.amdhsa_next_free_sgpr 75
		.amdhsa_reserve_vcc 1
		.amdhsa_float_round_mode_32 0
		.amdhsa_float_round_mode_16_64 0
		.amdhsa_float_denorm_mode_32 3
		.amdhsa_float_denorm_mode_16_64 3
		.amdhsa_fp16_overflow 0
		.amdhsa_workgroup_processor_mode 1
		.amdhsa_memory_ordered 1
		.amdhsa_forward_progress 1
		.amdhsa_inst_pref_size 68
		.amdhsa_round_robin_scheduling 0
		.amdhsa_exception_fp_ieee_invalid_op 0
		.amdhsa_exception_fp_denorm_src 0
		.amdhsa_exception_fp_ieee_div_zero 0
		.amdhsa_exception_fp_ieee_overflow 0
		.amdhsa_exception_fp_ieee_underflow 0
		.amdhsa_exception_fp_ieee_inexact 0
		.amdhsa_exception_int_div_zero 0
	.end_amdhsa_kernel
	.section	.text._ZN2at6native16triu_tril_kernelIalLb0ELi4ELb1EEEvNS_4cuda6detail10TensorInfoIT_T0_EENS4_IKS5_S6_EEllS6_,"axG",@progbits,_ZN2at6native16triu_tril_kernelIalLb0ELi4ELb1EEEvNS_4cuda6detail10TensorInfoIT_T0_EENS4_IKS5_S6_EEllS6_,comdat
.Lfunc_end6:
	.size	_ZN2at6native16triu_tril_kernelIalLb0ELi4ELb1EEEvNS_4cuda6detail10TensorInfoIT_T0_EENS4_IKS5_S6_EEllS6_, .Lfunc_end6-_ZN2at6native16triu_tril_kernelIalLb0ELi4ELb1EEEvNS_4cuda6detail10TensorInfoIT_T0_EENS4_IKS5_S6_EEllS6_
                                        ; -- End function
	.set _ZN2at6native16triu_tril_kernelIalLb0ELi4ELb1EEEvNS_4cuda6detail10TensorInfoIT_T0_EENS4_IKS5_S6_EEllS6_.num_vgpr, 32
	.set _ZN2at6native16triu_tril_kernelIalLb0ELi4ELb1EEEvNS_4cuda6detail10TensorInfoIT_T0_EENS4_IKS5_S6_EEllS6_.num_agpr, 0
	.set _ZN2at6native16triu_tril_kernelIalLb0ELi4ELb1EEEvNS_4cuda6detail10TensorInfoIT_T0_EENS4_IKS5_S6_EEllS6_.numbered_sgpr, 75
	.set _ZN2at6native16triu_tril_kernelIalLb0ELi4ELb1EEEvNS_4cuda6detail10TensorInfoIT_T0_EENS4_IKS5_S6_EEllS6_.num_named_barrier, 0
	.set _ZN2at6native16triu_tril_kernelIalLb0ELi4ELb1EEEvNS_4cuda6detail10TensorInfoIT_T0_EENS4_IKS5_S6_EEllS6_.private_seg_size, 0
	.set _ZN2at6native16triu_tril_kernelIalLb0ELi4ELb1EEEvNS_4cuda6detail10TensorInfoIT_T0_EENS4_IKS5_S6_EEllS6_.uses_vcc, 1
	.set _ZN2at6native16triu_tril_kernelIalLb0ELi4ELb1EEEvNS_4cuda6detail10TensorInfoIT_T0_EENS4_IKS5_S6_EEllS6_.uses_flat_scratch, 0
	.set _ZN2at6native16triu_tril_kernelIalLb0ELi4ELb1EEEvNS_4cuda6detail10TensorInfoIT_T0_EENS4_IKS5_S6_EEllS6_.has_dyn_sized_stack, 0
	.set _ZN2at6native16triu_tril_kernelIalLb0ELi4ELb1EEEvNS_4cuda6detail10TensorInfoIT_T0_EENS4_IKS5_S6_EEllS6_.has_recursion, 0
	.set _ZN2at6native16triu_tril_kernelIalLb0ELi4ELb1EEEvNS_4cuda6detail10TensorInfoIT_T0_EENS4_IKS5_S6_EEllS6_.has_indirect_call, 0
	.section	.AMDGPU.csdata,"",@progbits
; Kernel info:
; codeLenInByte = 8588
; TotalNumSgprs: 77
; NumVgprs: 32
; ScratchSize: 0
; MemoryBound: 0
; FloatMode: 240
; IeeeMode: 1
; LDSByteSize: 0 bytes/workgroup (compile time only)
; SGPRBlocks: 0
; VGPRBlocks: 3
; NumSGPRsForWavesPerEU: 77
; NumVGPRsForWavesPerEU: 32
; Occupancy: 16
; WaveLimiterHint : 0
; COMPUTE_PGM_RSRC2:SCRATCH_EN: 0
; COMPUTE_PGM_RSRC2:USER_SGPR: 2
; COMPUTE_PGM_RSRC2:TRAP_HANDLER: 0
; COMPUTE_PGM_RSRC2:TGID_X_EN: 1
; COMPUTE_PGM_RSRC2:TGID_Y_EN: 0
; COMPUTE_PGM_RSRC2:TGID_Z_EN: 0
; COMPUTE_PGM_RSRC2:TIDIG_COMP_CNT: 0
	.section	.text._ZN2at6native16triu_tril_kernelIalLb0ELi4ELb0EEEvNS_4cuda6detail10TensorInfoIT_T0_EENS4_IKS5_S6_EEllS6_,"axG",@progbits,_ZN2at6native16triu_tril_kernelIalLb0ELi4ELb0EEEvNS_4cuda6detail10TensorInfoIT_T0_EENS4_IKS5_S6_EEllS6_,comdat
	.protected	_ZN2at6native16triu_tril_kernelIalLb0ELi4ELb0EEEvNS_4cuda6detail10TensorInfoIT_T0_EENS4_IKS5_S6_EEllS6_ ; -- Begin function _ZN2at6native16triu_tril_kernelIalLb0ELi4ELb0EEEvNS_4cuda6detail10TensorInfoIT_T0_EENS4_IKS5_S6_EEllS6_
	.globl	_ZN2at6native16triu_tril_kernelIalLb0ELi4ELb0EEEvNS_4cuda6detail10TensorInfoIT_T0_EENS4_IKS5_S6_EEllS6_
	.p2align	8
	.type	_ZN2at6native16triu_tril_kernelIalLb0ELi4ELb0EEEvNS_4cuda6detail10TensorInfoIT_T0_EENS4_IKS5_S6_EEllS6_,@function
_ZN2at6native16triu_tril_kernelIalLb0ELi4ELb0EEEvNS_4cuda6detail10TensorInfoIT_T0_EENS4_IKS5_S6_EEllS6_: ; @_ZN2at6native16triu_tril_kernelIalLb0ELi4ELb0EEEvNS_4cuda6detail10TensorInfoIT_T0_EENS4_IKS5_S6_EEllS6_
; %bb.0:
	s_clause 0x1
	s_load_b32 s2, s[0:1], 0x364
	s_load_b128 s[4:7], s[0:1], 0x340
	v_mov_b32_e32 v2, 0
	s_delay_alu instid0(VALU_DEP_1) | instskip(SKIP_3) | instid1(VALU_DEP_1)
	v_mov_b32_e32 v1, v2
	s_wait_kmcnt 0x0
	s_and_b32 s16, s2, 0xffff
	s_mov_b32 s2, exec_lo
	v_mad_co_u64_u32 v[0:1], null, s16, ttmp9, v[0:1]
	s_delay_alu instid0(VALU_DEP_1) | instskip(NEXT) | instid1(VALU_DEP_1)
	v_lshlrev_b64_e32 v[0:1], 2, v[0:1]
	v_cmpx_gt_i64_e64 s[6:7], v[0:1]
	s_cbranch_execz .LBB7_44
; %bb.1:
	s_clause 0x1
	s_load_b32 s42, s[0:1], 0x338
	s_load_b64 s[2:3], s[0:1], 0x1a0
	s_add_nc_u64 s[20:21], s[0:1], 0x1a0
	s_load_b64 s[22:23], s[0:1], 0x350
	s_add_nc_u64 s[14:15], s[0:1], 0x358
	s_mov_b32 s27, 0
	s_mov_b32 s28, s4
	;; [unrolled: 1-line block ×6, first 2 shown]
	s_wait_kmcnt 0x0
	s_ashr_i32 s43, s42, 31
	s_add_co_i32 s34, s42, -3
	s_lshl_b64 s[18:19], s[42:43], 3
	s_ashr_i32 s35, s34, 31
	s_add_nc_u64 s[12:13], s[20:21], s[18:19]
	v_cmp_gt_i64_e64 s66, s[42:43], 2
	s_add_nc_u64 s[8:9], s[12:13], -8
	s_add_nc_u64 s[36:37], s[34:35], -1
	s_load_b128 s[8:11], s[8:9], 0x0
	s_load_b32 s17, s[14:15], 0x0
	s_clause 0x1
	s_load_b64 s[24:25], s[0:1], 0x0
	s_load_b128 s[12:15], s[12:13], 0xc0
	v_cvt_f32_u32_e32 v3, s22
	s_add_nc_u64 s[42:43], s[0:1], 0xc8
	s_delay_alu instid0(VALU_DEP_1)
	v_rcp_iflag_f32_e32 v3, v3
	s_wait_kmcnt 0x0
	v_cvt_f32_u32_e32 v4, s8
	s_mul_i32 s26, s17, s16
	s_add_nc_u64 s[16:17], s[0:1], s[18:19]
	s_lshl_b32 s33, s26, 2
	s_load_b128 s[16:19], s[16:17], 0xc0
	v_rcp_iflag_f32_e32 v4, v4
	s_delay_alu instid0(TRANS32_DEP_2)
	v_mul_f32_e32 v3, 0x4f7ffffe, v3
	s_bitcmp0_b32 s34, 0
	s_cselect_b32 s64, -1, 0
	s_lshl_b64 s[40:41], s[34:35], 3
	s_cmp_lg_u32 s34, 0
	s_add_nc_u64 s[38:39], s[20:21], s[40:41]
	s_add_nc_u64 s[40:41], s[0:1], s[40:41]
	s_cselect_b32 s65, -1, 0
	s_delay_alu instid0(TRANS32_DEP_1) | instskip(SKIP_2) | instid1(VALU_DEP_2)
	v_mul_f32_e32 v4, 0x4f7ffffe, v4
	v_cvt_u32_f32_e32 v16, v3
	s_ashr_i32 s44, s23, 31
	v_cvt_u32_f32_e32 v17, v4
	s_branch .LBB7_3
.LBB7_2:                                ;   in Loop: Header=BB7_3 Depth=1
	s_wait_alu 0xfffe
	s_or_b32 exec_lo, exec_lo, s0
	v_add_co_u32 v0, vcc_lo, v0, s33
	s_wait_alu 0xfffd
	v_add_co_ci_u32_e64 v1, null, 0, v1, vcc_lo
	s_delay_alu instid0(VALU_DEP_1) | instskip(SKIP_1) | instid1(SALU_CYCLE_1)
	v_cmp_le_i64_e32 vcc_lo, s[6:7], v[0:1]
	s_or_b32 s67, vcc_lo, s67
	s_and_not1_b32 exec_lo, exec_lo, s67
	s_cbranch_execz .LBB7_44
.LBB7_3:                                ; =>This Loop Header: Depth=1
                                        ;     Child Loop BB7_21 Depth 2
	v_or_b32_e32 v3, s23, v1
                                        ; implicit-def: $vgpr6_vgpr7
	s_mov_b32 s0, exec_lo
	s_delay_alu instid0(VALU_DEP_1)
	v_cmpx_ne_u64_e32 0, v[2:3]
	s_wait_alu 0xfffe
	s_xor_b32 s1, exec_lo, s0
	s_cbranch_execz .LBB7_5
; %bb.4:                                ;   in Loop: Header=BB7_3 Depth=1
	s_mov_b32 s45, s44
	v_ashrrev_i32_e32 v9, 31, v1
	s_wait_alu 0xfffe
	s_add_nc_u64 s[46:47], s[22:23], s[44:45]
	s_wait_alu 0xfffe
	s_xor_b64 s[46:47], s[46:47], s[44:45]
	v_add_co_u32 v3, vcc_lo, v0, v9
	s_wait_alu 0xfffe
	s_cvt_f32_u32 s0, s46
	s_cvt_f32_u32 s26, s47
	s_sub_nc_u64 s[50:51], 0, s[46:47]
	s_wait_alu 0xfffd
	v_add_co_ci_u32_e64 v4, null, v1, v9, vcc_lo
	s_wait_alu 0xfffe
	s_fmamk_f32 s0, s26, 0x4f800000, s0
	v_xor_b32_e32 v10, v3, v9
	s_delay_alu instid0(VALU_DEP_2) | instskip(SKIP_2) | instid1(TRANS32_DEP_1)
	v_xor_b32_e32 v11, v4, v9
	s_wait_alu 0xfffe
	v_s_rcp_f32 s0, s0
	s_mul_f32 s0, s0, 0x5f7ffffc
	s_wait_alu 0xfffe
	s_delay_alu instid0(SALU_CYCLE_2) | instskip(SKIP_1) | instid1(SALU_CYCLE_2)
	s_mul_f32 s26, s0, 0x2f800000
	s_wait_alu 0xfffe
	s_trunc_f32 s26, s26
	s_wait_alu 0xfffe
	s_delay_alu instid0(SALU_CYCLE_2) | instskip(SKIP_2) | instid1(SALU_CYCLE_1)
	s_fmamk_f32 s0, s26, 0xcf800000, s0
	s_cvt_u32_f32 s49, s26
	s_wait_alu 0xfffe
	s_cvt_u32_f32 s48, s0
	s_wait_alu 0xfffe
	s_delay_alu instid0(SALU_CYCLE_2)
	s_mul_u64 s[52:53], s[50:51], s[48:49]
	s_wait_alu 0xfffe
	s_mul_hi_u32 s55, s48, s53
	s_mul_i32 s54, s48, s53
	s_mul_hi_u32 s26, s48, s52
	s_mul_i32 s45, s49, s52
	s_wait_alu 0xfffe
	s_add_nc_u64 s[54:55], s[26:27], s[54:55]
	s_mul_hi_u32 s0, s49, s52
	s_mul_hi_u32 s56, s49, s53
	s_wait_alu 0xfffe
	s_add_co_u32 s26, s54, s45
	s_add_co_ci_u32 s26, s55, s0
	s_mul_i32 s52, s49, s53
	s_add_co_ci_u32 s53, s56, 0
	s_wait_alu 0xfffe
	s_add_nc_u64 s[52:53], s[26:27], s[52:53]
	s_wait_alu 0xfffe
	s_add_co_u32 s48, s48, s52
	s_cselect_b32 s0, -1, 0
	s_wait_alu 0xfffe
	s_cmp_lg_u32 s0, 0
	s_add_co_ci_u32 s49, s49, s53
	s_wait_alu 0xfffe
	s_mul_u64 s[50:51], s[50:51], s[48:49]
	s_wait_alu 0xfffe
	s_mul_hi_u32 s53, s48, s51
	s_mul_i32 s52, s48, s51
	s_mul_hi_u32 s26, s48, s50
	s_mul_i32 s45, s49, s50
	s_wait_alu 0xfffe
	s_add_nc_u64 s[52:53], s[26:27], s[52:53]
	s_mul_hi_u32 s0, s49, s50
	s_mul_hi_u32 s54, s49, s51
	s_wait_alu 0xfffe
	s_add_co_u32 s26, s52, s45
	s_add_co_ci_u32 s26, s53, s0
	s_mul_i32 s50, s49, s51
	s_add_co_ci_u32 s51, s54, 0
	s_wait_alu 0xfffe
	s_add_nc_u64 s[50:51], s[26:27], s[50:51]
	s_wait_alu 0xfffe
	s_add_co_u32 s0, s48, s50
	s_cselect_b32 s26, -1, 0
	s_wait_alu 0xfffe
	v_mul_hi_u32 v12, v10, s0
	s_cmp_lg_u32 s26, 0
	v_mad_co_u64_u32 v[5:6], null, v11, s0, 0
	s_add_co_ci_u32 s26, s49, s51
	s_wait_alu 0xfffe
	v_mad_co_u64_u32 v[3:4], null, v10, s26, 0
	v_mad_co_u64_u32 v[7:8], null, v11, s26, 0
	s_delay_alu instid0(VALU_DEP_2) | instskip(SKIP_1) | instid1(VALU_DEP_3)
	v_add_co_u32 v3, vcc_lo, v12, v3
	s_wait_alu 0xfffd
	v_add_co_ci_u32_e64 v4, null, 0, v4, vcc_lo
	s_delay_alu instid0(VALU_DEP_2) | instskip(SKIP_1) | instid1(VALU_DEP_2)
	v_add_co_u32 v3, vcc_lo, v3, v5
	s_wait_alu 0xfffd
	v_add_co_ci_u32_e32 v3, vcc_lo, v4, v6, vcc_lo
	s_wait_alu 0xfffd
	v_add_co_ci_u32_e32 v4, vcc_lo, 0, v8, vcc_lo
	s_delay_alu instid0(VALU_DEP_2) | instskip(SKIP_1) | instid1(VALU_DEP_2)
	v_add_co_u32 v5, vcc_lo, v3, v7
	s_wait_alu 0xfffd
	v_add_co_ci_u32_e64 v6, null, 0, v4, vcc_lo
	s_delay_alu instid0(VALU_DEP_2) | instskip(SKIP_1) | instid1(VALU_DEP_3)
	v_mul_lo_u32 v7, s47, v5
	v_mad_co_u64_u32 v[3:4], null, s46, v5, 0
	v_mul_lo_u32 v8, s46, v6
	s_delay_alu instid0(VALU_DEP_2) | instskip(NEXT) | instid1(VALU_DEP_2)
	v_sub_co_u32 v3, vcc_lo, v10, v3
	v_add3_u32 v4, v4, v8, v7
	v_add_co_u32 v8, s0, v5, 2
	s_wait_alu 0xf1ff
	v_add_co_ci_u32_e64 v10, null, 0, v6, s0
	s_delay_alu instid0(VALU_DEP_3) | instskip(SKIP_3) | instid1(VALU_DEP_3)
	v_sub_nc_u32_e32 v7, v11, v4
	v_sub_co_u32 v12, s0, v3, s46
	s_wait_alu 0xfffd
	v_sub_co_ci_u32_e64 v4, null, v11, v4, vcc_lo
	v_subrev_co_ci_u32_e64 v7, null, s47, v7, vcc_lo
	s_delay_alu instid0(VALU_DEP_3) | instskip(SKIP_1) | instid1(VALU_DEP_2)
	v_cmp_le_u32_e32 vcc_lo, s46, v12
	s_wait_alu 0xf1ff
	v_subrev_co_ci_u32_e64 v7, null, 0, v7, s0
	s_wait_alu 0xfffd
	v_cndmask_b32_e64 v11, 0, -1, vcc_lo
	s_delay_alu instid0(VALU_DEP_2)
	v_cmp_le_u32_e32 vcc_lo, s47, v7
	s_wait_alu 0xfffd
	v_cndmask_b32_e64 v12, 0, -1, vcc_lo
	v_cmp_le_u32_e32 vcc_lo, s46, v3
	s_wait_alu 0xfffd
	v_cndmask_b32_e64 v3, 0, -1, vcc_lo
	;; [unrolled: 3-line block ×3, first 2 shown]
	v_cmp_eq_u32_e32 vcc_lo, s47, v7
	s_wait_alu 0xfffd
	v_cndmask_b32_e32 v7, v12, v11, vcc_lo
	v_add_co_u32 v11, vcc_lo, v5, 1
	s_wait_alu 0xfffd
	v_add_co_ci_u32_e64 v12, null, 0, v6, vcc_lo
	v_cmp_eq_u32_e32 vcc_lo, s47, v4
	s_wait_alu 0xfffd
	v_cndmask_b32_e32 v3, v13, v3, vcc_lo
	v_cmp_ne_u32_e32 vcc_lo, 0, v7
	v_xor_b32_e32 v7, s44, v9
	s_wait_alu 0xfffd
	v_cndmask_b32_e32 v4, v12, v10, vcc_lo
	v_cmp_ne_u32_e64 s0, 0, v3
	v_cndmask_b32_e32 v3, v11, v8, vcc_lo
	s_wait_alu 0xf1ff
	s_delay_alu instid0(VALU_DEP_2) | instskip(NEXT) | instid1(VALU_DEP_2)
	v_cndmask_b32_e64 v4, v6, v4, s0
	v_cndmask_b32_e64 v3, v5, v3, s0
	s_delay_alu instid0(VALU_DEP_2) | instskip(NEXT) | instid1(VALU_DEP_2)
	v_xor_b32_e32 v4, v4, v7
	v_xor_b32_e32 v3, v3, v7
	s_delay_alu instid0(VALU_DEP_1) | instskip(SKIP_1) | instid1(VALU_DEP_3)
	v_sub_co_u32 v6, vcc_lo, v3, v7
	s_wait_alu 0xfffd
	v_sub_co_ci_u32_e64 v7, null, v4, v7, vcc_lo
.LBB7_5:                                ;   in Loop: Header=BB7_3 Depth=1
	s_wait_alu 0xfffe
	s_and_not1_saveexec_b32 s0, s1
	s_cbranch_execz .LBB7_7
; %bb.6:                                ;   in Loop: Header=BB7_3 Depth=1
	s_sub_co_i32 s1, 0, s22
	v_mov_b32_e32 v7, v2
	s_wait_alu 0xfffe
	v_mul_lo_u32 v3, s1, v16
	s_delay_alu instid0(VALU_DEP_1) | instskip(NEXT) | instid1(VALU_DEP_1)
	v_mul_hi_u32 v3, v16, v3
	v_add_nc_u32_e32 v3, v16, v3
	s_delay_alu instid0(VALU_DEP_1) | instskip(NEXT) | instid1(VALU_DEP_1)
	v_mul_hi_u32 v3, v0, v3
	v_mul_lo_u32 v4, v3, s22
	s_delay_alu instid0(VALU_DEP_1) | instskip(NEXT) | instid1(VALU_DEP_1)
	v_sub_nc_u32_e32 v4, v0, v4
	v_subrev_nc_u32_e32 v6, s22, v4
	v_cmp_le_u32_e32 vcc_lo, s22, v4
	s_wait_alu 0xfffd
	s_delay_alu instid0(VALU_DEP_2) | instskip(NEXT) | instid1(VALU_DEP_1)
	v_dual_cndmask_b32 v4, v4, v6 :: v_dual_add_nc_u32 v5, 1, v3
	v_cndmask_b32_e32 v3, v3, v5, vcc_lo
	s_delay_alu instid0(VALU_DEP_2) | instskip(NEXT) | instid1(VALU_DEP_2)
	v_cmp_le_u32_e32 vcc_lo, s22, v4
	v_add_nc_u32_e32 v5, 1, v3
	s_wait_alu 0xfffd
	s_delay_alu instid0(VALU_DEP_1)
	v_cndmask_b32_e32 v6, v3, v5, vcc_lo
.LBB7_7:                                ;   in Loop: Header=BB7_3 Depth=1
	s_wait_alu 0xfffe
	s_or_b32 exec_lo, exec_lo, s0
	v_or_b32_e32 v3, s9, v7
                                        ; implicit-def: $vgpr10_vgpr11
	s_mov_b32 s0, exec_lo
	s_delay_alu instid0(VALU_DEP_1)
	v_cmpx_ne_u64_e32 0, v[2:3]
	s_wait_alu 0xfffe
	s_xor_b32 s1, exec_lo, s0
	s_cbranch_execz .LBB7_9
; %bb.8:                                ;   in Loop: Header=BB7_3 Depth=1
	s_ashr_i32 s46, s9, 31
	v_ashrrev_i32_e32 v5, 31, v7
	s_wait_alu 0xfffe
	s_mov_b32 s47, s46
	s_wait_alu 0xfffe
	s_add_nc_u64 s[48:49], s[8:9], s[46:47]
	v_add_co_u32 v3, vcc_lo, v6, v5
	s_wait_alu 0xfffe
	s_xor_b64 s[48:49], s[48:49], s[46:47]
	s_wait_alu 0xfffd
	v_add_co_ci_u32_e64 v4, null, v7, v5, vcc_lo
	s_wait_alu 0xfffe
	s_cvt_f32_u32 s0, s48
	s_cvt_f32_u32 s26, s49
	s_sub_nc_u64 s[52:53], 0, s[48:49]
	v_xor_b32_e32 v12, v3, v5
	v_xor_b32_e32 v13, v4, v5
	s_wait_alu 0xfffe
	s_fmamk_f32 s0, s26, 0x4f800000, s0
	v_xor_b32_e32 v5, s46, v5
	s_wait_alu 0xfffe
	s_delay_alu instid0(SALU_CYCLE_1) | instskip(NEXT) | instid1(TRANS32_DEP_1)
	v_s_rcp_f32 s0, s0
	s_mul_f32 s0, s0, 0x5f7ffffc
	s_wait_alu 0xfffe
	s_delay_alu instid0(SALU_CYCLE_2) | instskip(SKIP_1) | instid1(SALU_CYCLE_2)
	s_mul_f32 s26, s0, 0x2f800000
	s_wait_alu 0xfffe
	s_trunc_f32 s26, s26
	s_wait_alu 0xfffe
	s_delay_alu instid0(SALU_CYCLE_2) | instskip(SKIP_2) | instid1(SALU_CYCLE_1)
	s_fmamk_f32 s0, s26, 0xcf800000, s0
	s_cvt_u32_f32 s51, s26
	s_wait_alu 0xfffe
	s_cvt_u32_f32 s50, s0
	s_wait_alu 0xfffe
	s_delay_alu instid0(SALU_CYCLE_2)
	s_mul_u64 s[54:55], s[52:53], s[50:51]
	s_wait_alu 0xfffe
	s_mul_hi_u32 s57, s50, s55
	s_mul_i32 s56, s50, s55
	s_mul_hi_u32 s26, s50, s54
	s_mul_i32 s45, s51, s54
	s_wait_alu 0xfffe
	s_add_nc_u64 s[56:57], s[26:27], s[56:57]
	s_mul_hi_u32 s0, s51, s54
	s_mul_hi_u32 s47, s51, s55
	s_wait_alu 0xfffe
	s_add_co_u32 s26, s56, s45
	s_add_co_ci_u32 s26, s57, s0
	s_mul_i32 s54, s51, s55
	s_add_co_ci_u32 s55, s47, 0
	s_wait_alu 0xfffe
	s_add_nc_u64 s[54:55], s[26:27], s[54:55]
	s_wait_alu 0xfffe
	s_add_co_u32 s50, s50, s54
	s_cselect_b32 s0, -1, 0
	s_wait_alu 0xfffe
	s_cmp_lg_u32 s0, 0
	s_add_co_ci_u32 s51, s51, s55
	s_wait_alu 0xfffe
	s_mul_u64 s[52:53], s[52:53], s[50:51]
	s_wait_alu 0xfffe
	s_mul_hi_u32 s55, s50, s53
	s_mul_i32 s54, s50, s53
	s_mul_hi_u32 s26, s50, s52
	s_mul_i32 s45, s51, s52
	s_wait_alu 0xfffe
	s_add_nc_u64 s[54:55], s[26:27], s[54:55]
	s_mul_hi_u32 s0, s51, s52
	s_mul_hi_u32 s47, s51, s53
	s_wait_alu 0xfffe
	s_add_co_u32 s26, s54, s45
	s_add_co_ci_u32 s26, s55, s0
	s_mul_i32 s52, s51, s53
	s_add_co_ci_u32 s53, s47, 0
	s_wait_alu 0xfffe
	s_add_nc_u64 s[52:53], s[26:27], s[52:53]
	s_wait_alu 0xfffe
	s_add_co_u32 s0, s50, s52
	s_cselect_b32 s26, -1, 0
	s_wait_alu 0xfffe
	v_mul_hi_u32 v14, v12, s0
	s_cmp_lg_u32 s26, 0
	v_mad_co_u64_u32 v[8:9], null, v13, s0, 0
	s_add_co_ci_u32 s26, s51, s53
	s_wait_alu 0xfffe
	v_mad_co_u64_u32 v[3:4], null, v12, s26, 0
	v_mad_co_u64_u32 v[10:11], null, v13, s26, 0
	s_delay_alu instid0(VALU_DEP_2) | instskip(SKIP_1) | instid1(VALU_DEP_3)
	v_add_co_u32 v3, vcc_lo, v14, v3
	s_wait_alu 0xfffd
	v_add_co_ci_u32_e64 v4, null, 0, v4, vcc_lo
	s_delay_alu instid0(VALU_DEP_2) | instskip(SKIP_1) | instid1(VALU_DEP_2)
	v_add_co_u32 v3, vcc_lo, v3, v8
	s_wait_alu 0xfffd
	v_add_co_ci_u32_e32 v3, vcc_lo, v4, v9, vcc_lo
	s_wait_alu 0xfffd
	v_add_co_ci_u32_e32 v4, vcc_lo, 0, v11, vcc_lo
	s_delay_alu instid0(VALU_DEP_2) | instskip(SKIP_1) | instid1(VALU_DEP_2)
	v_add_co_u32 v8, vcc_lo, v3, v10
	s_wait_alu 0xfffd
	v_add_co_ci_u32_e64 v9, null, 0, v4, vcc_lo
	s_delay_alu instid0(VALU_DEP_2) | instskip(SKIP_1) | instid1(VALU_DEP_3)
	v_mul_lo_u32 v10, s49, v8
	v_mad_co_u64_u32 v[3:4], null, s48, v8, 0
	v_mul_lo_u32 v11, s48, v9
	s_delay_alu instid0(VALU_DEP_2) | instskip(NEXT) | instid1(VALU_DEP_2)
	v_sub_co_u32 v3, vcc_lo, v12, v3
	v_add3_u32 v4, v4, v11, v10
	v_add_co_u32 v11, s0, v8, 2
	s_wait_alu 0xf1ff
	v_add_co_ci_u32_e64 v12, null, 0, v9, s0
	s_delay_alu instid0(VALU_DEP_3) | instskip(SKIP_3) | instid1(VALU_DEP_3)
	v_sub_nc_u32_e32 v10, v13, v4
	v_sub_co_u32 v14, s0, v3, s48
	s_wait_alu 0xfffd
	v_sub_co_ci_u32_e64 v4, null, v13, v4, vcc_lo
	v_subrev_co_ci_u32_e64 v10, null, s49, v10, vcc_lo
	s_delay_alu instid0(VALU_DEP_3) | instskip(SKIP_1) | instid1(VALU_DEP_2)
	v_cmp_le_u32_e32 vcc_lo, s48, v14
	s_wait_alu 0xf1ff
	v_subrev_co_ci_u32_e64 v10, null, 0, v10, s0
	s_wait_alu 0xfffd
	v_cndmask_b32_e64 v13, 0, -1, vcc_lo
	s_delay_alu instid0(VALU_DEP_2)
	v_cmp_le_u32_e32 vcc_lo, s49, v10
	s_wait_alu 0xfffd
	v_cndmask_b32_e64 v14, 0, -1, vcc_lo
	v_cmp_le_u32_e32 vcc_lo, s48, v3
	s_wait_alu 0xfffd
	v_cndmask_b32_e64 v3, 0, -1, vcc_lo
	;; [unrolled: 3-line block ×3, first 2 shown]
	v_cmp_eq_u32_e32 vcc_lo, s49, v10
	s_wait_alu 0xfffd
	v_cndmask_b32_e32 v10, v14, v13, vcc_lo
	v_add_co_u32 v13, vcc_lo, v8, 1
	s_wait_alu 0xfffd
	v_add_co_ci_u32_e64 v14, null, 0, v9, vcc_lo
	v_cmp_eq_u32_e32 vcc_lo, s49, v4
	s_wait_alu 0xfffd
	v_cndmask_b32_e32 v3, v15, v3, vcc_lo
	v_cmp_ne_u32_e32 vcc_lo, 0, v10
	s_delay_alu instid0(VALU_DEP_2) | instskip(SKIP_3) | instid1(VALU_DEP_1)
	v_cmp_ne_u32_e64 s0, 0, v3
	s_wait_alu 0xfffd
	v_dual_cndmask_b32 v4, v14, v12 :: v_dual_cndmask_b32 v3, v13, v11
	s_wait_alu 0xf1ff
	v_cndmask_b32_e64 v4, v9, v4, s0
	s_delay_alu instid0(VALU_DEP_2) | instskip(NEXT) | instid1(VALU_DEP_2)
	v_cndmask_b32_e64 v3, v8, v3, s0
	v_xor_b32_e32 v4, v4, v5
	s_delay_alu instid0(VALU_DEP_2) | instskip(NEXT) | instid1(VALU_DEP_1)
	v_xor_b32_e32 v3, v3, v5
	v_sub_co_u32 v10, vcc_lo, v3, v5
	s_wait_alu 0xfffd
	s_delay_alu instid0(VALU_DEP_3)
	v_sub_co_ci_u32_e64 v11, null, v4, v5, vcc_lo
.LBB7_9:                                ;   in Loop: Header=BB7_3 Depth=1
	s_wait_alu 0xfffe
	s_and_not1_saveexec_b32 s0, s1
	s_cbranch_execz .LBB7_11
; %bb.10:                               ;   in Loop: Header=BB7_3 Depth=1
	s_sub_co_i32 s1, 0, s8
	v_mov_b32_e32 v11, v2
	s_wait_alu 0xfffe
	v_mul_lo_u32 v3, s1, v17
	s_delay_alu instid0(VALU_DEP_1) | instskip(NEXT) | instid1(VALU_DEP_1)
	v_mul_hi_u32 v3, v17, v3
	v_add_nc_u32_e32 v3, v17, v3
	s_delay_alu instid0(VALU_DEP_1) | instskip(NEXT) | instid1(VALU_DEP_1)
	v_mul_hi_u32 v3, v6, v3
	v_mul_lo_u32 v4, v3, s8
	v_add_nc_u32_e32 v5, 1, v3
	s_delay_alu instid0(VALU_DEP_2) | instskip(NEXT) | instid1(VALU_DEP_1)
	v_sub_nc_u32_e32 v4, v6, v4
	v_subrev_nc_u32_e32 v8, s8, v4
	v_cmp_le_u32_e32 vcc_lo, s8, v4
	s_wait_alu 0xfffd
	s_delay_alu instid0(VALU_DEP_2) | instskip(NEXT) | instid1(VALU_DEP_1)
	v_dual_cndmask_b32 v4, v4, v8 :: v_dual_cndmask_b32 v3, v3, v5
	v_cmp_le_u32_e32 vcc_lo, s8, v4
	s_delay_alu instid0(VALU_DEP_2) | instskip(SKIP_1) | instid1(VALU_DEP_1)
	v_add_nc_u32_e32 v5, 1, v3
	s_wait_alu 0xfffd
	v_cndmask_b32_e32 v10, v3, v5, vcc_lo
.LBB7_11:                               ;   in Loop: Header=BB7_3 Depth=1
	s_wait_alu 0xfffe
	s_or_b32 exec_lo, exec_lo, s0
	v_mul_lo_u32 v5, v7, s22
	v_mul_lo_u32 v12, v6, s23
	v_mad_co_u64_u32 v[3:4], null, v6, s22, 0
	v_mul_lo_u32 v13, v11, s8
	v_mul_lo_u32 v14, v10, s9
	v_mad_co_u64_u32 v[8:9], null, v10, s8, 0
	s_delay_alu instid0(VALU_DEP_4) | instskip(SKIP_1) | instid1(VALU_DEP_3)
	v_add3_u32 v5, v4, v12, v5
	v_sub_co_u32 v4, vcc_lo, v0, v3
	v_add3_u32 v3, v9, v14, v13
	s_wait_alu 0xfffd
	s_delay_alu instid0(VALU_DEP_3) | instskip(NEXT) | instid1(VALU_DEP_3)
	v_sub_co_ci_u32_e64 v5, null, v1, v5, vcc_lo
	v_mul_lo_u32 v9, s15, v4
	v_mad_co_u64_u32 v[12:13], null, s14, v4, 0
	s_wait_kmcnt 0x0
	v_mul_lo_u32 v20, s19, v4
	v_mul_lo_u32 v21, s14, v5
	;; [unrolled: 1-line block ×3, first 2 shown]
	v_mad_co_u64_u32 v[14:15], null, s18, v4, 0
	v_sub_co_u32 v18, vcc_lo, v6, v8
	s_wait_alu 0xfffd
	v_sub_co_ci_u32_e64 v19, null, v7, v3, vcc_lo
	v_add3_u32 v13, v13, v21, v9
	s_delay_alu instid0(VALU_DEP_3) | instskip(SKIP_1) | instid1(VALU_DEP_4)
	v_mul_lo_u32 v3, s13, v18
	v_add3_u32 v15, v15, v22, v20
	v_mul_lo_u32 v21, s12, v19
	s_and_not1_b32 vcc_lo, exec_lo, s66
	v_mad_co_u64_u32 v[8:9], null, s12, v18, v[12:13]
	v_mul_lo_u32 v12, s16, v19
	v_mul_lo_u32 v13, s17, v18
	v_mad_co_u64_u32 v[6:7], null, s16, v18, v[14:15]
	s_delay_alu instid0(VALU_DEP_4) | instskip(NEXT) | instid1(VALU_DEP_2)
	v_add3_u32 v9, v3, v9, v21
	v_add3_u32 v7, v13, v7, v12
	s_wait_alu 0xfffe
	s_cbranch_vccnz .LBB7_29
; %bb.12:                               ;   in Loop: Header=BB7_3 Depth=1
	s_and_not1_b32 vcc_lo, exec_lo, s64
	s_wait_alu 0xfffe
	s_cbranch_vccnz .LBB7_18
; %bb.13:                               ;   in Loop: Header=BB7_3 Depth=1
	s_load_b64 s[46:47], s[38:39], 0x8
                                        ; implicit-def: $vgpr12_vgpr13
	s_mov_b32 s0, exec_lo
	s_wait_kmcnt 0x0
	v_or_b32_e32 v3, s47, v11
	s_delay_alu instid0(VALU_DEP_1)
	v_cmpx_ne_u64_e32 0, v[2:3]
	s_wait_alu 0xfffe
	s_xor_b32 s1, exec_lo, s0
	s_cbranch_execz .LBB7_15
; %bb.14:                               ;   in Loop: Header=BB7_3 Depth=1
	s_ashr_i32 s48, s47, 31
	v_ashrrev_i32_e32 v3, 31, v11
	s_wait_alu 0xfffe
	s_mov_b32 s49, s48
	s_wait_alu 0xfffe
	s_add_nc_u64 s[50:51], s[46:47], s[48:49]
	v_add_co_u32 v12, vcc_lo, v10, v3
	s_wait_alu 0xfffe
	s_xor_b64 s[50:51], s[50:51], s[48:49]
	s_wait_alu 0xfffd
	v_add_co_ci_u32_e64 v13, null, v11, v3, vcc_lo
	s_wait_alu 0xfffe
	s_cvt_f32_u32 s0, s50
	s_cvt_f32_u32 s26, s51
	s_sub_nc_u64 s[54:55], 0, s[50:51]
	v_xor_b32_e32 v22, v12, v3
	v_xor_b32_e32 v23, v13, v3
	s_wait_alu 0xfffe
	s_fmamk_f32 s0, s26, 0x4f800000, s0
	v_xor_b32_e32 v3, s48, v3
	s_wait_alu 0xfffe
	s_delay_alu instid0(SALU_CYCLE_1) | instskip(NEXT) | instid1(TRANS32_DEP_1)
	v_s_rcp_f32 s0, s0
	s_mul_f32 s0, s0, 0x5f7ffffc
	s_wait_alu 0xfffe
	s_delay_alu instid0(SALU_CYCLE_2) | instskip(SKIP_1) | instid1(SALU_CYCLE_2)
	s_mul_f32 s26, s0, 0x2f800000
	s_wait_alu 0xfffe
	s_trunc_f32 s26, s26
	s_wait_alu 0xfffe
	s_delay_alu instid0(SALU_CYCLE_2) | instskip(SKIP_2) | instid1(SALU_CYCLE_1)
	s_fmamk_f32 s0, s26, 0xcf800000, s0
	s_cvt_u32_f32 s53, s26
	s_wait_alu 0xfffe
	s_cvt_u32_f32 s52, s0
	s_wait_alu 0xfffe
	s_delay_alu instid0(SALU_CYCLE_2)
	s_mul_u64 s[56:57], s[54:55], s[52:53]
	s_wait_alu 0xfffe
	s_mul_hi_u32 s59, s52, s57
	s_mul_i32 s58, s52, s57
	s_mul_hi_u32 s26, s52, s56
	s_mul_i32 s45, s53, s56
	s_wait_alu 0xfffe
	s_add_nc_u64 s[58:59], s[26:27], s[58:59]
	s_mul_hi_u32 s0, s53, s56
	s_mul_hi_u32 s49, s53, s57
	s_wait_alu 0xfffe
	s_add_co_u32 s26, s58, s45
	s_add_co_ci_u32 s26, s59, s0
	s_mul_i32 s56, s53, s57
	s_add_co_ci_u32 s57, s49, 0
	s_wait_alu 0xfffe
	s_add_nc_u64 s[56:57], s[26:27], s[56:57]
	s_wait_alu 0xfffe
	s_add_co_u32 s52, s52, s56
	s_cselect_b32 s0, -1, 0
	s_wait_alu 0xfffe
	s_cmp_lg_u32 s0, 0
	s_add_co_ci_u32 s53, s53, s57
	s_wait_alu 0xfffe
	s_mul_u64 s[54:55], s[54:55], s[52:53]
	s_wait_alu 0xfffe
	s_mul_hi_u32 s57, s52, s55
	s_mul_i32 s56, s52, s55
	s_mul_hi_u32 s26, s52, s54
	s_mul_i32 s45, s53, s54
	s_wait_alu 0xfffe
	s_add_nc_u64 s[56:57], s[26:27], s[56:57]
	s_mul_hi_u32 s0, s53, s54
	s_mul_hi_u32 s49, s53, s55
	s_wait_alu 0xfffe
	s_add_co_u32 s26, s56, s45
	s_add_co_ci_u32 s26, s57, s0
	s_mul_i32 s54, s53, s55
	s_add_co_ci_u32 s55, s49, 0
	s_wait_alu 0xfffe
	s_add_nc_u64 s[54:55], s[26:27], s[54:55]
	s_wait_alu 0xfffe
	s_add_co_u32 s0, s52, s54
	s_cselect_b32 s26, -1, 0
	s_wait_alu 0xfffe
	v_mul_hi_u32 v24, v22, s0
	s_cmp_lg_u32 s26, 0
	v_mad_co_u64_u32 v[14:15], null, v23, s0, 0
	s_add_co_ci_u32 s26, s53, s55
	s_wait_alu 0xfffe
	v_mad_co_u64_u32 v[12:13], null, v22, s26, 0
	v_mad_co_u64_u32 v[20:21], null, v23, s26, 0
	s_delay_alu instid0(VALU_DEP_2) | instskip(SKIP_1) | instid1(VALU_DEP_3)
	v_add_co_u32 v12, vcc_lo, v24, v12
	s_wait_alu 0xfffd
	v_add_co_ci_u32_e64 v13, null, 0, v13, vcc_lo
	s_delay_alu instid0(VALU_DEP_2) | instskip(SKIP_1) | instid1(VALU_DEP_2)
	v_add_co_u32 v12, vcc_lo, v12, v14
	s_wait_alu 0xfffd
	v_add_co_ci_u32_e32 v12, vcc_lo, v13, v15, vcc_lo
	s_wait_alu 0xfffd
	v_add_co_ci_u32_e32 v13, vcc_lo, 0, v21, vcc_lo
	s_delay_alu instid0(VALU_DEP_2) | instskip(SKIP_1) | instid1(VALU_DEP_2)
	v_add_co_u32 v14, vcc_lo, v12, v20
	s_wait_alu 0xfffd
	v_add_co_ci_u32_e64 v15, null, 0, v13, vcc_lo
	s_delay_alu instid0(VALU_DEP_2) | instskip(SKIP_1) | instid1(VALU_DEP_3)
	v_mul_lo_u32 v20, s51, v14
	v_mad_co_u64_u32 v[12:13], null, s50, v14, 0
	v_mul_lo_u32 v21, s50, v15
	s_delay_alu instid0(VALU_DEP_2) | instskip(NEXT) | instid1(VALU_DEP_2)
	v_sub_co_u32 v12, vcc_lo, v22, v12
	v_add3_u32 v13, v13, v21, v20
	v_add_co_u32 v21, s0, v14, 2
	s_wait_alu 0xf1ff
	v_add_co_ci_u32_e64 v22, null, 0, v15, s0
	s_delay_alu instid0(VALU_DEP_3) | instskip(SKIP_3) | instid1(VALU_DEP_3)
	v_sub_nc_u32_e32 v20, v23, v13
	v_sub_co_u32 v24, s0, v12, s50
	s_wait_alu 0xfffd
	v_sub_co_ci_u32_e64 v13, null, v23, v13, vcc_lo
	v_subrev_co_ci_u32_e64 v20, null, s51, v20, vcc_lo
	s_delay_alu instid0(VALU_DEP_3) | instskip(SKIP_1) | instid1(VALU_DEP_2)
	v_cmp_le_u32_e32 vcc_lo, s50, v24
	s_wait_alu 0xf1ff
	v_subrev_co_ci_u32_e64 v20, null, 0, v20, s0
	s_wait_alu 0xfffd
	v_cndmask_b32_e64 v23, 0, -1, vcc_lo
	s_delay_alu instid0(VALU_DEP_2)
	v_cmp_le_u32_e32 vcc_lo, s51, v20
	s_wait_alu 0xfffd
	v_cndmask_b32_e64 v24, 0, -1, vcc_lo
	v_cmp_le_u32_e32 vcc_lo, s50, v12
	s_wait_alu 0xfffd
	v_cndmask_b32_e64 v12, 0, -1, vcc_lo
	;; [unrolled: 3-line block ×3, first 2 shown]
	v_cmp_eq_u32_e32 vcc_lo, s51, v20
	s_wait_alu 0xfffd
	v_cndmask_b32_e32 v20, v24, v23, vcc_lo
	v_add_co_u32 v23, vcc_lo, v14, 1
	s_wait_alu 0xfffd
	v_add_co_ci_u32_e64 v24, null, 0, v15, vcc_lo
	v_cmp_eq_u32_e32 vcc_lo, s51, v13
	s_wait_alu 0xfffd
	v_cndmask_b32_e32 v12, v25, v12, vcc_lo
	v_cmp_ne_u32_e32 vcc_lo, 0, v20
	s_wait_alu 0xfffd
	v_cndmask_b32_e32 v13, v24, v22, vcc_lo
	s_delay_alu instid0(VALU_DEP_3) | instskip(SKIP_2) | instid1(VALU_DEP_2)
	v_cmp_ne_u32_e64 s0, 0, v12
	v_cndmask_b32_e32 v12, v23, v21, vcc_lo
	s_wait_alu 0xf1ff
	v_cndmask_b32_e64 v13, v15, v13, s0
	s_delay_alu instid0(VALU_DEP_2) | instskip(NEXT) | instid1(VALU_DEP_2)
	v_cndmask_b32_e64 v12, v14, v12, s0
	v_xor_b32_e32 v13, v13, v3
	s_delay_alu instid0(VALU_DEP_2) | instskip(NEXT) | instid1(VALU_DEP_1)
	v_xor_b32_e32 v12, v12, v3
	v_sub_co_u32 v12, vcc_lo, v12, v3
	s_wait_alu 0xfffd
	s_delay_alu instid0(VALU_DEP_3)
	v_sub_co_ci_u32_e64 v13, null, v13, v3, vcc_lo
.LBB7_15:                               ;   in Loop: Header=BB7_3 Depth=1
	s_wait_alu 0xfffe
	s_and_not1_saveexec_b32 s0, s1
	s_cbranch_execz .LBB7_17
; %bb.16:                               ;   in Loop: Header=BB7_3 Depth=1
	v_cvt_f32_u32_e32 v3, s46
	s_sub_co_i32 s1, 0, s46
	s_delay_alu instid0(VALU_DEP_1) | instskip(NEXT) | instid1(TRANS32_DEP_1)
	v_rcp_iflag_f32_e32 v3, v3
	v_mul_f32_e32 v3, 0x4f7ffffe, v3
	s_delay_alu instid0(VALU_DEP_1) | instskip(SKIP_1) | instid1(VALU_DEP_1)
	v_cvt_u32_f32_e32 v3, v3
	s_wait_alu 0xfffe
	v_mul_lo_u32 v12, s1, v3
	s_delay_alu instid0(VALU_DEP_1) | instskip(NEXT) | instid1(VALU_DEP_1)
	v_mul_hi_u32 v12, v3, v12
	v_add_nc_u32_e32 v3, v3, v12
	s_delay_alu instid0(VALU_DEP_1) | instskip(NEXT) | instid1(VALU_DEP_1)
	v_mul_hi_u32 v3, v10, v3
	v_mul_lo_u32 v12, v3, s46
	v_add_nc_u32_e32 v13, 1, v3
	s_delay_alu instid0(VALU_DEP_2) | instskip(NEXT) | instid1(VALU_DEP_1)
	v_sub_nc_u32_e32 v12, v10, v12
	v_subrev_nc_u32_e32 v14, s46, v12
	v_cmp_le_u32_e32 vcc_lo, s46, v12
	s_wait_alu 0xfffd
	s_delay_alu instid0(VALU_DEP_2) | instskip(NEXT) | instid1(VALU_DEP_1)
	v_dual_cndmask_b32 v12, v12, v14 :: v_dual_cndmask_b32 v3, v3, v13
	v_cmp_le_u32_e32 vcc_lo, s46, v12
	s_delay_alu instid0(VALU_DEP_2) | instskip(SKIP_1) | instid1(VALU_DEP_1)
	v_add_nc_u32_e32 v13, 1, v3
	s_wait_alu 0xfffd
	v_dual_cndmask_b32 v12, v3, v13 :: v_dual_mov_b32 v13, v2
.LBB7_17:                               ;   in Loop: Header=BB7_3 Depth=1
	s_wait_alu 0xfffe
	s_or_b32 exec_lo, exec_lo, s0
	s_delay_alu instid0(VALU_DEP_1) | instskip(NEXT) | instid1(VALU_DEP_2)
	v_mul_lo_u32 v3, v13, s46
	v_mul_lo_u32 v20, v12, s47
	s_load_b64 s[0:1], s[38:39], 0xd0
	v_mad_co_u64_u32 v[14:15], null, v12, s46, 0
	s_load_b64 s[46:47], s[40:41], 0xd0
	v_add3_u32 v3, v15, v20, v3
	v_sub_co_u32 v10, vcc_lo, v10, v14
	s_wait_alu 0xfffd
	s_delay_alu instid0(VALU_DEP_2) | instskip(SKIP_1) | instid1(VALU_DEP_1)
	v_sub_co_ci_u32_e64 v3, null, v11, v3, vcc_lo
	s_wait_kmcnt 0x0
	v_mul_lo_u32 v11, s0, v3
	v_mul_lo_u32 v14, s1, v10
	v_mad_co_u64_u32 v[8:9], null, s0, v10, v[8:9]
	v_mul_lo_u32 v3, s46, v3
	v_mul_lo_u32 v15, s47, v10
	v_mad_co_u64_u32 v[6:7], null, s46, v10, v[6:7]
	s_mov_b64 s[0:1], s[36:37]
	v_add3_u32 v9, v14, v9, v11
	v_dual_mov_b32 v10, v12 :: v_dual_mov_b32 v11, v13
	v_add3_u32 v7, v15, v7, v3
	s_and_not1_b32 vcc_lo, exec_lo, s65
	s_wait_alu 0xfffe
	s_cbranch_vccz .LBB7_19
	s_branch .LBB7_29
.LBB7_18:                               ;   in Loop: Header=BB7_3 Depth=1
	s_mov_b64 s[0:1], s[34:35]
	s_and_not1_b32 vcc_lo, exec_lo, s65
	s_wait_alu 0xfffe
	s_cbranch_vccnz .LBB7_29
.LBB7_19:                               ;   in Loop: Header=BB7_3 Depth=1
	s_lshl_b64 s[48:49], s[0:1], 3
	s_add_nc_u64 s[50:51], s[0:1], 1
	s_wait_alu 0xfffe
	s_add_nc_u64 s[46:47], s[42:43], s[48:49]
	s_add_nc_u64 s[48:49], s[20:21], s[48:49]
	s_branch .LBB7_21
.LBB7_20:                               ;   in Loop: Header=BB7_21 Depth=2
	s_wait_alu 0xfffe
	s_or_b32 exec_lo, exec_lo, s0
	v_mul_lo_u32 v3, v13, s52
	v_mul_lo_u32 v24, v12, s53
	v_mad_co_u64_u32 v[20:21], null, v12, s52, 0
	s_load_b64 s[0:1], s[48:49], 0xc8
	s_load_b64 s[52:53], s[46:47], 0x0
	v_mul_lo_u32 v25, v15, s58
	v_mul_lo_u32 v26, v14, s59
	v_mad_co_u64_u32 v[22:23], null, v14, s58, 0
	v_add3_u32 v3, v21, v24, v3
	v_sub_co_u32 v10, vcc_lo, v10, v20
	s_add_nc_u64 s[50:51], s[50:51], -2
	s_add_nc_u64 s[46:47], s[46:47], -16
	s_wait_alu 0xfffd
	v_sub_co_ci_u32_e64 v3, null, v11, v3, vcc_lo
	v_mul_lo_u32 v11, s57, v10
	v_mad_co_u64_u32 v[8:9], null, s56, v10, v[8:9]
	s_delay_alu instid0(VALU_DEP_3)
	v_mul_lo_u32 v20, s56, v3
	v_mul_lo_u32 v21, s55, v10
	v_mad_co_u64_u32 v[6:7], null, s54, v10, v[6:7]
	v_mul_lo_u32 v3, s54, v3
	v_add3_u32 v10, v23, v26, v25
	s_wait_alu 0xfffe
	s_cmp_eq_u64 s[50:51], 0
	s_add_nc_u64 s[48:49], s[48:49], -16
	v_add3_u32 v9, v11, v9, v20
	v_sub_co_u32 v11, vcc_lo, v12, v22
	s_wait_alu 0xfffd
	v_sub_co_ci_u32_e64 v10, null, v13, v10, vcc_lo
	v_add3_u32 v7, v21, v7, v3
	s_wait_kmcnt 0x0
	v_mad_co_u64_u32 v[8:9], null, s0, v11, v[8:9]
	s_delay_alu instid0(VALU_DEP_3) | instskip(SKIP_4) | instid1(VALU_DEP_4)
	v_mul_lo_u32 v3, s0, v10
	v_mul_lo_u32 v12, s1, v11
	;; [unrolled: 1-line block ×4, first 2 shown]
	v_mad_co_u64_u32 v[6:7], null, s52, v11, v[6:7]
	v_add3_u32 v9, v12, v9, v3
	s_delay_alu instid0(VALU_DEP_2)
	v_add3_u32 v7, v13, v7, v10
	v_dual_mov_b32 v10, v14 :: v_dual_mov_b32 v11, v15
	s_cbranch_scc1 .LBB7_29
.LBB7_21:                               ;   Parent Loop BB7_3 Depth=1
                                        ; =>  This Inner Loop Header: Depth=2
	s_load_b64 s[52:53], s[48:49], 0x8
                                        ; implicit-def: $vgpr12_vgpr13
	s_mov_b32 s0, exec_lo
	s_wait_kmcnt 0x0
	v_or_b32_e32 v3, s53, v11
	s_delay_alu instid0(VALU_DEP_1)
	v_cmpx_ne_u64_e32 0, v[2:3]
	s_wait_alu 0xfffe
	s_xor_b32 s1, exec_lo, s0
	s_cbranch_execz .LBB7_23
; %bb.22:                               ;   in Loop: Header=BB7_21 Depth=2
	s_ashr_i32 s54, s53, 31
	v_ashrrev_i32_e32 v3, 31, v11
	s_wait_alu 0xfffe
	s_mov_b32 s55, s54
	s_wait_alu 0xfffe
	s_add_nc_u64 s[56:57], s[52:53], s[54:55]
	v_add_co_u32 v12, vcc_lo, v10, v3
	s_wait_alu 0xfffe
	s_xor_b64 s[56:57], s[56:57], s[54:55]
	s_wait_alu 0xfffd
	v_add_co_ci_u32_e64 v13, null, v11, v3, vcc_lo
	s_wait_alu 0xfffe
	s_cvt_f32_u32 s0, s56
	s_cvt_f32_u32 s26, s57
	s_sub_nc_u64 s[60:61], 0, s[56:57]
	v_xor_b32_e32 v22, v12, v3
	v_xor_b32_e32 v23, v13, v3
	s_wait_alu 0xfffe
	s_fmamk_f32 s0, s26, 0x4f800000, s0
	v_xor_b32_e32 v3, s54, v3
	s_wait_alu 0xfffe
	s_delay_alu instid0(SALU_CYCLE_1) | instskip(NEXT) | instid1(TRANS32_DEP_1)
	v_s_rcp_f32 s0, s0
	s_mul_f32 s0, s0, 0x5f7ffffc
	s_wait_alu 0xfffe
	s_delay_alu instid0(SALU_CYCLE_2) | instskip(SKIP_1) | instid1(SALU_CYCLE_2)
	s_mul_f32 s26, s0, 0x2f800000
	s_wait_alu 0xfffe
	s_trunc_f32 s26, s26
	s_wait_alu 0xfffe
	s_delay_alu instid0(SALU_CYCLE_2) | instskip(SKIP_2) | instid1(SALU_CYCLE_1)
	s_fmamk_f32 s0, s26, 0xcf800000, s0
	s_cvt_u32_f32 s59, s26
	s_wait_alu 0xfffe
	s_cvt_u32_f32 s58, s0
	s_wait_alu 0xfffe
	s_delay_alu instid0(SALU_CYCLE_2)
	s_mul_u64 s[62:63], s[60:61], s[58:59]
	s_wait_alu 0xfffe
	s_mul_hi_u32 s69, s58, s63
	s_mul_i32 s68, s58, s63
	s_mul_hi_u32 s26, s58, s62
	s_mul_i32 s45, s59, s62
	s_wait_alu 0xfffe
	s_add_nc_u64 s[68:69], s[26:27], s[68:69]
	s_mul_hi_u32 s0, s59, s62
	s_mul_hi_u32 s55, s59, s63
	s_add_co_u32 s26, s68, s45
	s_wait_alu 0xfffe
	s_add_co_ci_u32 s26, s69, s0
	s_mul_i32 s62, s59, s63
	s_add_co_ci_u32 s63, s55, 0
	s_wait_alu 0xfffe
	s_add_nc_u64 s[62:63], s[26:27], s[62:63]
	s_wait_alu 0xfffe
	s_add_co_u32 s58, s58, s62
	s_cselect_b32 s0, -1, 0
	s_wait_alu 0xfffe
	s_cmp_lg_u32 s0, 0
	s_add_co_ci_u32 s59, s59, s63
	s_wait_alu 0xfffe
	s_mul_u64 s[60:61], s[60:61], s[58:59]
	s_wait_alu 0xfffe
	s_mul_hi_u32 s63, s58, s61
	s_mul_i32 s62, s58, s61
	s_mul_hi_u32 s26, s58, s60
	s_mul_i32 s45, s59, s60
	s_wait_alu 0xfffe
	s_add_nc_u64 s[62:63], s[26:27], s[62:63]
	s_mul_hi_u32 s0, s59, s60
	s_mul_hi_u32 s55, s59, s61
	s_wait_alu 0xfffe
	s_add_co_u32 s26, s62, s45
	s_add_co_ci_u32 s26, s63, s0
	s_mul_i32 s60, s59, s61
	s_add_co_ci_u32 s61, s55, 0
	s_wait_alu 0xfffe
	s_add_nc_u64 s[60:61], s[26:27], s[60:61]
	s_wait_alu 0xfffe
	s_add_co_u32 s0, s58, s60
	s_cselect_b32 s26, -1, 0
	s_wait_alu 0xfffe
	v_mul_hi_u32 v24, v22, s0
	s_cmp_lg_u32 s26, 0
	v_mad_co_u64_u32 v[14:15], null, v23, s0, 0
	s_add_co_ci_u32 s26, s59, s61
	s_wait_alu 0xfffe
	v_mad_co_u64_u32 v[12:13], null, v22, s26, 0
	v_mad_co_u64_u32 v[20:21], null, v23, s26, 0
	s_delay_alu instid0(VALU_DEP_2) | instskip(SKIP_1) | instid1(VALU_DEP_3)
	v_add_co_u32 v12, vcc_lo, v24, v12
	s_wait_alu 0xfffd
	v_add_co_ci_u32_e64 v13, null, 0, v13, vcc_lo
	s_delay_alu instid0(VALU_DEP_2) | instskip(SKIP_1) | instid1(VALU_DEP_2)
	v_add_co_u32 v12, vcc_lo, v12, v14
	s_wait_alu 0xfffd
	v_add_co_ci_u32_e32 v12, vcc_lo, v13, v15, vcc_lo
	s_wait_alu 0xfffd
	v_add_co_ci_u32_e32 v13, vcc_lo, 0, v21, vcc_lo
	s_delay_alu instid0(VALU_DEP_2) | instskip(SKIP_1) | instid1(VALU_DEP_2)
	v_add_co_u32 v14, vcc_lo, v12, v20
	s_wait_alu 0xfffd
	v_add_co_ci_u32_e64 v15, null, 0, v13, vcc_lo
	s_delay_alu instid0(VALU_DEP_2) | instskip(SKIP_1) | instid1(VALU_DEP_3)
	v_mul_lo_u32 v20, s57, v14
	v_mad_co_u64_u32 v[12:13], null, s56, v14, 0
	v_mul_lo_u32 v21, s56, v15
	s_delay_alu instid0(VALU_DEP_2) | instskip(NEXT) | instid1(VALU_DEP_2)
	v_sub_co_u32 v12, vcc_lo, v22, v12
	v_add3_u32 v13, v13, v21, v20
	v_add_co_u32 v21, s0, v14, 2
	s_wait_alu 0xf1ff
	v_add_co_ci_u32_e64 v22, null, 0, v15, s0
	s_delay_alu instid0(VALU_DEP_3) | instskip(SKIP_3) | instid1(VALU_DEP_3)
	v_sub_nc_u32_e32 v20, v23, v13
	v_sub_co_u32 v24, s0, v12, s56
	s_wait_alu 0xfffd
	v_sub_co_ci_u32_e64 v13, null, v23, v13, vcc_lo
	v_subrev_co_ci_u32_e64 v20, null, s57, v20, vcc_lo
	s_delay_alu instid0(VALU_DEP_3) | instskip(SKIP_1) | instid1(VALU_DEP_2)
	v_cmp_le_u32_e32 vcc_lo, s56, v24
	s_wait_alu 0xf1ff
	v_subrev_co_ci_u32_e64 v20, null, 0, v20, s0
	s_wait_alu 0xfffd
	v_cndmask_b32_e64 v23, 0, -1, vcc_lo
	s_delay_alu instid0(VALU_DEP_2)
	v_cmp_le_u32_e32 vcc_lo, s57, v20
	s_wait_alu 0xfffd
	v_cndmask_b32_e64 v24, 0, -1, vcc_lo
	v_cmp_le_u32_e32 vcc_lo, s56, v12
	s_wait_alu 0xfffd
	v_cndmask_b32_e64 v12, 0, -1, vcc_lo
	v_cmp_le_u32_e32 vcc_lo, s57, v13
	s_wait_alu 0xfffd
	v_cndmask_b32_e64 v25, 0, -1, vcc_lo
	v_cmp_eq_u32_e32 vcc_lo, s57, v20
	s_wait_alu 0xfffd
	v_cndmask_b32_e32 v20, v24, v23, vcc_lo
	v_add_co_u32 v23, vcc_lo, v14, 1
	s_wait_alu 0xfffd
	v_add_co_ci_u32_e64 v24, null, 0, v15, vcc_lo
	v_cmp_eq_u32_e32 vcc_lo, s57, v13
	s_wait_alu 0xfffd
	v_cndmask_b32_e32 v12, v25, v12, vcc_lo
	v_cmp_ne_u32_e32 vcc_lo, 0, v20
	s_wait_alu 0xfffd
	v_cndmask_b32_e32 v13, v24, v22, vcc_lo
	s_delay_alu instid0(VALU_DEP_3) | instskip(SKIP_2) | instid1(VALU_DEP_2)
	v_cmp_ne_u32_e64 s0, 0, v12
	v_cndmask_b32_e32 v12, v23, v21, vcc_lo
	s_wait_alu 0xf1ff
	v_cndmask_b32_e64 v13, v15, v13, s0
	s_delay_alu instid0(VALU_DEP_2) | instskip(NEXT) | instid1(VALU_DEP_2)
	v_cndmask_b32_e64 v12, v14, v12, s0
	v_xor_b32_e32 v13, v13, v3
	s_delay_alu instid0(VALU_DEP_2) | instskip(NEXT) | instid1(VALU_DEP_1)
	v_xor_b32_e32 v12, v12, v3
	v_sub_co_u32 v12, vcc_lo, v12, v3
	s_wait_alu 0xfffd
	s_delay_alu instid0(VALU_DEP_3)
	v_sub_co_ci_u32_e64 v13, null, v13, v3, vcc_lo
.LBB7_23:                               ;   in Loop: Header=BB7_21 Depth=2
	s_wait_alu 0xfffe
	s_and_not1_saveexec_b32 s0, s1
	s_cbranch_execz .LBB7_25
; %bb.24:                               ;   in Loop: Header=BB7_21 Depth=2
	v_cvt_f32_u32_e32 v3, s52
	s_sub_co_i32 s1, 0, s52
	s_delay_alu instid0(VALU_DEP_1) | instskip(NEXT) | instid1(TRANS32_DEP_1)
	v_rcp_iflag_f32_e32 v3, v3
	v_mul_f32_e32 v3, 0x4f7ffffe, v3
	s_delay_alu instid0(VALU_DEP_1) | instskip(SKIP_1) | instid1(VALU_DEP_1)
	v_cvt_u32_f32_e32 v3, v3
	s_wait_alu 0xfffe
	v_mul_lo_u32 v12, s1, v3
	s_delay_alu instid0(VALU_DEP_1) | instskip(NEXT) | instid1(VALU_DEP_1)
	v_mul_hi_u32 v12, v3, v12
	v_add_nc_u32_e32 v3, v3, v12
	s_delay_alu instid0(VALU_DEP_1) | instskip(NEXT) | instid1(VALU_DEP_1)
	v_mul_hi_u32 v3, v10, v3
	v_mul_lo_u32 v12, v3, s52
	v_add_nc_u32_e32 v13, 1, v3
	s_delay_alu instid0(VALU_DEP_2) | instskip(NEXT) | instid1(VALU_DEP_1)
	v_sub_nc_u32_e32 v12, v10, v12
	v_subrev_nc_u32_e32 v14, s52, v12
	v_cmp_le_u32_e32 vcc_lo, s52, v12
	s_wait_alu 0xfffd
	s_delay_alu instid0(VALU_DEP_2) | instskip(NEXT) | instid1(VALU_DEP_1)
	v_dual_cndmask_b32 v12, v12, v14 :: v_dual_cndmask_b32 v3, v3, v13
	v_cmp_le_u32_e32 vcc_lo, s52, v12
	s_delay_alu instid0(VALU_DEP_2) | instskip(SKIP_1) | instid1(VALU_DEP_1)
	v_add_nc_u32_e32 v13, 1, v3
	s_wait_alu 0xfffd
	v_dual_cndmask_b32 v12, v3, v13 :: v_dual_mov_b32 v13, v2
.LBB7_25:                               ;   in Loop: Header=BB7_21 Depth=2
	s_wait_alu 0xfffe
	s_or_b32 exec_lo, exec_lo, s0
	s_clause 0x1
	s_load_b64 s[58:59], s[48:49], 0x0
	s_load_b64 s[56:57], s[48:49], 0xd0
	;; [unrolled: 1-line block ×3, first 2 shown]
                                        ; implicit-def: $vgpr14_vgpr15
	s_mov_b32 s0, exec_lo
	s_wait_kmcnt 0x0
	v_or_b32_e32 v3, s59, v13
	s_delay_alu instid0(VALU_DEP_1)
	v_cmpx_ne_u64_e32 0, v[2:3]
	s_wait_alu 0xfffe
	s_xor_b32 s1, exec_lo, s0
	s_cbranch_execz .LBB7_27
; %bb.26:                               ;   in Loop: Header=BB7_21 Depth=2
	s_ashr_i32 s60, s59, 31
	v_ashrrev_i32_e32 v3, 31, v13
	s_wait_alu 0xfffe
	s_mov_b32 s61, s60
	s_wait_alu 0xfffe
	s_add_nc_u64 s[62:63], s[58:59], s[60:61]
	v_add_co_u32 v14, vcc_lo, v12, v3
	s_wait_alu 0xfffe
	s_xor_b64 s[62:63], s[62:63], s[60:61]
	s_wait_alu 0xfffd
	v_add_co_ci_u32_e64 v15, null, v13, v3, vcc_lo
	s_wait_alu 0xfffe
	s_cvt_f32_u32 s0, s62
	s_cvt_f32_u32 s26, s63
	s_sub_nc_u64 s[70:71], 0, s[62:63]
	v_xor_b32_e32 v24, v14, v3
	v_xor_b32_e32 v25, v15, v3
	s_wait_alu 0xfffe
	s_fmamk_f32 s0, s26, 0x4f800000, s0
	v_xor_b32_e32 v3, s60, v3
	s_wait_alu 0xfffe
	s_delay_alu instid0(SALU_CYCLE_1) | instskip(NEXT) | instid1(TRANS32_DEP_1)
	v_s_rcp_f32 s0, s0
	s_mul_f32 s0, s0, 0x5f7ffffc
	s_wait_alu 0xfffe
	s_delay_alu instid0(SALU_CYCLE_2) | instskip(SKIP_1) | instid1(SALU_CYCLE_2)
	s_mul_f32 s26, s0, 0x2f800000
	s_wait_alu 0xfffe
	s_trunc_f32 s26, s26
	s_wait_alu 0xfffe
	s_delay_alu instid0(SALU_CYCLE_2) | instskip(SKIP_2) | instid1(SALU_CYCLE_1)
	s_fmamk_f32 s0, s26, 0xcf800000, s0
	s_cvt_u32_f32 s69, s26
	s_wait_alu 0xfffe
	s_cvt_u32_f32 s68, s0
	s_delay_alu instid0(SALU_CYCLE_3) | instskip(NEXT) | instid1(SALU_CYCLE_1)
	s_mul_u64 s[72:73], s[70:71], s[68:69]
	s_mul_hi_u32 s75, s68, s73
	s_mul_i32 s74, s68, s73
	s_mul_hi_u32 s26, s68, s72
	s_mul_i32 s45, s69, s72
	s_wait_alu 0xfffe
	s_add_nc_u64 s[74:75], s[26:27], s[74:75]
	s_mul_hi_u32 s0, s69, s72
	s_mul_hi_u32 s61, s69, s73
	s_add_co_u32 s26, s74, s45
	s_wait_alu 0xfffe
	s_add_co_ci_u32 s26, s75, s0
	s_mul_i32 s72, s69, s73
	s_add_co_ci_u32 s73, s61, 0
	s_wait_alu 0xfffe
	s_add_nc_u64 s[72:73], s[26:27], s[72:73]
	s_delay_alu instid0(SALU_CYCLE_1) | instskip(SKIP_4) | instid1(SALU_CYCLE_1)
	s_add_co_u32 s68, s68, s72
	s_cselect_b32 s0, -1, 0
	s_wait_alu 0xfffe
	s_cmp_lg_u32 s0, 0
	s_add_co_ci_u32 s69, s69, s73
	s_mul_u64 s[70:71], s[70:71], s[68:69]
	s_delay_alu instid0(SALU_CYCLE_1)
	s_mul_hi_u32 s73, s68, s71
	s_mul_i32 s72, s68, s71
	s_mul_hi_u32 s26, s68, s70
	s_mul_i32 s45, s69, s70
	s_wait_alu 0xfffe
	s_add_nc_u64 s[72:73], s[26:27], s[72:73]
	s_mul_hi_u32 s0, s69, s70
	s_mul_hi_u32 s61, s69, s71
	s_add_co_u32 s26, s72, s45
	s_wait_alu 0xfffe
	s_add_co_ci_u32 s26, s73, s0
	s_mul_i32 s70, s69, s71
	s_add_co_ci_u32 s71, s61, 0
	s_wait_alu 0xfffe
	s_add_nc_u64 s[70:71], s[26:27], s[70:71]
	s_delay_alu instid0(SALU_CYCLE_1)
	s_add_co_u32 s0, s68, s70
	s_cselect_b32 s26, -1, 0
	s_wait_alu 0xfffe
	v_mul_hi_u32 v26, v24, s0
	s_cmp_lg_u32 s26, 0
	v_mad_co_u64_u32 v[20:21], null, v25, s0, 0
	s_add_co_ci_u32 s26, s69, s71
	s_wait_alu 0xfffe
	v_mad_co_u64_u32 v[14:15], null, v24, s26, 0
	v_mad_co_u64_u32 v[22:23], null, v25, s26, 0
	s_delay_alu instid0(VALU_DEP_2) | instskip(SKIP_1) | instid1(VALU_DEP_3)
	v_add_co_u32 v14, vcc_lo, v26, v14
	s_wait_alu 0xfffd
	v_add_co_ci_u32_e64 v15, null, 0, v15, vcc_lo
	s_delay_alu instid0(VALU_DEP_2) | instskip(SKIP_1) | instid1(VALU_DEP_2)
	v_add_co_u32 v14, vcc_lo, v14, v20
	s_wait_alu 0xfffd
	v_add_co_ci_u32_e32 v14, vcc_lo, v15, v21, vcc_lo
	s_wait_alu 0xfffd
	v_add_co_ci_u32_e32 v15, vcc_lo, 0, v23, vcc_lo
	s_delay_alu instid0(VALU_DEP_2) | instskip(SKIP_1) | instid1(VALU_DEP_2)
	v_add_co_u32 v20, vcc_lo, v14, v22
	s_wait_alu 0xfffd
	v_add_co_ci_u32_e64 v21, null, 0, v15, vcc_lo
	s_delay_alu instid0(VALU_DEP_2) | instskip(SKIP_1) | instid1(VALU_DEP_3)
	v_mul_lo_u32 v22, s63, v20
	v_mad_co_u64_u32 v[14:15], null, s62, v20, 0
	v_mul_lo_u32 v23, s62, v21
	s_delay_alu instid0(VALU_DEP_2) | instskip(NEXT) | instid1(VALU_DEP_2)
	v_sub_co_u32 v14, vcc_lo, v24, v14
	v_add3_u32 v15, v15, v23, v22
	v_add_co_u32 v23, s0, v20, 2
	s_wait_alu 0xf1ff
	v_add_co_ci_u32_e64 v24, null, 0, v21, s0
	s_delay_alu instid0(VALU_DEP_3) | instskip(SKIP_3) | instid1(VALU_DEP_3)
	v_sub_nc_u32_e32 v22, v25, v15
	v_sub_co_u32 v26, s0, v14, s62
	s_wait_alu 0xfffd
	v_sub_co_ci_u32_e64 v15, null, v25, v15, vcc_lo
	v_subrev_co_ci_u32_e64 v22, null, s63, v22, vcc_lo
	s_delay_alu instid0(VALU_DEP_3) | instskip(SKIP_1) | instid1(VALU_DEP_2)
	v_cmp_le_u32_e32 vcc_lo, s62, v26
	s_wait_alu 0xf1ff
	v_subrev_co_ci_u32_e64 v22, null, 0, v22, s0
	s_wait_alu 0xfffd
	v_cndmask_b32_e64 v25, 0, -1, vcc_lo
	s_delay_alu instid0(VALU_DEP_2)
	v_cmp_le_u32_e32 vcc_lo, s63, v22
	s_wait_alu 0xfffd
	v_cndmask_b32_e64 v26, 0, -1, vcc_lo
	v_cmp_le_u32_e32 vcc_lo, s62, v14
	s_wait_alu 0xfffd
	v_cndmask_b32_e64 v14, 0, -1, vcc_lo
	;; [unrolled: 3-line block ×3, first 2 shown]
	v_cmp_eq_u32_e32 vcc_lo, s63, v22
	s_wait_alu 0xfffd
	v_cndmask_b32_e32 v22, v26, v25, vcc_lo
	v_add_co_u32 v25, vcc_lo, v20, 1
	s_wait_alu 0xfffd
	v_add_co_ci_u32_e64 v26, null, 0, v21, vcc_lo
	v_cmp_eq_u32_e32 vcc_lo, s63, v15
	s_wait_alu 0xfffd
	v_cndmask_b32_e32 v14, v27, v14, vcc_lo
	v_cmp_ne_u32_e32 vcc_lo, 0, v22
	s_wait_alu 0xfffd
	v_cndmask_b32_e32 v15, v26, v24, vcc_lo
	s_delay_alu instid0(VALU_DEP_3) | instskip(SKIP_2) | instid1(VALU_DEP_2)
	v_cmp_ne_u32_e64 s0, 0, v14
	v_cndmask_b32_e32 v14, v25, v23, vcc_lo
	s_wait_alu 0xf1ff
	v_cndmask_b32_e64 v15, v21, v15, s0
	s_delay_alu instid0(VALU_DEP_2) | instskip(NEXT) | instid1(VALU_DEP_2)
	v_cndmask_b32_e64 v14, v20, v14, s0
	v_xor_b32_e32 v15, v15, v3
	s_delay_alu instid0(VALU_DEP_2) | instskip(NEXT) | instid1(VALU_DEP_1)
	v_xor_b32_e32 v14, v14, v3
	v_sub_co_u32 v14, vcc_lo, v14, v3
	s_wait_alu 0xfffd
	s_delay_alu instid0(VALU_DEP_3)
	v_sub_co_ci_u32_e64 v15, null, v15, v3, vcc_lo
.LBB7_27:                               ;   in Loop: Header=BB7_21 Depth=2
	s_wait_alu 0xfffe
	s_and_not1_saveexec_b32 s0, s1
	s_cbranch_execz .LBB7_20
; %bb.28:                               ;   in Loop: Header=BB7_21 Depth=2
	v_cvt_f32_u32_e32 v3, s58
	s_sub_co_i32 s1, 0, s58
	s_delay_alu instid0(VALU_DEP_1) | instskip(NEXT) | instid1(TRANS32_DEP_1)
	v_rcp_iflag_f32_e32 v3, v3
	v_mul_f32_e32 v3, 0x4f7ffffe, v3
	s_delay_alu instid0(VALU_DEP_1) | instskip(SKIP_1) | instid1(VALU_DEP_1)
	v_cvt_u32_f32_e32 v3, v3
	s_wait_alu 0xfffe
	v_mul_lo_u32 v14, s1, v3
	s_delay_alu instid0(VALU_DEP_1) | instskip(NEXT) | instid1(VALU_DEP_1)
	v_mul_hi_u32 v14, v3, v14
	v_add_nc_u32_e32 v3, v3, v14
	s_delay_alu instid0(VALU_DEP_1) | instskip(NEXT) | instid1(VALU_DEP_1)
	v_mul_hi_u32 v3, v12, v3
	v_mul_lo_u32 v14, v3, s58
	v_add_nc_u32_e32 v15, 1, v3
	s_delay_alu instid0(VALU_DEP_2) | instskip(NEXT) | instid1(VALU_DEP_1)
	v_sub_nc_u32_e32 v14, v12, v14
	v_subrev_nc_u32_e32 v20, s58, v14
	v_cmp_le_u32_e32 vcc_lo, s58, v14
	s_wait_alu 0xfffd
	s_delay_alu instid0(VALU_DEP_2) | instskip(NEXT) | instid1(VALU_DEP_1)
	v_dual_cndmask_b32 v14, v14, v20 :: v_dual_cndmask_b32 v3, v3, v15
	v_cmp_le_u32_e32 vcc_lo, s58, v14
	s_delay_alu instid0(VALU_DEP_2) | instskip(SKIP_1) | instid1(VALU_DEP_1)
	v_add_nc_u32_e32 v15, 1, v3
	s_wait_alu 0xfffd
	v_dual_cndmask_b32 v14, v3, v15 :: v_dual_mov_b32 v15, v2
	s_branch .LBB7_20
.LBB7_29:                               ;   in Loop: Header=BB7_3 Depth=1
	v_sub_co_u32 v10, vcc_lo, v4, v18
	s_wait_alu 0xfffd
	v_sub_co_ci_u32_e64 v11, null, v5, v19, vcc_lo
	v_mov_b32_e32 v12, 0
	s_mov_b32 s0, exec_lo
	s_delay_alu instid0(VALU_DEP_2)
	v_cmpx_ge_i64_e64 s[4:5], v[10:11]
	s_cbranch_execz .LBB7_39
; %bb.30:                               ;   in Loop: Header=BB7_3 Depth=1
	v_mov_b32_e32 v3, 0
	s_mov_b32 s1, exec_lo
	v_cmpx_gt_i64_e64 s[10:11], v[4:5]
	s_cbranch_execz .LBB7_38
; %bb.31:                               ;   in Loop: Header=BB7_3 Depth=1
	v_add_co_u32 v8, vcc_lo, s2, v8
	s_wait_alu 0xfffd
	v_add_co_ci_u32_e64 v9, null, s3, v9, vcc_lo
	v_add_co_u32 v12, vcc_lo, v4, 1
	s_wait_alu 0xfffd
	v_add_co_ci_u32_e64 v13, null, 0, v5, vcc_lo
	global_load_u8 v3, v[8:9], off
	s_mov_b32 s26, exec_lo
	v_cmpx_gt_i64_e64 s[10:11], v[12:13]
	s_wait_alu 0xfffe
	s_xor_b32 s26, exec_lo, s26
	s_cbranch_execz .LBB7_37
; %bb.32:                               ;   in Loop: Header=BB7_3 Depth=1
	v_add_co_u32 v8, vcc_lo, v8, s14
	s_wait_alu 0xfffd
	v_add_co_ci_u32_e64 v9, null, s15, v9, vcc_lo
	s_mov_b32 s45, exec_lo
	global_load_u8 v12, v[8:9], off
	s_wait_loadcnt 0x0
	v_lshlrev_b16 v14, 8, v12
	v_add_co_u32 v12, vcc_lo, v4, 2
	s_wait_alu 0xfffd
	v_add_co_ci_u32_e64 v13, null, 0, v5, vcc_lo
	s_delay_alu instid0(VALU_DEP_3) | instskip(NEXT) | instid1(VALU_DEP_1)
	v_or_b32_e32 v3, v3, v14
	v_and_b32_e32 v3, 0xffff, v3
	s_delay_alu instid0(VALU_DEP_3)
	v_cmpx_gt_i64_e64 s[10:11], v[12:13]
	s_wait_alu 0xfffe
	s_xor_b32 s45, exec_lo, s45
	s_cbranch_execz .LBB7_36
; %bb.33:                               ;   in Loop: Header=BB7_3 Depth=1
	v_add_co_u32 v8, vcc_lo, v8, s14
	s_wait_alu 0xfffd
	v_add_co_ci_u32_e64 v9, null, s15, v9, vcc_lo
	v_add_co_u32 v12, vcc_lo, v4, 3
	s_wait_alu 0xfffd
	v_add_co_ci_u32_e64 v13, null, 0, v5, vcc_lo
	global_load_u8 v14, v[8:9], off
	s_mov_b32 s46, exec_lo
	s_wait_loadcnt 0x0
	v_lshl_or_b32 v3, v14, 16, v3
	v_cmpx_gt_i64_e64 s[10:11], v[12:13]
	s_wait_alu 0xfffe
	s_xor_b32 s46, exec_lo, s46
	s_cbranch_execz .LBB7_35
; %bb.34:                               ;   in Loop: Header=BB7_3 Depth=1
	v_add_co_u32 v8, vcc_lo, v8, s14
	s_wait_alu 0xfffd
	v_add_co_ci_u32_e64 v9, null, s15, v9, vcc_lo
	global_load_u8 v8, v[8:9], off
	v_lshrrev_b32_e32 v9, 16, v3
	s_wait_loadcnt 0x0
	v_lshlrev_b16 v8, 8, v8
	s_delay_alu instid0(VALU_DEP_1) | instskip(NEXT) | instid1(VALU_DEP_1)
	v_or_b32_e32 v8, v9, v8
	v_lshlrev_b32_e32 v8, 16, v8
	s_delay_alu instid0(VALU_DEP_1)
	v_and_or_b32 v3, 0xffff, v3, v8
.LBB7_35:                               ;   in Loop: Header=BB7_3 Depth=1
	s_wait_alu 0xfffe
	s_or_b32 exec_lo, exec_lo, s46
.LBB7_36:                               ;   in Loop: Header=BB7_3 Depth=1
	s_wait_alu 0xfffe
	s_or_b32 exec_lo, exec_lo, s45
.LBB7_37:                               ;   in Loop: Header=BB7_3 Depth=1
	s_wait_alu 0xfffe
	s_or_b32 exec_lo, exec_lo, s26
.LBB7_38:                               ;   in Loop: Header=BB7_3 Depth=1
	s_wait_alu 0xfffe
	s_or_b32 exec_lo, exec_lo, s1
	v_add_co_u32 v8, vcc_lo, v10, 1
	s_wait_alu 0xfffd
	v_add_co_ci_u32_e64 v9, null, 0, v11, vcc_lo
	v_add_co_u32 v12, vcc_lo, v10, 3
	s_wait_alu 0xfffd
	v_add_co_ci_u32_e64 v13, null, 0, v11, vcc_lo
	;; [unrolled: 3-line block ×3, first 2 shown]
	v_cmp_ge_i64_e32 vcc_lo, s[4:5], v[8:9]
	s_wait_loadcnt 0x0
	v_lshrrev_b32_e32 v15, 8, v3
	v_lshrrev_b32_e32 v18, 24, v3
	;; [unrolled: 1-line block ×3, first 2 shown]
	v_and_b32_e32 v3, 0xff, v3
	s_wait_alu 0xfffd
	v_cndmask_b32_e32 v8, 0, v15, vcc_lo
	v_cmp_ge_i64_e32 vcc_lo, s[30:31], v[12:13]
	s_wait_alu 0xfffd
	v_cndmask_b32_e32 v9, 0, v18, vcc_lo
	v_cmp_ge_i64_e32 vcc_lo, s[28:29], v[10:11]
	v_lshlrev_b16 v8, 8, v8
	s_delay_alu instid0(VALU_DEP_3) | instskip(SKIP_2) | instid1(VALU_DEP_3)
	v_lshlrev_b16 v9, 8, v9
	s_wait_alu 0xfffd
	v_cndmask_b32_e32 v10, 0, v14, vcc_lo
	v_or_b32_e32 v3, v3, v8
	s_delay_alu instid0(VALU_DEP_2) | instskip(NEXT) | instid1(VALU_DEP_2)
	v_and_b32_e32 v10, 0xff, v10
	v_and_b32_e32 v3, 0xffff, v3
	s_delay_alu instid0(VALU_DEP_2) | instskip(NEXT) | instid1(VALU_DEP_1)
	v_or_b32_e32 v8, v10, v9
	v_lshlrev_b32_e32 v8, 16, v8
	s_delay_alu instid0(VALU_DEP_1)
	v_or_b32_e32 v12, v3, v8
.LBB7_39:                               ;   in Loop: Header=BB7_3 Depth=1
	s_wait_alu 0xfffe
	s_or_b32 exec_lo, exec_lo, s0
	s_delay_alu instid0(SALU_CYCLE_1)
	s_mov_b32 s0, exec_lo
	v_cmpx_gt_i64_e64 s[10:11], v[4:5]
	s_cbranch_execz .LBB7_2
; %bb.40:                               ;   in Loop: Header=BB7_3 Depth=1
	v_add_co_u32 v8, vcc_lo, v4, 1
	s_wait_alu 0xfffd
	v_add_co_ci_u32_e64 v9, null, 0, v5, vcc_lo
	v_add_co_u32 v6, vcc_lo, s24, v6
	s_wait_alu 0xfffd
	v_add_co_ci_u32_e64 v7, null, s25, v7, vcc_lo
	s_mov_b32 s1, exec_lo
	global_store_b8 v[6:7], v12, off
	v_cmpx_gt_i64_e64 s[10:11], v[8:9]
	s_wait_alu 0xfffe
	s_xor_b32 s1, exec_lo, s1
	s_cbranch_execz .LBB7_2
; %bb.41:                               ;   in Loop: Header=BB7_3 Depth=1
	v_add_co_u32 v8, vcc_lo, v4, 2
	s_wait_alu 0xfffd
	v_add_co_ci_u32_e64 v9, null, 0, v5, vcc_lo
	v_add_co_u32 v6, vcc_lo, v6, s18
	v_lshrrev_b32_e32 v3, 8, v12
	s_wait_alu 0xfffd
	v_add_co_ci_u32_e64 v7, null, s19, v7, vcc_lo
	s_mov_b32 s1, exec_lo
	global_store_b8 v[6:7], v3, off
	v_cmpx_gt_i64_e64 s[10:11], v[8:9]
	s_wait_alu 0xfffe
	s_xor_b32 s1, exec_lo, s1
	s_cbranch_execz .LBB7_2
; %bb.42:                               ;   in Loop: Header=BB7_3 Depth=1
	v_add_co_u32 v8, vcc_lo, v4, 3
	s_wait_alu 0xfffd
	v_add_co_ci_u32_e64 v9, null, 0, v5, vcc_lo
	v_add_co_u32 v3, vcc_lo, v6, s18
	s_wait_alu 0xfffd
	v_add_co_ci_u32_e64 v4, null, s19, v7, vcc_lo
	s_mov_b32 s1, exec_lo
	global_store_d16_hi_b8 v[3:4], v12, off
	v_cmpx_gt_i64_e64 s[10:11], v[8:9]
	s_wait_alu 0xfffe
	s_xor_b32 s1, exec_lo, s1
	s_cbranch_execz .LBB7_2
; %bb.43:                               ;   in Loop: Header=BB7_3 Depth=1
	v_add_co_u32 v3, vcc_lo, v3, s18
	v_lshrrev_b32_e32 v5, 24, v12
	s_wait_alu 0xfffd
	v_add_co_ci_u32_e64 v4, null, s19, v4, vcc_lo
	global_store_b8 v[3:4], v5, off
	s_branch .LBB7_2
.LBB7_44:
	s_endpgm
	.section	.rodata,"a",@progbits
	.p2align	6, 0x0
	.amdhsa_kernel _ZN2at6native16triu_tril_kernelIalLb0ELi4ELb0EEEvNS_4cuda6detail10TensorInfoIT_T0_EENS4_IKS5_S6_EEllS6_
		.amdhsa_group_segment_fixed_size 0
		.amdhsa_private_segment_fixed_size 0
		.amdhsa_kernarg_size 1112
		.amdhsa_user_sgpr_count 2
		.amdhsa_user_sgpr_dispatch_ptr 0
		.amdhsa_user_sgpr_queue_ptr 0
		.amdhsa_user_sgpr_kernarg_segment_ptr 1
		.amdhsa_user_sgpr_dispatch_id 0
		.amdhsa_user_sgpr_private_segment_size 0
		.amdhsa_wavefront_size32 1
		.amdhsa_uses_dynamic_stack 0
		.amdhsa_enable_private_segment 0
		.amdhsa_system_sgpr_workgroup_id_x 1
		.amdhsa_system_sgpr_workgroup_id_y 0
		.amdhsa_system_sgpr_workgroup_id_z 0
		.amdhsa_system_sgpr_workgroup_info 0
		.amdhsa_system_vgpr_workitem_id 0
		.amdhsa_next_free_vgpr 28
		.amdhsa_next_free_sgpr 76
		.amdhsa_reserve_vcc 1
		.amdhsa_float_round_mode_32 0
		.amdhsa_float_round_mode_16_64 0
		.amdhsa_float_denorm_mode_32 3
		.amdhsa_float_denorm_mode_16_64 3
		.amdhsa_fp16_overflow 0
		.amdhsa_workgroup_processor_mode 1
		.amdhsa_memory_ordered 1
		.amdhsa_forward_progress 1
		.amdhsa_inst_pref_size 55
		.amdhsa_round_robin_scheduling 0
		.amdhsa_exception_fp_ieee_invalid_op 0
		.amdhsa_exception_fp_denorm_src 0
		.amdhsa_exception_fp_ieee_div_zero 0
		.amdhsa_exception_fp_ieee_overflow 0
		.amdhsa_exception_fp_ieee_underflow 0
		.amdhsa_exception_fp_ieee_inexact 0
		.amdhsa_exception_int_div_zero 0
	.end_amdhsa_kernel
	.section	.text._ZN2at6native16triu_tril_kernelIalLb0ELi4ELb0EEEvNS_4cuda6detail10TensorInfoIT_T0_EENS4_IKS5_S6_EEllS6_,"axG",@progbits,_ZN2at6native16triu_tril_kernelIalLb0ELi4ELb0EEEvNS_4cuda6detail10TensorInfoIT_T0_EENS4_IKS5_S6_EEllS6_,comdat
.Lfunc_end7:
	.size	_ZN2at6native16triu_tril_kernelIalLb0ELi4ELb0EEEvNS_4cuda6detail10TensorInfoIT_T0_EENS4_IKS5_S6_EEllS6_, .Lfunc_end7-_ZN2at6native16triu_tril_kernelIalLb0ELi4ELb0EEEvNS_4cuda6detail10TensorInfoIT_T0_EENS4_IKS5_S6_EEllS6_
                                        ; -- End function
	.set _ZN2at6native16triu_tril_kernelIalLb0ELi4ELb0EEEvNS_4cuda6detail10TensorInfoIT_T0_EENS4_IKS5_S6_EEllS6_.num_vgpr, 28
	.set _ZN2at6native16triu_tril_kernelIalLb0ELi4ELb0EEEvNS_4cuda6detail10TensorInfoIT_T0_EENS4_IKS5_S6_EEllS6_.num_agpr, 0
	.set _ZN2at6native16triu_tril_kernelIalLb0ELi4ELb0EEEvNS_4cuda6detail10TensorInfoIT_T0_EENS4_IKS5_S6_EEllS6_.numbered_sgpr, 76
	.set _ZN2at6native16triu_tril_kernelIalLb0ELi4ELb0EEEvNS_4cuda6detail10TensorInfoIT_T0_EENS4_IKS5_S6_EEllS6_.num_named_barrier, 0
	.set _ZN2at6native16triu_tril_kernelIalLb0ELi4ELb0EEEvNS_4cuda6detail10TensorInfoIT_T0_EENS4_IKS5_S6_EEllS6_.private_seg_size, 0
	.set _ZN2at6native16triu_tril_kernelIalLb0ELi4ELb0EEEvNS_4cuda6detail10TensorInfoIT_T0_EENS4_IKS5_S6_EEllS6_.uses_vcc, 1
	.set _ZN2at6native16triu_tril_kernelIalLb0ELi4ELb0EEEvNS_4cuda6detail10TensorInfoIT_T0_EENS4_IKS5_S6_EEllS6_.uses_flat_scratch, 0
	.set _ZN2at6native16triu_tril_kernelIalLb0ELi4ELb0EEEvNS_4cuda6detail10TensorInfoIT_T0_EENS4_IKS5_S6_EEllS6_.has_dyn_sized_stack, 0
	.set _ZN2at6native16triu_tril_kernelIalLb0ELi4ELb0EEEvNS_4cuda6detail10TensorInfoIT_T0_EENS4_IKS5_S6_EEllS6_.has_recursion, 0
	.set _ZN2at6native16triu_tril_kernelIalLb0ELi4ELb0EEEvNS_4cuda6detail10TensorInfoIT_T0_EENS4_IKS5_S6_EEllS6_.has_indirect_call, 0
	.section	.AMDGPU.csdata,"",@progbits
; Kernel info:
; codeLenInByte = 7008
; TotalNumSgprs: 78
; NumVgprs: 28
; ScratchSize: 0
; MemoryBound: 0
; FloatMode: 240
; IeeeMode: 1
; LDSByteSize: 0 bytes/workgroup (compile time only)
; SGPRBlocks: 0
; VGPRBlocks: 3
; NumSGPRsForWavesPerEU: 78
; NumVGPRsForWavesPerEU: 28
; Occupancy: 16
; WaveLimiterHint : 0
; COMPUTE_PGM_RSRC2:SCRATCH_EN: 0
; COMPUTE_PGM_RSRC2:USER_SGPR: 2
; COMPUTE_PGM_RSRC2:TRAP_HANDLER: 0
; COMPUTE_PGM_RSRC2:TGID_X_EN: 1
; COMPUTE_PGM_RSRC2:TGID_Y_EN: 0
; COMPUTE_PGM_RSRC2:TGID_Z_EN: 0
; COMPUTE_PGM_RSRC2:TIDIG_COMP_CNT: 0
	.section	.text._ZN2at6native16triu_tril_kernelIiiLb0ELi2ELb1EEEvNS_4cuda6detail10TensorInfoIT_T0_EENS4_IKS5_S6_EEllS6_,"axG",@progbits,_ZN2at6native16triu_tril_kernelIiiLb0ELi2ELb1EEEvNS_4cuda6detail10TensorInfoIT_T0_EENS4_IKS5_S6_EEllS6_,comdat
	.protected	_ZN2at6native16triu_tril_kernelIiiLb0ELi2ELb1EEEvNS_4cuda6detail10TensorInfoIT_T0_EENS4_IKS5_S6_EEllS6_ ; -- Begin function _ZN2at6native16triu_tril_kernelIiiLb0ELi2ELb1EEEvNS_4cuda6detail10TensorInfoIT_T0_EENS4_IKS5_S6_EEllS6_
	.globl	_ZN2at6native16triu_tril_kernelIiiLb0ELi2ELb1EEEvNS_4cuda6detail10TensorInfoIT_T0_EENS4_IKS5_S6_EEllS6_
	.p2align	8
	.type	_ZN2at6native16triu_tril_kernelIiiLb0ELi2ELb1EEEvNS_4cuda6detail10TensorInfoIT_T0_EENS4_IKS5_S6_EEllS6_,@function
_ZN2at6native16triu_tril_kernelIiiLb0ELi2ELb1EEEvNS_4cuda6detail10TensorInfoIT_T0_EENS4_IKS5_S6_EEllS6_: ; @_ZN2at6native16triu_tril_kernelIiiLb0ELi2ELb1EEEvNS_4cuda6detail10TensorInfoIT_T0_EENS4_IKS5_S6_EEllS6_
; %bb.0:
	s_clause 0x1
	s_load_b32 s2, s[0:1], 0x1d4
	s_load_b128 s[4:7], s[0:1], 0x1b0
	v_mov_b32_e32 v2, 0
	s_mov_b32 s3, exec_lo
	s_delay_alu instid0(VALU_DEP_1)
	v_mov_b32_e32 v1, v2
	s_wait_kmcnt 0x0
	s_and_b32 s2, s2, 0xffff
	s_delay_alu instid0(VALU_DEP_1) | instid1(SALU_CYCLE_1)
	v_mad_co_u64_u32 v[0:1], null, s2, ttmp9, v[0:1]
	s_delay_alu instid0(VALU_DEP_1) | instskip(NEXT) | instid1(VALU_DEP_1)
	v_lshlrev_b64_e32 v[0:1], 1, v[0:1]
	v_cmpx_gt_i64_e64 s[6:7], v[0:1]
	s_cbranch_execz .LBB8_62
; %bb.1:
	s_clause 0x1
	s_load_b32 s20, s[0:1], 0x1a8
	s_load_b32 s8, s[0:1], 0x1c0
	s_add_nc_u64 s[12:13], s[0:1], 0x1c8
	s_add_nc_u64 s[10:11], s[0:1], 0xd8
	s_load_b32 s3, s[12:13], 0x0
	s_mov_b32 s19, 0
	s_mov_b32 s57, 0
	s_wait_kmcnt 0x0
	s_ashr_i32 s21, s20, 31
	v_cvt_f32_u32_e32 v3, s8
	s_lshl_b64 s[22:23], s[20:21], 2
	s_add_co_i32 s9, s20, 6
	s_add_nc_u64 s[12:13], s[10:11], s[22:23]
	s_mul_i32 s3, s3, s2
	s_clause 0x1
	s_load_b32 s14, s[12:13], 0x0
	s_load_b64 s[16:17], s[0:1], 0x0
	v_rcp_iflag_f32_e32 v3, v3
	s_and_b32 s18, s20, 7
	s_add_co_i32 s33, s20, -3
	s_and_b32 s52, s9, 7
	s_lshl_b32 s53, s3, 1
	s_ashr_i32 s9, s8, 31
	v_cmp_gt_i64_e64 s56, s[20:21], 2
	s_add_nc_u64 s[20:21], s[0:1], s[22:23]
	s_wait_kmcnt 0x0
	v_cvt_f32_u32_e32 v4, s14
	s_ashr_i32 s15, s14, 31
	s_cmp_lg_u32 s18, 2
	s_cselect_b32 s54, -1, 0
	s_delay_alu instid0(VALU_DEP_1)
	v_rcp_iflag_f32_e32 v4, v4
	v_mul_f32_e32 v3, 0x4f7ffffe, v3
	s_cmp_gt_u32 s33, 6
	s_cselect_b32 s55, -1, 0
	s_sub_co_i32 s2, 0, s8
	s_wait_alu 0xfffe
	s_ashr_i32 s22, s9, 31
	s_ashr_i32 s24, s15, 31
	s_delay_alu instid0(TRANS32_DEP_1) | instskip(SKIP_1) | instid1(VALU_DEP_2)
	v_mul_f32_e32 v4, 0x4f7ffffe, v4
	v_cvt_u32_f32_e32 v3, v3
	v_cvt_u32_f32_e32 v25, v4
	s_delay_alu instid0(VALU_DEP_2) | instskip(NEXT) | instid1(VALU_DEP_1)
	v_mul_lo_u32 v5, s2, v3
	v_mul_hi_u32 v5, v3, v5
	s_delay_alu instid0(VALU_DEP_1)
	v_add_nc_u32_e32 v26, v3, v5
	s_branch .LBB8_3
.LBB8_2:                                ;   in Loop: Header=BB8_3 Depth=1
	s_wait_alu 0xfffe
	s_or_b32 exec_lo, exec_lo, s23
	v_add_co_u32 v0, vcc_lo, v0, s53
	s_wait_alu 0xfffd
	v_add_co_ci_u32_e64 v1, null, 0, v1, vcc_lo
	s_delay_alu instid0(VALU_DEP_1) | instskip(SKIP_1) | instid1(SALU_CYCLE_1)
	v_cmp_le_i64_e32 vcc_lo, s[6:7], v[0:1]
	s_or_b32 s57, vcc_lo, s57
	s_and_not1_b32 exec_lo, exec_lo, s57
	s_cbranch_execz .LBB8_62
.LBB8_3:                                ; =>This Loop Header: Depth=1
                                        ;     Child Loop BB8_16 Depth 2
                                        ;     Child Loop BB8_22 Depth 2
	v_or_b32_e32 v3, s9, v1
                                        ; implicit-def: $vgpr4_vgpr5
	s_mov_b32 s2, exec_lo
	s_delay_alu instid0(VALU_DEP_1)
	v_cmpx_ne_u64_e32 0, v[2:3]
	s_wait_alu 0xfffe
	s_xor_b32 s3, exec_lo, s2
	s_cbranch_execz .LBB8_5
; %bb.4:                                ;   in Loop: Header=BB8_3 Depth=1
	s_mov_b32 s23, s22
	v_ashrrev_i32_e32 v9, 31, v1
	s_wait_alu 0xfffe
	s_add_nc_u64 s[26:27], s[8:9], s[22:23]
	s_wait_alu 0xfffe
	s_xor_b64 s[26:27], s[26:27], s[22:23]
	v_add_co_u32 v3, vcc_lo, v0, v9
	s_wait_alu 0xfffe
	s_cvt_f32_u32 s2, s26
	s_cvt_f32_u32 s18, s27
	s_sub_nc_u64 s[30:31], 0, s[26:27]
	s_wait_alu 0xfffd
	v_add_co_ci_u32_e64 v4, null, v1, v9, vcc_lo
	s_wait_alu 0xfffe
	s_fmamk_f32 s2, s18, 0x4f800000, s2
	v_xor_b32_e32 v10, v3, v9
	s_delay_alu instid0(VALU_DEP_2) | instskip(SKIP_2) | instid1(TRANS32_DEP_1)
	v_xor_b32_e32 v11, v4, v9
	s_wait_alu 0xfffe
	v_s_rcp_f32 s2, s2
	s_mul_f32 s2, s2, 0x5f7ffffc
	s_wait_alu 0xfffe
	s_delay_alu instid0(SALU_CYCLE_2) | instskip(SKIP_1) | instid1(SALU_CYCLE_2)
	s_mul_f32 s18, s2, 0x2f800000
	s_wait_alu 0xfffe
	s_trunc_f32 s18, s18
	s_wait_alu 0xfffe
	s_delay_alu instid0(SALU_CYCLE_2) | instskip(SKIP_2) | instid1(SALU_CYCLE_1)
	s_fmamk_f32 s2, s18, 0xcf800000, s2
	s_cvt_u32_f32 s29, s18
	s_wait_alu 0xfffe
	s_cvt_u32_f32 s28, s2
	s_wait_alu 0xfffe
	s_delay_alu instid0(SALU_CYCLE_2)
	s_mul_u64 s[34:35], s[30:31], s[28:29]
	s_wait_alu 0xfffe
	s_mul_hi_u32 s37, s28, s35
	s_mul_i32 s36, s28, s35
	s_mul_hi_u32 s18, s28, s34
	s_mul_i32 s23, s29, s34
	s_wait_alu 0xfffe
	s_add_nc_u64 s[36:37], s[18:19], s[36:37]
	s_mul_hi_u32 s2, s29, s34
	s_mul_hi_u32 s25, s29, s35
	s_wait_alu 0xfffe
	s_add_co_u32 s18, s36, s23
	s_add_co_ci_u32 s18, s37, s2
	s_mul_i32 s34, s29, s35
	s_add_co_ci_u32 s35, s25, 0
	s_wait_alu 0xfffe
	s_add_nc_u64 s[34:35], s[18:19], s[34:35]
	s_wait_alu 0xfffe
	s_add_co_u32 s28, s28, s34
	s_cselect_b32 s2, -1, 0
	s_wait_alu 0xfffe
	s_cmp_lg_u32 s2, 0
	s_add_co_ci_u32 s29, s29, s35
	s_wait_alu 0xfffe
	s_mul_u64 s[30:31], s[30:31], s[28:29]
	s_wait_alu 0xfffe
	s_mul_hi_u32 s35, s28, s31
	s_mul_i32 s34, s28, s31
	s_mul_hi_u32 s18, s28, s30
	s_mul_i32 s23, s29, s30
	s_wait_alu 0xfffe
	s_add_nc_u64 s[34:35], s[18:19], s[34:35]
	s_mul_hi_u32 s2, s29, s30
	s_mul_hi_u32 s25, s29, s31
	s_wait_alu 0xfffe
	s_add_co_u32 s18, s34, s23
	s_add_co_ci_u32 s18, s35, s2
	s_mul_i32 s30, s29, s31
	s_add_co_ci_u32 s31, s25, 0
	s_wait_alu 0xfffe
	s_add_nc_u64 s[30:31], s[18:19], s[30:31]
	s_wait_alu 0xfffe
	s_add_co_u32 s2, s28, s30
	s_cselect_b32 s18, -1, 0
	s_wait_alu 0xfffe
	v_mul_hi_u32 v12, v10, s2
	s_cmp_lg_u32 s18, 0
	v_mad_co_u64_u32 v[5:6], null, v11, s2, 0
	s_add_co_ci_u32 s18, s29, s31
	s_wait_alu 0xfffe
	v_mad_co_u64_u32 v[3:4], null, v10, s18, 0
	v_mad_co_u64_u32 v[7:8], null, v11, s18, 0
	s_delay_alu instid0(VALU_DEP_2) | instskip(SKIP_1) | instid1(VALU_DEP_3)
	v_add_co_u32 v3, vcc_lo, v12, v3
	s_wait_alu 0xfffd
	v_add_co_ci_u32_e64 v4, null, 0, v4, vcc_lo
	s_delay_alu instid0(VALU_DEP_2) | instskip(SKIP_1) | instid1(VALU_DEP_2)
	v_add_co_u32 v3, vcc_lo, v3, v5
	s_wait_alu 0xfffd
	v_add_co_ci_u32_e32 v3, vcc_lo, v4, v6, vcc_lo
	s_wait_alu 0xfffd
	v_add_co_ci_u32_e32 v4, vcc_lo, 0, v8, vcc_lo
	s_delay_alu instid0(VALU_DEP_2) | instskip(SKIP_1) | instid1(VALU_DEP_2)
	v_add_co_u32 v5, vcc_lo, v3, v7
	s_wait_alu 0xfffd
	v_add_co_ci_u32_e64 v6, null, 0, v4, vcc_lo
	s_delay_alu instid0(VALU_DEP_2) | instskip(SKIP_1) | instid1(VALU_DEP_3)
	v_mul_lo_u32 v7, s27, v5
	v_mad_co_u64_u32 v[3:4], null, s26, v5, 0
	v_mul_lo_u32 v8, s26, v6
	s_delay_alu instid0(VALU_DEP_2) | instskip(NEXT) | instid1(VALU_DEP_2)
	v_sub_co_u32 v3, vcc_lo, v10, v3
	v_add3_u32 v4, v4, v8, v7
	v_add_co_u32 v8, s2, v5, 2
	s_wait_alu 0xf1ff
	v_add_co_ci_u32_e64 v10, null, 0, v6, s2
	s_delay_alu instid0(VALU_DEP_3) | instskip(SKIP_3) | instid1(VALU_DEP_3)
	v_sub_nc_u32_e32 v7, v11, v4
	v_sub_co_u32 v12, s2, v3, s26
	s_wait_alu 0xfffd
	v_sub_co_ci_u32_e64 v4, null, v11, v4, vcc_lo
	v_subrev_co_ci_u32_e64 v7, null, s27, v7, vcc_lo
	s_delay_alu instid0(VALU_DEP_3) | instskip(SKIP_1) | instid1(VALU_DEP_2)
	v_cmp_le_u32_e32 vcc_lo, s26, v12
	s_wait_alu 0xf1ff
	v_subrev_co_ci_u32_e64 v7, null, 0, v7, s2
	s_wait_alu 0xfffd
	v_cndmask_b32_e64 v11, 0, -1, vcc_lo
	s_delay_alu instid0(VALU_DEP_2)
	v_cmp_le_u32_e32 vcc_lo, s27, v7
	s_wait_alu 0xfffd
	v_cndmask_b32_e64 v12, 0, -1, vcc_lo
	v_cmp_le_u32_e32 vcc_lo, s26, v3
	s_wait_alu 0xfffd
	v_cndmask_b32_e64 v3, 0, -1, vcc_lo
	;; [unrolled: 3-line block ×3, first 2 shown]
	v_cmp_eq_u32_e32 vcc_lo, s27, v7
	s_wait_alu 0xfffd
	v_cndmask_b32_e32 v7, v12, v11, vcc_lo
	v_add_co_u32 v11, vcc_lo, v5, 1
	s_wait_alu 0xfffd
	v_add_co_ci_u32_e64 v12, null, 0, v6, vcc_lo
	v_cmp_eq_u32_e32 vcc_lo, s27, v4
	s_wait_alu 0xfffd
	v_cndmask_b32_e32 v3, v13, v3, vcc_lo
	v_cmp_ne_u32_e32 vcc_lo, 0, v7
	v_xor_b32_e32 v7, s22, v9
	s_wait_alu 0xfffd
	v_cndmask_b32_e32 v4, v12, v10, vcc_lo
	v_cmp_ne_u32_e64 s2, 0, v3
	v_cndmask_b32_e32 v3, v11, v8, vcc_lo
	s_wait_alu 0xf1ff
	s_delay_alu instid0(VALU_DEP_2) | instskip(NEXT) | instid1(VALU_DEP_2)
	v_cndmask_b32_e64 v4, v6, v4, s2
	v_cndmask_b32_e64 v3, v5, v3, s2
	s_delay_alu instid0(VALU_DEP_2) | instskip(NEXT) | instid1(VALU_DEP_2)
	v_xor_b32_e32 v5, v4, v7
	v_xor_b32_e32 v3, v3, v7
	s_delay_alu instid0(VALU_DEP_1) | instskip(SKIP_1) | instid1(VALU_DEP_3)
	v_sub_co_u32 v4, vcc_lo, v3, v7
	s_wait_alu 0xfffd
	v_sub_co_ci_u32_e64 v5, null, v5, v7, vcc_lo
.LBB8_5:                                ;   in Loop: Header=BB8_3 Depth=1
	s_wait_alu 0xfffe
	s_and_not1_saveexec_b32 s2, s3
	s_cbranch_execz .LBB8_7
; %bb.6:                                ;   in Loop: Header=BB8_3 Depth=1
	v_mul_hi_u32 v3, v0, v26
	s_delay_alu instid0(VALU_DEP_1) | instskip(NEXT) | instid1(VALU_DEP_1)
	v_mul_lo_u32 v4, v3, s8
	v_sub_nc_u32_e32 v4, v0, v4
	s_delay_alu instid0(VALU_DEP_1) | instskip(SKIP_2) | instid1(VALU_DEP_2)
	v_subrev_nc_u32_e32 v6, s8, v4
	v_cmp_le_u32_e32 vcc_lo, s8, v4
	s_wait_alu 0xfffd
	v_dual_cndmask_b32 v4, v4, v6 :: v_dual_add_nc_u32 v5, 1, v3
	s_delay_alu instid0(VALU_DEP_1) | instskip(NEXT) | instid1(VALU_DEP_2)
	v_cndmask_b32_e32 v3, v3, v5, vcc_lo
	v_cmp_le_u32_e32 vcc_lo, s8, v4
	s_delay_alu instid0(VALU_DEP_2) | instskip(SKIP_1) | instid1(VALU_DEP_1)
	v_add_nc_u32_e32 v5, 1, v3
	s_wait_alu 0xfffd
	v_dual_cndmask_b32 v4, v3, v5 :: v_dual_mov_b32 v5, v2
.LBB8_7:                                ;   in Loop: Header=BB8_3 Depth=1
	s_wait_alu 0xfffe
	s_or_b32 exec_lo, exec_lo, s2
	s_delay_alu instid0(VALU_DEP_1) | instskip(SKIP_1) | instid1(VALU_DEP_1)
	v_or_b32_e32 v3, s15, v5
                                        ; implicit-def: $vgpr7_vgpr8
	s_mov_b32 s2, exec_lo
	v_cmpx_ne_u64_e32 0, v[2:3]
	s_wait_alu 0xfffe
	s_xor_b32 s3, exec_lo, s2
	s_cbranch_execz .LBB8_9
; %bb.8:                                ;   in Loop: Header=BB8_3 Depth=1
	s_mov_b32 s25, s24
	v_ashrrev_i32_e32 v3, 31, v5
	s_wait_alu 0xfffe
	s_add_nc_u64 s[26:27], s[14:15], s[24:25]
	s_wait_alu 0xfffe
	s_xor_b64 s[26:27], s[26:27], s[24:25]
	v_add_co_u32 v6, vcc_lo, v4, v3
	s_wait_alu 0xfffe
	s_cvt_f32_u32 s2, s26
	s_cvt_f32_u32 s18, s27
	s_sub_nc_u64 s[30:31], 0, s[26:27]
	s_wait_alu 0xfffd
	v_add_co_ci_u32_e64 v5, null, v5, v3, vcc_lo
	s_wait_alu 0xfffe
	s_fmamk_f32 s2, s18, 0x4f800000, s2
	v_xor_b32_e32 v11, v6, v3
	s_delay_alu instid0(VALU_DEP_2) | instskip(SKIP_3) | instid1(TRANS32_DEP_1)
	v_xor_b32_e32 v12, v5, v3
	s_wait_alu 0xfffe
	v_s_rcp_f32 s2, s2
	v_xor_b32_e32 v3, s24, v3
	s_mul_f32 s2, s2, 0x5f7ffffc
	s_wait_alu 0xfffe
	s_delay_alu instid0(SALU_CYCLE_2) | instskip(SKIP_1) | instid1(SALU_CYCLE_2)
	s_mul_f32 s18, s2, 0x2f800000
	s_wait_alu 0xfffe
	s_trunc_f32 s18, s18
	s_wait_alu 0xfffe
	s_delay_alu instid0(SALU_CYCLE_2) | instskip(SKIP_2) | instid1(SALU_CYCLE_1)
	s_fmamk_f32 s2, s18, 0xcf800000, s2
	s_cvt_u32_f32 s29, s18
	s_wait_alu 0xfffe
	s_cvt_u32_f32 s28, s2
	s_wait_alu 0xfffe
	s_delay_alu instid0(SALU_CYCLE_2)
	s_mul_u64 s[34:35], s[30:31], s[28:29]
	s_wait_alu 0xfffe
	s_mul_hi_u32 s37, s28, s35
	s_mul_i32 s36, s28, s35
	s_mul_hi_u32 s18, s28, s34
	s_mul_i32 s23, s29, s34
	s_wait_alu 0xfffe
	s_add_nc_u64 s[36:37], s[18:19], s[36:37]
	s_mul_hi_u32 s2, s29, s34
	s_mul_hi_u32 s25, s29, s35
	s_wait_alu 0xfffe
	s_add_co_u32 s18, s36, s23
	s_add_co_ci_u32 s18, s37, s2
	s_mul_i32 s34, s29, s35
	s_add_co_ci_u32 s35, s25, 0
	s_wait_alu 0xfffe
	s_add_nc_u64 s[34:35], s[18:19], s[34:35]
	s_wait_alu 0xfffe
	s_add_co_u32 s28, s28, s34
	s_cselect_b32 s2, -1, 0
	s_wait_alu 0xfffe
	s_cmp_lg_u32 s2, 0
	s_add_co_ci_u32 s29, s29, s35
	s_wait_alu 0xfffe
	s_mul_u64 s[30:31], s[30:31], s[28:29]
	s_wait_alu 0xfffe
	s_mul_hi_u32 s35, s28, s31
	s_mul_i32 s34, s28, s31
	s_mul_hi_u32 s18, s28, s30
	s_mul_i32 s23, s29, s30
	s_wait_alu 0xfffe
	s_add_nc_u64 s[34:35], s[18:19], s[34:35]
	s_mul_hi_u32 s2, s29, s30
	s_mul_hi_u32 s25, s29, s31
	s_wait_alu 0xfffe
	s_add_co_u32 s18, s34, s23
	s_add_co_ci_u32 s18, s35, s2
	s_mul_i32 s30, s29, s31
	s_add_co_ci_u32 s31, s25, 0
	s_wait_alu 0xfffe
	s_add_nc_u64 s[30:31], s[18:19], s[30:31]
	s_wait_alu 0xfffe
	s_add_co_u32 s2, s28, s30
	s_cselect_b32 s18, -1, 0
	s_wait_alu 0xfffe
	v_mul_hi_u32 v13, v11, s2
	s_cmp_lg_u32 s18, 0
	v_mad_co_u64_u32 v[7:8], null, v12, s2, 0
	s_add_co_ci_u32 s18, s29, s31
	s_wait_alu 0xfffe
	v_mad_co_u64_u32 v[5:6], null, v11, s18, 0
	v_mad_co_u64_u32 v[9:10], null, v12, s18, 0
	s_delay_alu instid0(VALU_DEP_2) | instskip(SKIP_1) | instid1(VALU_DEP_3)
	v_add_co_u32 v5, vcc_lo, v13, v5
	s_wait_alu 0xfffd
	v_add_co_ci_u32_e64 v6, null, 0, v6, vcc_lo
	s_delay_alu instid0(VALU_DEP_2) | instskip(SKIP_1) | instid1(VALU_DEP_2)
	v_add_co_u32 v5, vcc_lo, v5, v7
	s_wait_alu 0xfffd
	v_add_co_ci_u32_e32 v5, vcc_lo, v6, v8, vcc_lo
	s_wait_alu 0xfffd
	v_add_co_ci_u32_e32 v6, vcc_lo, 0, v10, vcc_lo
	s_delay_alu instid0(VALU_DEP_2) | instskip(SKIP_1) | instid1(VALU_DEP_2)
	v_add_co_u32 v7, vcc_lo, v5, v9
	s_wait_alu 0xfffd
	v_add_co_ci_u32_e64 v8, null, 0, v6, vcc_lo
	s_delay_alu instid0(VALU_DEP_2) | instskip(SKIP_1) | instid1(VALU_DEP_3)
	v_mul_lo_u32 v9, s27, v7
	v_mad_co_u64_u32 v[5:6], null, s26, v7, 0
	v_mul_lo_u32 v10, s26, v8
	s_delay_alu instid0(VALU_DEP_2) | instskip(NEXT) | instid1(VALU_DEP_2)
	v_sub_co_u32 v5, vcc_lo, v11, v5
	v_add3_u32 v6, v6, v10, v9
	v_add_co_u32 v10, s2, v7, 2
	s_wait_alu 0xf1ff
	v_add_co_ci_u32_e64 v11, null, 0, v8, s2
	s_delay_alu instid0(VALU_DEP_3) | instskip(SKIP_3) | instid1(VALU_DEP_3)
	v_sub_nc_u32_e32 v9, v12, v6
	v_sub_co_u32 v13, s2, v5, s26
	s_wait_alu 0xfffd
	v_sub_co_ci_u32_e64 v6, null, v12, v6, vcc_lo
	v_subrev_co_ci_u32_e64 v9, null, s27, v9, vcc_lo
	s_delay_alu instid0(VALU_DEP_3) | instskip(SKIP_1) | instid1(VALU_DEP_2)
	v_cmp_le_u32_e32 vcc_lo, s26, v13
	s_wait_alu 0xf1ff
	v_subrev_co_ci_u32_e64 v9, null, 0, v9, s2
	s_wait_alu 0xfffd
	v_cndmask_b32_e64 v12, 0, -1, vcc_lo
	s_delay_alu instid0(VALU_DEP_2)
	v_cmp_le_u32_e32 vcc_lo, s27, v9
	s_wait_alu 0xfffd
	v_cndmask_b32_e64 v13, 0, -1, vcc_lo
	v_cmp_le_u32_e32 vcc_lo, s26, v5
	s_wait_alu 0xfffd
	v_cndmask_b32_e64 v5, 0, -1, vcc_lo
	;; [unrolled: 3-line block ×3, first 2 shown]
	v_cmp_eq_u32_e32 vcc_lo, s27, v9
	s_wait_alu 0xfffd
	v_cndmask_b32_e32 v9, v13, v12, vcc_lo
	v_add_co_u32 v12, vcc_lo, v7, 1
	s_wait_alu 0xfffd
	v_add_co_ci_u32_e64 v13, null, 0, v8, vcc_lo
	v_cmp_eq_u32_e32 vcc_lo, s27, v6
	s_wait_alu 0xfffd
	v_cndmask_b32_e32 v5, v14, v5, vcc_lo
	v_cmp_ne_u32_e32 vcc_lo, 0, v9
	s_wait_alu 0xfffd
	v_cndmask_b32_e32 v6, v13, v11, vcc_lo
	s_delay_alu instid0(VALU_DEP_3) | instskip(SKIP_2) | instid1(VALU_DEP_2)
	v_cmp_ne_u32_e64 s2, 0, v5
	v_cndmask_b32_e32 v5, v12, v10, vcc_lo
	s_wait_alu 0xf1ff
	v_cndmask_b32_e64 v6, v8, v6, s2
	s_delay_alu instid0(VALU_DEP_2) | instskip(NEXT) | instid1(VALU_DEP_2)
	v_cndmask_b32_e64 v5, v7, v5, s2
	v_xor_b32_e32 v6, v6, v3
	s_delay_alu instid0(VALU_DEP_2) | instskip(NEXT) | instid1(VALU_DEP_1)
	v_xor_b32_e32 v5, v5, v3
	v_sub_co_u32 v7, vcc_lo, v5, v3
	s_wait_alu 0xfffd
	s_delay_alu instid0(VALU_DEP_3)
	v_sub_co_ci_u32_e64 v8, null, v6, v3, vcc_lo
.LBB8_9:                                ;   in Loop: Header=BB8_3 Depth=1
	s_wait_alu 0xfffe
	s_and_not1_saveexec_b32 s2, s3
	s_cbranch_execz .LBB8_11
; %bb.10:                               ;   in Loop: Header=BB8_3 Depth=1
	s_sub_co_i32 s3, 0, s14
	v_mov_b32_e32 v8, v2
	s_wait_alu 0xfffe
	v_mul_lo_u32 v3, s3, v25
	s_delay_alu instid0(VALU_DEP_1) | instskip(NEXT) | instid1(VALU_DEP_1)
	v_mul_hi_u32 v3, v25, v3
	v_add_nc_u32_e32 v3, v25, v3
	s_delay_alu instid0(VALU_DEP_1) | instskip(NEXT) | instid1(VALU_DEP_1)
	v_mul_hi_u32 v3, v4, v3
	v_mul_lo_u32 v5, v3, s14
	v_add_nc_u32_e32 v6, 1, v3
	s_delay_alu instid0(VALU_DEP_2) | instskip(NEXT) | instid1(VALU_DEP_1)
	v_sub_nc_u32_e32 v5, v4, v5
	v_subrev_nc_u32_e32 v7, s14, v5
	v_cmp_le_u32_e32 vcc_lo, s14, v5
	s_wait_alu 0xfffd
	s_delay_alu instid0(VALU_DEP_2) | instskip(SKIP_1) | instid1(VALU_DEP_2)
	v_cndmask_b32_e32 v5, v5, v7, vcc_lo
	v_cndmask_b32_e32 v3, v3, v6, vcc_lo
	v_cmp_le_u32_e32 vcc_lo, s14, v5
	s_delay_alu instid0(VALU_DEP_2) | instskip(SKIP_1) | instid1(VALU_DEP_1)
	v_add_nc_u32_e32 v6, 1, v3
	s_wait_alu 0xfffd
	v_cndmask_b32_e32 v7, v3, v6, vcc_lo
.LBB8_11:                               ;   in Loop: Header=BB8_3 Depth=1
	s_wait_alu 0xfffe
	s_or_b32 exec_lo, exec_lo, s2
	v_mad_co_u64_u32 v[5:6], null, v4, s8, 0
	s_delay_alu instid0(VALU_DEP_2) | instskip(SKIP_3) | instid1(VALU_DEP_1)
	v_mad_co_u64_u32 v[9:10], null, v7, s14, 0
	s_mov_b32 s23, exec_lo
	v_sub_co_u32 v28, null, v0, v5
	v_sub_co_u32 v27, null, v4, v9
	v_sub_nc_u32_e32 v6, v28, v27
	s_delay_alu instid0(VALU_DEP_1) | instskip(NEXT) | instid1(VALU_DEP_1)
	v_add_nc_u32_e32 v3, 2, v6
	v_ashrrev_i32_e32 v4, 31, v3
	s_delay_alu instid0(VALU_DEP_1)
	v_cmpx_lt_i64_e64 s[4:5], v[3:4]
	s_cbranch_execz .LBB8_2
; %bb.12:                               ;   in Loop: Header=BB8_3 Depth=1
	s_load_b64 s[2:3], s[20:21], 0x64
	s_and_not1_b32 vcc_lo, exec_lo, s56
	s_wait_kmcnt 0x0
	v_mul_lo_u32 v3, s3, v28
	s_delay_alu instid0(VALU_DEP_1)
	v_mad_co_u64_u32 v[4:5], null, s2, v27, v[3:4]
	s_wait_alu 0xfffe
	s_cbranch_vccnz .LBB8_56
; %bb.13:                               ;   in Loop: Header=BB8_3 Depth=1
	s_mov_b32 s25, s52
	s_and_not1_b32 vcc_lo, exec_lo, s54
	s_mov_b32 s18, s33
	s_mov_b32 s2, s33
	s_wait_alu 0xfffe
	s_cbranch_vccz .LBB8_16
; %bb.14:                               ;   in Loop: Header=BB8_3 Depth=1
	s_and_not1_b32 vcc_lo, exec_lo, s55
	s_wait_alu 0xfffe
	s_cbranch_vccz .LBB8_21
	s_branch .LBB8_56
.LBB8_15:                               ;   in Loop: Header=BB8_16 Depth=2
	s_wait_alu 0xfffe
	s_or_b32 exec_lo, exec_lo, s2
	s_add_nc_u64 s[26:27], s[0:1], s[26:27]
	v_mul_lo_u32 v3, v9, s28
	s_load_b32 s2, s[26:27], 0x6c
	s_add_co_i32 s25, s25, -1
	s_add_co_i32 s18, s18, -1
	s_wait_alu 0xfffe
	s_cmp_lg_u32 s25, 0
	s_delay_alu instid0(VALU_DEP_1) | instskip(SKIP_2) | instid1(VALU_DEP_2)
	v_sub_nc_u32_e32 v3, v7, v3
	v_dual_mov_b32 v7, v9 :: v_dual_mov_b32 v8, v10
	s_wait_kmcnt 0x0
	v_mad_co_u64_u32 v[4:5], null, s2, v3, v[4:5]
	s_cbranch_scc0 .LBB8_20
.LBB8_16:                               ;   Parent Loop BB8_3 Depth=1
                                        ; =>  This Inner Loop Header: Depth=2
	s_lshl_b64 s[26:27], s[18:19], 2
                                        ; implicit-def: $vgpr9_vgpr10
	s_mov_b32 s2, exec_lo
	s_wait_alu 0xfffe
	s_add_nc_u64 s[28:29], s[10:11], s[26:27]
	s_load_b32 s28, s[28:29], 0x8
	s_wait_kmcnt 0x0
	s_ashr_i32 s29, s28, 31
	s_wait_alu 0xfffe
	v_or_b32_e32 v3, s29, v8
	s_delay_alu instid0(VALU_DEP_1)
	v_cmpx_ne_u64_e32 0, v[2:3]
	s_xor_b32 s36, exec_lo, s2
	s_cbranch_execz .LBB8_18
; %bb.17:                               ;   in Loop: Header=BB8_16 Depth=2
	s_ashr_i32 s30, s29, 31
	s_mov_b32 s43, s19
	s_wait_alu 0xfffe
	s_mov_b32 s31, s30
	s_mov_b32 s47, s19
	s_wait_alu 0xfffe
	s_add_nc_u64 s[34:35], s[28:29], s[30:31]
	v_ashrrev_i32_e32 v3, 31, v8
	s_wait_alu 0xfffe
	s_xor_b64 s[34:35], s[34:35], s[30:31]
	s_wait_alu 0xfffe
	s_cvt_f32_u32 s2, s34
	s_cvt_f32_u32 s29, s35
	s_sub_nc_u64 s[40:41], 0, s[34:35]
	v_add_co_u32 v5, vcc_lo, v7, v3
	s_wait_alu 0xfffe
	s_fmamk_f32 s2, s29, 0x4f800000, s2
	s_wait_alu 0xfffd
	v_add_co_ci_u32_e64 v8, null, v8, v3, vcc_lo
	v_xor_b32_e32 v5, v5, v3
	s_wait_alu 0xfffe
	v_s_rcp_f32 s2, s2
	s_delay_alu instid0(VALU_DEP_2) | instskip(SKIP_1) | instid1(TRANS32_DEP_1)
	v_xor_b32_e32 v14, v8, v3
	v_xor_b32_e32 v3, s30, v3
	s_mul_f32 s2, s2, 0x5f7ffffc
	s_wait_alu 0xfffe
	s_delay_alu instid0(SALU_CYCLE_2) | instskip(SKIP_1) | instid1(SALU_CYCLE_2)
	s_mul_f32 s29, s2, 0x2f800000
	s_wait_alu 0xfffe
	s_trunc_f32 s29, s29
	s_wait_alu 0xfffe
	s_delay_alu instid0(SALU_CYCLE_2) | instskip(SKIP_2) | instid1(SALU_CYCLE_1)
	s_fmamk_f32 s2, s29, 0xcf800000, s2
	s_cvt_u32_f32 s39, s29
	s_wait_alu 0xfffe
	s_cvt_u32_f32 s38, s2
	s_wait_alu 0xfffe
	s_delay_alu instid0(SALU_CYCLE_2)
	s_mul_u64 s[44:45], s[40:41], s[38:39]
	s_wait_alu 0xfffe
	s_mul_hi_u32 s49, s38, s45
	s_mul_i32 s48, s38, s45
	s_mul_hi_u32 s42, s38, s44
	s_mul_i32 s29, s39, s44
	s_wait_alu 0xfffe
	s_add_nc_u64 s[42:43], s[42:43], s[48:49]
	s_mul_hi_u32 s2, s39, s44
	s_mul_hi_u32 s31, s39, s45
	s_wait_alu 0xfffe
	s_add_co_u32 s29, s42, s29
	s_add_co_ci_u32 s46, s43, s2
	s_mul_i32 s44, s39, s45
	s_add_co_ci_u32 s45, s31, 0
	s_wait_alu 0xfffe
	s_add_nc_u64 s[42:43], s[46:47], s[44:45]
	s_mov_b32 s45, s19
	s_wait_alu 0xfffe
	s_add_co_u32 s38, s38, s42
	s_cselect_b32 s2, -1, 0
	s_wait_alu 0xfffe
	s_cmp_lg_u32 s2, 0
	s_add_co_ci_u32 s39, s39, s43
	s_mov_b32 s43, s19
	s_wait_alu 0xfffe
	s_mul_u64 s[40:41], s[40:41], s[38:39]
	s_wait_alu 0xfffe
	s_mul_hi_u32 s47, s38, s41
	s_mul_i32 s46, s38, s41
	s_mul_hi_u32 s44, s38, s40
	s_mul_i32 s29, s39, s40
	s_wait_alu 0xfffe
	s_add_nc_u64 s[44:45], s[44:45], s[46:47]
	s_mul_hi_u32 s2, s39, s40
	s_mul_hi_u32 s31, s39, s41
	s_wait_alu 0xfffe
	s_add_co_u32 s29, s44, s29
	s_add_co_ci_u32 s42, s45, s2
	s_mul_i32 s40, s39, s41
	s_add_co_ci_u32 s41, s31, 0
	s_wait_alu 0xfffe
	s_add_nc_u64 s[40:41], s[42:43], s[40:41]
	s_wait_alu 0xfffe
	s_add_co_u32 s2, s38, s40
	s_cselect_b32 s29, -1, 0
	s_wait_alu 0xfffe
	v_mul_hi_u32 v15, v5, s2
	s_cmp_lg_u32 s29, 0
	v_mad_co_u64_u32 v[10:11], null, v14, s2, 0
	s_add_co_ci_u32 s29, s39, s41
	s_wait_alu 0xfffe
	v_mad_co_u64_u32 v[8:9], null, v5, s29, 0
	v_mad_co_u64_u32 v[12:13], null, v14, s29, 0
	s_delay_alu instid0(VALU_DEP_2) | instskip(SKIP_1) | instid1(VALU_DEP_3)
	v_add_co_u32 v8, vcc_lo, v15, v8
	s_wait_alu 0xfffd
	v_add_co_ci_u32_e64 v9, null, 0, v9, vcc_lo
	s_delay_alu instid0(VALU_DEP_2) | instskip(SKIP_1) | instid1(VALU_DEP_2)
	v_add_co_u32 v8, vcc_lo, v8, v10
	s_wait_alu 0xfffd
	v_add_co_ci_u32_e32 v8, vcc_lo, v9, v11, vcc_lo
	s_wait_alu 0xfffd
	v_add_co_ci_u32_e32 v9, vcc_lo, 0, v13, vcc_lo
	s_delay_alu instid0(VALU_DEP_2) | instskip(SKIP_1) | instid1(VALU_DEP_2)
	v_add_co_u32 v10, vcc_lo, v8, v12
	s_wait_alu 0xfffd
	v_add_co_ci_u32_e64 v11, null, 0, v9, vcc_lo
	s_delay_alu instid0(VALU_DEP_2) | instskip(SKIP_1) | instid1(VALU_DEP_3)
	v_mul_lo_u32 v12, s35, v10
	v_mad_co_u64_u32 v[8:9], null, s34, v10, 0
	v_mul_lo_u32 v13, s34, v11
	s_delay_alu instid0(VALU_DEP_2) | instskip(NEXT) | instid1(VALU_DEP_2)
	v_sub_co_u32 v5, vcc_lo, v5, v8
	v_add3_u32 v9, v9, v13, v12
	s_delay_alu instid0(VALU_DEP_1) | instskip(SKIP_2) | instid1(VALU_DEP_2)
	v_sub_nc_u32_e32 v12, v14, v9
	s_wait_alu 0xfffd
	v_sub_co_ci_u32_e64 v9, null, v14, v9, vcc_lo
	v_subrev_co_ci_u32_e64 v8, null, s35, v12, vcc_lo
	v_add_co_u32 v12, s2, v10, 2
	s_wait_alu 0xf1ff
	v_add_co_ci_u32_e64 v13, null, 0, v11, s2
	v_sub_co_u32 v15, s2, v5, s34
	s_wait_alu 0xf1ff
	v_subrev_co_ci_u32_e64 v8, null, 0, v8, s2
	s_delay_alu instid0(VALU_DEP_2) | instskip(SKIP_2) | instid1(VALU_DEP_3)
	v_cmp_le_u32_e32 vcc_lo, s34, v15
	s_wait_alu 0xfffd
	v_cndmask_b32_e64 v14, 0, -1, vcc_lo
	v_cmp_le_u32_e32 vcc_lo, s35, v8
	s_wait_alu 0xfffd
	v_cndmask_b32_e64 v15, 0, -1, vcc_lo
	;; [unrolled: 3-line block ×4, first 2 shown]
	v_cmp_eq_u32_e32 vcc_lo, s35, v8
	s_wait_alu 0xfffd
	v_cndmask_b32_e32 v8, v15, v14, vcc_lo
	v_add_co_u32 v14, vcc_lo, v10, 1
	s_wait_alu 0xfffd
	v_add_co_ci_u32_e64 v15, null, 0, v11, vcc_lo
	v_cmp_eq_u32_e32 vcc_lo, s35, v9
	s_wait_alu 0xfffd
	v_cndmask_b32_e32 v5, v16, v5, vcc_lo
	v_cmp_ne_u32_e32 vcc_lo, 0, v8
	s_delay_alu instid0(VALU_DEP_2) | instskip(SKIP_3) | instid1(VALU_DEP_1)
	v_cmp_ne_u32_e64 s2, 0, v5
	s_wait_alu 0xfffd
	v_dual_cndmask_b32 v8, v15, v13 :: v_dual_cndmask_b32 v5, v14, v12
	s_wait_alu 0xf1ff
	v_cndmask_b32_e64 v8, v11, v8, s2
	s_delay_alu instid0(VALU_DEP_2) | instskip(NEXT) | instid1(VALU_DEP_2)
	v_cndmask_b32_e64 v5, v10, v5, s2
	v_xor_b32_e32 v8, v8, v3
	s_delay_alu instid0(VALU_DEP_2) | instskip(NEXT) | instid1(VALU_DEP_1)
	v_xor_b32_e32 v5, v5, v3
	v_sub_co_u32 v9, vcc_lo, v5, v3
	s_wait_alu 0xfffd
	s_delay_alu instid0(VALU_DEP_3)
	v_sub_co_ci_u32_e64 v10, null, v8, v3, vcc_lo
.LBB8_18:                               ;   in Loop: Header=BB8_16 Depth=2
	s_wait_alu 0xfffe
	s_and_not1_saveexec_b32 s2, s36
	s_cbranch_execz .LBB8_15
; %bb.19:                               ;   in Loop: Header=BB8_16 Depth=2
	v_cvt_f32_u32_e32 v3, s28
	s_sub_co_i32 s29, 0, s28
	v_mov_b32_e32 v10, v2
	s_delay_alu instid0(VALU_DEP_2) | instskip(NEXT) | instid1(TRANS32_DEP_1)
	v_rcp_iflag_f32_e32 v3, v3
	v_mul_f32_e32 v3, 0x4f7ffffe, v3
	s_delay_alu instid0(VALU_DEP_1) | instskip(SKIP_1) | instid1(VALU_DEP_1)
	v_cvt_u32_f32_e32 v3, v3
	s_wait_alu 0xfffe
	v_mul_lo_u32 v5, s29, v3
	s_delay_alu instid0(VALU_DEP_1) | instskip(NEXT) | instid1(VALU_DEP_1)
	v_mul_hi_u32 v5, v3, v5
	v_add_nc_u32_e32 v3, v3, v5
	s_delay_alu instid0(VALU_DEP_1) | instskip(NEXT) | instid1(VALU_DEP_1)
	v_mul_hi_u32 v3, v7, v3
	v_mul_lo_u32 v5, v3, s28
	s_delay_alu instid0(VALU_DEP_1) | instskip(NEXT) | instid1(VALU_DEP_1)
	v_sub_nc_u32_e32 v5, v7, v5
	v_subrev_nc_u32_e32 v9, s28, v5
	v_cmp_le_u32_e32 vcc_lo, s28, v5
	s_wait_alu 0xfffd
	s_delay_alu instid0(VALU_DEP_2) | instskip(NEXT) | instid1(VALU_DEP_1)
	v_dual_cndmask_b32 v5, v5, v9 :: v_dual_add_nc_u32 v8, 1, v3
	v_cndmask_b32_e32 v3, v3, v8, vcc_lo
	s_delay_alu instid0(VALU_DEP_2) | instskip(NEXT) | instid1(VALU_DEP_2)
	v_cmp_le_u32_e32 vcc_lo, s28, v5
	v_add_nc_u32_e32 v8, 1, v3
	s_wait_alu 0xfffd
	s_delay_alu instid0(VALU_DEP_1)
	v_cndmask_b32_e32 v9, v3, v8, vcc_lo
	s_branch .LBB8_15
.LBB8_20:                               ;   in Loop: Header=BB8_3 Depth=1
	s_mov_b32 s2, s18
	s_and_not1_b32 vcc_lo, exec_lo, s55
	s_wait_alu 0xfffe
	s_cbranch_vccnz .LBB8_56
.LBB8_21:                               ;   in Loop: Header=BB8_3 Depth=1
	s_add_co_i32 s26, s2, -7
.LBB8_22:                               ;   Parent Loop BB8_3 Depth=1
                                        ; =>  This Inner Loop Header: Depth=2
	s_wait_alu 0xfffe
	s_add_co_i32 s18, s26, 7
                                        ; implicit-def: $vgpr9_vgpr10
	s_mov_b32 s2, exec_lo
	s_wait_alu 0xfffe
	s_lshl_b64 s[34:35], s[18:19], 2
	s_wait_alu 0xfffe
	s_add_nc_u64 s[28:29], s[10:11], s[34:35]
	s_load_b32 s28, s[28:29], 0x8
	s_wait_kmcnt 0x0
	s_ashr_i32 s29, s28, 31
	s_wait_alu 0xfffe
	v_or_b32_e32 v3, s29, v8
	s_delay_alu instid0(VALU_DEP_1)
	v_cmpx_ne_u64_e32 0, v[2:3]
	s_xor_b32 s25, exec_lo, s2
	s_cbranch_execz .LBB8_24
; %bb.23:                               ;   in Loop: Header=BB8_22 Depth=2
	s_ashr_i32 s30, s29, 31
	v_ashrrev_i32_e32 v3, 31, v8
	s_wait_alu 0xfffe
	s_mov_b32 s31, s30
	s_wait_alu 0xfffe
	s_add_nc_u64 s[36:37], s[28:29], s[30:31]
	v_add_co_u32 v5, vcc_lo, v7, v3
	s_wait_alu 0xfffe
	s_xor_b64 s[36:37], s[36:37], s[30:31]
	s_wait_alu 0xfffd
	v_add_co_ci_u32_e64 v8, null, v8, v3, vcc_lo
	s_wait_alu 0xfffe
	s_cvt_f32_u32 s2, s36
	s_cvt_f32_u32 s18, s37
	s_sub_nc_u64 s[40:41], 0, s[36:37]
	v_xor_b32_e32 v5, v5, v3
	v_xor_b32_e32 v14, v8, v3
	s_wait_alu 0xfffe
	s_fmamk_f32 s2, s18, 0x4f800000, s2
	v_xor_b32_e32 v3, s30, v3
	s_wait_alu 0xfffe
	s_delay_alu instid0(SALU_CYCLE_1) | instskip(NEXT) | instid1(TRANS32_DEP_1)
	v_s_rcp_f32 s2, s2
	s_mul_f32 s2, s2, 0x5f7ffffc
	s_wait_alu 0xfffe
	s_delay_alu instid0(SALU_CYCLE_2) | instskip(SKIP_1) | instid1(SALU_CYCLE_2)
	s_mul_f32 s18, s2, 0x2f800000
	s_wait_alu 0xfffe
	s_trunc_f32 s18, s18
	s_wait_alu 0xfffe
	s_delay_alu instid0(SALU_CYCLE_2) | instskip(SKIP_2) | instid1(SALU_CYCLE_1)
	s_fmamk_f32 s2, s18, 0xcf800000, s2
	s_cvt_u32_f32 s39, s18
	s_wait_alu 0xfffe
	s_cvt_u32_f32 s38, s2
	s_wait_alu 0xfffe
	s_delay_alu instid0(SALU_CYCLE_2)
	s_mul_u64 s[42:43], s[40:41], s[38:39]
	s_wait_alu 0xfffe
	s_mul_hi_u32 s45, s38, s43
	s_mul_i32 s44, s38, s43
	s_mul_hi_u32 s18, s38, s42
	s_mul_i32 s27, s39, s42
	s_wait_alu 0xfffe
	s_add_nc_u64 s[44:45], s[18:19], s[44:45]
	s_mul_hi_u32 s2, s39, s42
	s_mul_hi_u32 s29, s39, s43
	s_wait_alu 0xfffe
	s_add_co_u32 s18, s44, s27
	s_add_co_ci_u32 s18, s45, s2
	s_mul_i32 s42, s39, s43
	s_add_co_ci_u32 s43, s29, 0
	s_wait_alu 0xfffe
	s_add_nc_u64 s[42:43], s[18:19], s[42:43]
	s_wait_alu 0xfffe
	s_add_co_u32 s38, s38, s42
	s_cselect_b32 s2, -1, 0
	s_wait_alu 0xfffe
	s_cmp_lg_u32 s2, 0
	s_add_co_ci_u32 s39, s39, s43
	s_wait_alu 0xfffe
	s_mul_u64 s[40:41], s[40:41], s[38:39]
	s_wait_alu 0xfffe
	s_mul_hi_u32 s43, s38, s41
	s_mul_i32 s42, s38, s41
	s_mul_hi_u32 s18, s38, s40
	s_mul_i32 s27, s39, s40
	s_wait_alu 0xfffe
	s_add_nc_u64 s[42:43], s[18:19], s[42:43]
	s_mul_hi_u32 s2, s39, s40
	s_mul_hi_u32 s29, s39, s41
	s_wait_alu 0xfffe
	s_add_co_u32 s18, s42, s27
	s_add_co_ci_u32 s18, s43, s2
	s_mul_i32 s40, s39, s41
	s_add_co_ci_u32 s41, s29, 0
	s_wait_alu 0xfffe
	s_add_nc_u64 s[40:41], s[18:19], s[40:41]
	s_wait_alu 0xfffe
	s_add_co_u32 s2, s38, s40
	s_cselect_b32 s18, -1, 0
	s_wait_alu 0xfffe
	v_mul_hi_u32 v15, v5, s2
	s_cmp_lg_u32 s18, 0
	v_mad_co_u64_u32 v[10:11], null, v14, s2, 0
	s_add_co_ci_u32 s18, s39, s41
	s_wait_alu 0xfffe
	v_mad_co_u64_u32 v[8:9], null, v5, s18, 0
	v_mad_co_u64_u32 v[12:13], null, v14, s18, 0
	s_delay_alu instid0(VALU_DEP_2) | instskip(SKIP_1) | instid1(VALU_DEP_3)
	v_add_co_u32 v8, vcc_lo, v15, v8
	s_wait_alu 0xfffd
	v_add_co_ci_u32_e64 v9, null, 0, v9, vcc_lo
	s_delay_alu instid0(VALU_DEP_2) | instskip(SKIP_1) | instid1(VALU_DEP_2)
	v_add_co_u32 v8, vcc_lo, v8, v10
	s_wait_alu 0xfffd
	v_add_co_ci_u32_e32 v8, vcc_lo, v9, v11, vcc_lo
	s_wait_alu 0xfffd
	v_add_co_ci_u32_e32 v9, vcc_lo, 0, v13, vcc_lo
	s_delay_alu instid0(VALU_DEP_2) | instskip(SKIP_1) | instid1(VALU_DEP_2)
	v_add_co_u32 v10, vcc_lo, v8, v12
	s_wait_alu 0xfffd
	v_add_co_ci_u32_e64 v11, null, 0, v9, vcc_lo
	s_delay_alu instid0(VALU_DEP_2) | instskip(SKIP_1) | instid1(VALU_DEP_3)
	v_mul_lo_u32 v12, s37, v10
	v_mad_co_u64_u32 v[8:9], null, s36, v10, 0
	v_mul_lo_u32 v13, s36, v11
	s_delay_alu instid0(VALU_DEP_2) | instskip(NEXT) | instid1(VALU_DEP_2)
	v_sub_co_u32 v5, vcc_lo, v5, v8
	v_add3_u32 v9, v9, v13, v12
	s_delay_alu instid0(VALU_DEP_1) | instskip(SKIP_2) | instid1(VALU_DEP_2)
	v_sub_nc_u32_e32 v12, v14, v9
	s_wait_alu 0xfffd
	v_sub_co_ci_u32_e64 v9, null, v14, v9, vcc_lo
	v_subrev_co_ci_u32_e64 v8, null, s37, v12, vcc_lo
	v_add_co_u32 v12, s2, v10, 2
	s_wait_alu 0xf1ff
	v_add_co_ci_u32_e64 v13, null, 0, v11, s2
	v_sub_co_u32 v15, s2, v5, s36
	s_wait_alu 0xf1ff
	v_subrev_co_ci_u32_e64 v8, null, 0, v8, s2
	s_delay_alu instid0(VALU_DEP_2) | instskip(SKIP_2) | instid1(VALU_DEP_3)
	v_cmp_le_u32_e32 vcc_lo, s36, v15
	s_wait_alu 0xfffd
	v_cndmask_b32_e64 v14, 0, -1, vcc_lo
	v_cmp_le_u32_e32 vcc_lo, s37, v8
	s_wait_alu 0xfffd
	v_cndmask_b32_e64 v15, 0, -1, vcc_lo
	;; [unrolled: 3-line block ×4, first 2 shown]
	v_cmp_eq_u32_e32 vcc_lo, s37, v8
	s_wait_alu 0xfffd
	v_cndmask_b32_e32 v8, v15, v14, vcc_lo
	v_add_co_u32 v14, vcc_lo, v10, 1
	s_wait_alu 0xfffd
	v_add_co_ci_u32_e64 v15, null, 0, v11, vcc_lo
	v_cmp_eq_u32_e32 vcc_lo, s37, v9
	s_wait_alu 0xfffd
	v_cndmask_b32_e32 v5, v16, v5, vcc_lo
	v_cmp_ne_u32_e32 vcc_lo, 0, v8
	s_delay_alu instid0(VALU_DEP_2) | instskip(SKIP_3) | instid1(VALU_DEP_1)
	v_cmp_ne_u32_e64 s2, 0, v5
	s_wait_alu 0xfffd
	v_dual_cndmask_b32 v8, v15, v13 :: v_dual_cndmask_b32 v5, v14, v12
	s_wait_alu 0xf1ff
	v_cndmask_b32_e64 v8, v11, v8, s2
	s_delay_alu instid0(VALU_DEP_2) | instskip(NEXT) | instid1(VALU_DEP_2)
	v_cndmask_b32_e64 v5, v10, v5, s2
	v_xor_b32_e32 v8, v8, v3
	s_delay_alu instid0(VALU_DEP_2) | instskip(NEXT) | instid1(VALU_DEP_1)
	v_xor_b32_e32 v5, v5, v3
	v_sub_co_u32 v9, vcc_lo, v5, v3
	s_wait_alu 0xfffd
	s_delay_alu instid0(VALU_DEP_3)
	v_sub_co_ci_u32_e64 v10, null, v8, v3, vcc_lo
.LBB8_24:                               ;   in Loop: Header=BB8_22 Depth=2
	s_wait_alu 0xfffe
	s_and_not1_saveexec_b32 s2, s25
	s_cbranch_execz .LBB8_26
; %bb.25:                               ;   in Loop: Header=BB8_22 Depth=2
	v_cvt_f32_u32_e32 v3, s28
	s_sub_co_i32 s18, 0, s28
	v_mov_b32_e32 v10, v2
	s_delay_alu instid0(VALU_DEP_2) | instskip(NEXT) | instid1(TRANS32_DEP_1)
	v_rcp_iflag_f32_e32 v3, v3
	v_mul_f32_e32 v3, 0x4f7ffffe, v3
	s_delay_alu instid0(VALU_DEP_1) | instskip(SKIP_1) | instid1(VALU_DEP_1)
	v_cvt_u32_f32_e32 v3, v3
	s_wait_alu 0xfffe
	v_mul_lo_u32 v5, s18, v3
	s_delay_alu instid0(VALU_DEP_1) | instskip(NEXT) | instid1(VALU_DEP_1)
	v_mul_hi_u32 v5, v3, v5
	v_add_nc_u32_e32 v3, v3, v5
	s_delay_alu instid0(VALU_DEP_1) | instskip(NEXT) | instid1(VALU_DEP_1)
	v_mul_hi_u32 v3, v7, v3
	v_mul_lo_u32 v5, v3, s28
	s_delay_alu instid0(VALU_DEP_1) | instskip(NEXT) | instid1(VALU_DEP_1)
	v_sub_nc_u32_e32 v5, v7, v5
	v_subrev_nc_u32_e32 v9, s28, v5
	v_cmp_le_u32_e32 vcc_lo, s28, v5
	s_wait_alu 0xfffd
	s_delay_alu instid0(VALU_DEP_2) | instskip(NEXT) | instid1(VALU_DEP_1)
	v_dual_cndmask_b32 v5, v5, v9 :: v_dual_add_nc_u32 v8, 1, v3
	v_cndmask_b32_e32 v3, v3, v8, vcc_lo
	s_delay_alu instid0(VALU_DEP_2) | instskip(NEXT) | instid1(VALU_DEP_2)
	v_cmp_le_u32_e32 vcc_lo, s28, v5
	v_add_nc_u32_e32 v8, 1, v3
	s_wait_alu 0xfffd
	s_delay_alu instid0(VALU_DEP_1)
	v_cndmask_b32_e32 v9, v3, v8, vcc_lo
.LBB8_26:                               ;   in Loop: Header=BB8_22 Depth=2
	s_wait_alu 0xfffe
	s_or_b32 exec_lo, exec_lo, s2
	s_add_co_i32 s18, s26, 6
	s_add_nc_u64 s[34:35], s[0:1], s[34:35]
	s_wait_alu 0xfffe
	s_lshl_b64 s[36:37], s[18:19], 2
                                        ; implicit-def: $vgpr11_vgpr12
	s_mov_b32 s2, exec_lo
	s_wait_alu 0xfffe
	s_add_nc_u64 s[30:31], s[10:11], s[36:37]
	s_clause 0x1
	s_load_b32 s25, s[34:35], 0x6c
	s_load_b32 s30, s[30:31], 0x8
	s_wait_kmcnt 0x0
	s_ashr_i32 s31, s30, 31
	s_wait_alu 0xfffe
	v_or_b32_e32 v3, s31, v10
	s_delay_alu instid0(VALU_DEP_1)
	v_cmpx_ne_u64_e32 0, v[2:3]
	s_xor_b32 s27, exec_lo, s2
	s_cbranch_execz .LBB8_28
; %bb.27:                               ;   in Loop: Header=BB8_22 Depth=2
	s_ashr_i32 s34, s31, 31
	v_ashrrev_i32_e32 v3, 31, v10
	s_wait_alu 0xfffe
	s_mov_b32 s35, s34
	s_wait_alu 0xfffe
	s_add_nc_u64 s[38:39], s[30:31], s[34:35]
	v_add_co_u32 v5, vcc_lo, v9, v3
	s_wait_alu 0xfffe
	s_xor_b64 s[38:39], s[38:39], s[34:35]
	s_wait_alu 0xfffd
	v_add_co_ci_u32_e64 v8, null, v10, v3, vcc_lo
	s_wait_alu 0xfffe
	s_cvt_f32_u32 s2, s38
	s_cvt_f32_u32 s18, s39
	s_sub_nc_u64 s[42:43], 0, s[38:39]
	v_xor_b32_e32 v5, v5, v3
	v_xor_b32_e32 v8, v8, v3
	s_wait_alu 0xfffe
	s_fmamk_f32 s2, s18, 0x4f800000, s2
	v_xor_b32_e32 v3, s34, v3
	s_wait_alu 0xfffe
	s_delay_alu instid0(SALU_CYCLE_1) | instskip(NEXT) | instid1(TRANS32_DEP_1)
	v_s_rcp_f32 s2, s2
	s_mul_f32 s2, s2, 0x5f7ffffc
	s_wait_alu 0xfffe
	s_delay_alu instid0(SALU_CYCLE_2) | instskip(SKIP_1) | instid1(SALU_CYCLE_2)
	s_mul_f32 s18, s2, 0x2f800000
	s_wait_alu 0xfffe
	s_trunc_f32 s18, s18
	s_wait_alu 0xfffe
	s_delay_alu instid0(SALU_CYCLE_2) | instskip(SKIP_2) | instid1(SALU_CYCLE_1)
	s_fmamk_f32 s2, s18, 0xcf800000, s2
	s_cvt_u32_f32 s41, s18
	s_wait_alu 0xfffe
	s_cvt_u32_f32 s40, s2
	s_wait_alu 0xfffe
	s_delay_alu instid0(SALU_CYCLE_2)
	s_mul_u64 s[44:45], s[42:43], s[40:41]
	s_wait_alu 0xfffe
	s_mul_hi_u32 s47, s40, s45
	s_mul_i32 s46, s40, s45
	s_mul_hi_u32 s18, s40, s44
	s_mul_i32 s29, s41, s44
	s_wait_alu 0xfffe
	s_add_nc_u64 s[46:47], s[18:19], s[46:47]
	s_mul_hi_u32 s2, s41, s44
	s_mul_hi_u32 s31, s41, s45
	s_wait_alu 0xfffe
	s_add_co_u32 s18, s46, s29
	s_add_co_ci_u32 s18, s47, s2
	s_mul_i32 s44, s41, s45
	s_add_co_ci_u32 s45, s31, 0
	s_wait_alu 0xfffe
	s_add_nc_u64 s[44:45], s[18:19], s[44:45]
	s_wait_alu 0xfffe
	s_add_co_u32 s40, s40, s44
	s_cselect_b32 s2, -1, 0
	s_wait_alu 0xfffe
	s_cmp_lg_u32 s2, 0
	s_add_co_ci_u32 s41, s41, s45
	s_wait_alu 0xfffe
	s_mul_u64 s[42:43], s[42:43], s[40:41]
	s_wait_alu 0xfffe
	s_mul_hi_u32 s45, s40, s43
	s_mul_i32 s44, s40, s43
	s_mul_hi_u32 s18, s40, s42
	s_mul_i32 s29, s41, s42
	s_wait_alu 0xfffe
	s_add_nc_u64 s[44:45], s[18:19], s[44:45]
	s_mul_hi_u32 s2, s41, s42
	s_mul_hi_u32 s31, s41, s43
	s_wait_alu 0xfffe
	s_add_co_u32 s18, s44, s29
	s_add_co_ci_u32 s18, s45, s2
	s_mul_i32 s42, s41, s43
	s_add_co_ci_u32 s43, s31, 0
	s_wait_alu 0xfffe
	s_add_nc_u64 s[42:43], s[18:19], s[42:43]
	s_wait_alu 0xfffe
	s_add_co_u32 s2, s40, s42
	s_cselect_b32 s18, -1, 0
	s_wait_alu 0xfffe
	v_mul_hi_u32 v16, v5, s2
	s_cmp_lg_u32 s18, 0
	v_mad_co_u64_u32 v[12:13], null, v8, s2, 0
	s_add_co_ci_u32 s18, s41, s43
	s_wait_alu 0xfffe
	v_mad_co_u64_u32 v[10:11], null, v5, s18, 0
	v_mad_co_u64_u32 v[14:15], null, v8, s18, 0
	s_delay_alu instid0(VALU_DEP_2) | instskip(SKIP_1) | instid1(VALU_DEP_3)
	v_add_co_u32 v10, vcc_lo, v16, v10
	s_wait_alu 0xfffd
	v_add_co_ci_u32_e64 v11, null, 0, v11, vcc_lo
	s_delay_alu instid0(VALU_DEP_2) | instskip(SKIP_1) | instid1(VALU_DEP_2)
	v_add_co_u32 v10, vcc_lo, v10, v12
	s_wait_alu 0xfffd
	v_add_co_ci_u32_e32 v10, vcc_lo, v11, v13, vcc_lo
	s_wait_alu 0xfffd
	v_add_co_ci_u32_e32 v11, vcc_lo, 0, v15, vcc_lo
	s_delay_alu instid0(VALU_DEP_2) | instskip(SKIP_1) | instid1(VALU_DEP_2)
	v_add_co_u32 v12, vcc_lo, v10, v14
	s_wait_alu 0xfffd
	v_add_co_ci_u32_e64 v13, null, 0, v11, vcc_lo
	s_delay_alu instid0(VALU_DEP_2) | instskip(SKIP_1) | instid1(VALU_DEP_3)
	v_mul_lo_u32 v14, s39, v12
	v_mad_co_u64_u32 v[10:11], null, s38, v12, 0
	v_mul_lo_u32 v15, s38, v13
	s_delay_alu instid0(VALU_DEP_2) | instskip(NEXT) | instid1(VALU_DEP_2)
	v_sub_co_u32 v5, vcc_lo, v5, v10
	v_add3_u32 v11, v11, v15, v14
	s_delay_alu instid0(VALU_DEP_1) | instskip(SKIP_2) | instid1(VALU_DEP_2)
	v_sub_nc_u32_e32 v14, v8, v11
	s_wait_alu 0xfffd
	v_sub_co_ci_u32_e64 v8, null, v8, v11, vcc_lo
	v_subrev_co_ci_u32_e64 v10, null, s39, v14, vcc_lo
	v_add_co_u32 v14, s2, v12, 2
	s_wait_alu 0xf1ff
	v_add_co_ci_u32_e64 v15, null, 0, v13, s2
	v_sub_co_u32 v16, s2, v5, s38
	s_wait_alu 0xf1ff
	v_subrev_co_ci_u32_e64 v10, null, 0, v10, s2
	s_delay_alu instid0(VALU_DEP_2) | instskip(SKIP_2) | instid1(VALU_DEP_3)
	v_cmp_le_u32_e32 vcc_lo, s38, v16
	s_wait_alu 0xfffd
	v_cndmask_b32_e64 v11, 0, -1, vcc_lo
	v_cmp_le_u32_e32 vcc_lo, s39, v10
	s_wait_alu 0xfffd
	v_cndmask_b32_e64 v16, 0, -1, vcc_lo
	;; [unrolled: 3-line block ×4, first 2 shown]
	v_cmp_eq_u32_e32 vcc_lo, s39, v10
	s_wait_alu 0xfffd
	v_cndmask_b32_e32 v10, v16, v11, vcc_lo
	v_add_co_u32 v11, vcc_lo, v12, 1
	s_wait_alu 0xfffd
	v_add_co_ci_u32_e64 v16, null, 0, v13, vcc_lo
	v_cmp_eq_u32_e32 vcc_lo, s39, v8
	s_wait_alu 0xfffd
	v_cndmask_b32_e32 v5, v17, v5, vcc_lo
	v_cmp_ne_u32_e32 vcc_lo, 0, v10
	s_delay_alu instid0(VALU_DEP_2) | instskip(SKIP_3) | instid1(VALU_DEP_1)
	v_cmp_ne_u32_e64 s2, 0, v5
	s_wait_alu 0xfffd
	v_dual_cndmask_b32 v8, v16, v15 :: v_dual_cndmask_b32 v5, v11, v14
	s_wait_alu 0xf1ff
	v_cndmask_b32_e64 v8, v13, v8, s2
	s_delay_alu instid0(VALU_DEP_2) | instskip(NEXT) | instid1(VALU_DEP_2)
	v_cndmask_b32_e64 v5, v12, v5, s2
	v_xor_b32_e32 v8, v8, v3
	s_delay_alu instid0(VALU_DEP_2) | instskip(NEXT) | instid1(VALU_DEP_1)
	v_xor_b32_e32 v5, v5, v3
	v_sub_co_u32 v11, vcc_lo, v5, v3
	s_wait_alu 0xfffd
	s_delay_alu instid0(VALU_DEP_3)
	v_sub_co_ci_u32_e64 v12, null, v8, v3, vcc_lo
.LBB8_28:                               ;   in Loop: Header=BB8_22 Depth=2
	s_wait_alu 0xfffe
	s_and_not1_saveexec_b32 s2, s27
	s_cbranch_execz .LBB8_30
; %bb.29:                               ;   in Loop: Header=BB8_22 Depth=2
	v_cvt_f32_u32_e32 v3, s30
	s_sub_co_i32 s18, 0, s30
	v_mov_b32_e32 v12, v2
	s_delay_alu instid0(VALU_DEP_2) | instskip(NEXT) | instid1(TRANS32_DEP_1)
	v_rcp_iflag_f32_e32 v3, v3
	v_mul_f32_e32 v3, 0x4f7ffffe, v3
	s_delay_alu instid0(VALU_DEP_1) | instskip(SKIP_1) | instid1(VALU_DEP_1)
	v_cvt_u32_f32_e32 v3, v3
	s_wait_alu 0xfffe
	v_mul_lo_u32 v5, s18, v3
	s_delay_alu instid0(VALU_DEP_1) | instskip(NEXT) | instid1(VALU_DEP_1)
	v_mul_hi_u32 v5, v3, v5
	v_add_nc_u32_e32 v3, v3, v5
	s_delay_alu instid0(VALU_DEP_1) | instskip(NEXT) | instid1(VALU_DEP_1)
	v_mul_hi_u32 v3, v9, v3
	v_mul_lo_u32 v5, v3, s30
	s_delay_alu instid0(VALU_DEP_1) | instskip(NEXT) | instid1(VALU_DEP_1)
	v_sub_nc_u32_e32 v5, v9, v5
	v_subrev_nc_u32_e32 v10, s30, v5
	v_cmp_le_u32_e32 vcc_lo, s30, v5
	s_wait_alu 0xfffd
	s_delay_alu instid0(VALU_DEP_2) | instskip(NEXT) | instid1(VALU_DEP_1)
	v_dual_cndmask_b32 v5, v5, v10 :: v_dual_add_nc_u32 v8, 1, v3
	v_cndmask_b32_e32 v3, v3, v8, vcc_lo
	s_delay_alu instid0(VALU_DEP_2) | instskip(NEXT) | instid1(VALU_DEP_2)
	v_cmp_le_u32_e32 vcc_lo, s30, v5
	v_add_nc_u32_e32 v8, 1, v3
	s_wait_alu 0xfffd
	s_delay_alu instid0(VALU_DEP_1)
	v_cndmask_b32_e32 v11, v3, v8, vcc_lo
.LBB8_30:                               ;   in Loop: Header=BB8_22 Depth=2
	s_wait_alu 0xfffe
	s_or_b32 exec_lo, exec_lo, s2
	s_add_co_i32 s18, s26, 5
	s_add_nc_u64 s[36:37], s[0:1], s[36:37]
	s_wait_alu 0xfffe
	s_lshl_b64 s[38:39], s[18:19], 2
                                        ; implicit-def: $vgpr13_vgpr14
	s_mov_b32 s2, exec_lo
	s_wait_alu 0xfffe
	s_add_nc_u64 s[34:35], s[10:11], s[38:39]
	s_clause 0x1
	s_load_b32 s29, s[36:37], 0x6c
	s_load_b32 s34, s[34:35], 0x8
	s_wait_kmcnt 0x0
	s_ashr_i32 s35, s34, 31
	s_wait_alu 0xfffe
	v_or_b32_e32 v3, s35, v12
	s_delay_alu instid0(VALU_DEP_1)
	v_cmpx_ne_u64_e32 0, v[2:3]
	s_xor_b32 s27, exec_lo, s2
	s_cbranch_execz .LBB8_32
; %bb.31:                               ;   in Loop: Header=BB8_22 Depth=2
	s_ashr_i32 s36, s35, 31
	v_ashrrev_i32_e32 v3, 31, v12
	s_wait_alu 0xfffe
	s_mov_b32 s37, s36
	s_wait_alu 0xfffe
	s_add_nc_u64 s[40:41], s[34:35], s[36:37]
	v_add_co_u32 v5, vcc_lo, v11, v3
	s_wait_alu 0xfffe
	s_xor_b64 s[40:41], s[40:41], s[36:37]
	s_wait_alu 0xfffd
	v_add_co_ci_u32_e64 v8, null, v12, v3, vcc_lo
	s_wait_alu 0xfffe
	s_cvt_f32_u32 s2, s40
	s_cvt_f32_u32 s18, s41
	s_sub_nc_u64 s[44:45], 0, s[40:41]
	v_xor_b32_e32 v5, v5, v3
	v_xor_b32_e32 v8, v8, v3
	s_wait_alu 0xfffe
	s_fmamk_f32 s2, s18, 0x4f800000, s2
	v_xor_b32_e32 v3, s36, v3
	s_wait_alu 0xfffe
	s_delay_alu instid0(SALU_CYCLE_1) | instskip(NEXT) | instid1(TRANS32_DEP_1)
	v_s_rcp_f32 s2, s2
	s_mul_f32 s2, s2, 0x5f7ffffc
	s_wait_alu 0xfffe
	s_delay_alu instid0(SALU_CYCLE_2) | instskip(SKIP_1) | instid1(SALU_CYCLE_2)
	s_mul_f32 s18, s2, 0x2f800000
	s_wait_alu 0xfffe
	s_trunc_f32 s18, s18
	s_wait_alu 0xfffe
	s_delay_alu instid0(SALU_CYCLE_2) | instskip(SKIP_2) | instid1(SALU_CYCLE_1)
	s_fmamk_f32 s2, s18, 0xcf800000, s2
	s_cvt_u32_f32 s43, s18
	s_wait_alu 0xfffe
	s_cvt_u32_f32 s42, s2
	s_wait_alu 0xfffe
	s_delay_alu instid0(SALU_CYCLE_2)
	s_mul_u64 s[46:47], s[44:45], s[42:43]
	s_wait_alu 0xfffe
	s_mul_hi_u32 s49, s42, s47
	s_mul_i32 s48, s42, s47
	s_mul_hi_u32 s18, s42, s46
	s_mul_i32 s31, s43, s46
	s_wait_alu 0xfffe
	s_add_nc_u64 s[48:49], s[18:19], s[48:49]
	s_mul_hi_u32 s2, s43, s46
	s_mul_hi_u32 s35, s43, s47
	s_wait_alu 0xfffe
	s_add_co_u32 s18, s48, s31
	s_add_co_ci_u32 s18, s49, s2
	s_mul_i32 s46, s43, s47
	s_add_co_ci_u32 s47, s35, 0
	s_wait_alu 0xfffe
	s_add_nc_u64 s[46:47], s[18:19], s[46:47]
	s_wait_alu 0xfffe
	s_add_co_u32 s42, s42, s46
	s_cselect_b32 s2, -1, 0
	s_wait_alu 0xfffe
	s_cmp_lg_u32 s2, 0
	s_add_co_ci_u32 s43, s43, s47
	s_wait_alu 0xfffe
	s_mul_u64 s[44:45], s[44:45], s[42:43]
	s_wait_alu 0xfffe
	s_mul_hi_u32 s47, s42, s45
	s_mul_i32 s46, s42, s45
	s_mul_hi_u32 s18, s42, s44
	s_mul_i32 s31, s43, s44
	s_wait_alu 0xfffe
	s_add_nc_u64 s[46:47], s[18:19], s[46:47]
	s_mul_hi_u32 s2, s43, s44
	s_mul_hi_u32 s35, s43, s45
	s_wait_alu 0xfffe
	s_add_co_u32 s18, s46, s31
	s_add_co_ci_u32 s18, s47, s2
	s_mul_i32 s44, s43, s45
	s_add_co_ci_u32 s45, s35, 0
	s_wait_alu 0xfffe
	s_add_nc_u64 s[44:45], s[18:19], s[44:45]
	s_wait_alu 0xfffe
	s_add_co_u32 s2, s42, s44
	s_cselect_b32 s18, -1, 0
	s_wait_alu 0xfffe
	v_mul_hi_u32 v10, v5, s2
	s_cmp_lg_u32 s18, 0
	v_mad_co_u64_u32 v[14:15], null, v8, s2, 0
	s_add_co_ci_u32 s18, s43, s45
	s_wait_alu 0xfffe
	v_mad_co_u64_u32 v[12:13], null, v5, s18, 0
	v_mad_co_u64_u32 v[16:17], null, v8, s18, 0
	s_delay_alu instid0(VALU_DEP_2) | instskip(SKIP_1) | instid1(VALU_DEP_3)
	v_add_co_u32 v10, vcc_lo, v10, v12
	s_wait_alu 0xfffd
	v_add_co_ci_u32_e64 v12, null, 0, v13, vcc_lo
	s_delay_alu instid0(VALU_DEP_2) | instskip(SKIP_1) | instid1(VALU_DEP_2)
	v_add_co_u32 v10, vcc_lo, v10, v14
	s_wait_alu 0xfffd
	v_add_co_ci_u32_e32 v10, vcc_lo, v12, v15, vcc_lo
	s_wait_alu 0xfffd
	v_add_co_ci_u32_e32 v12, vcc_lo, 0, v17, vcc_lo
	s_delay_alu instid0(VALU_DEP_2) | instskip(SKIP_1) | instid1(VALU_DEP_2)
	v_add_co_u32 v10, vcc_lo, v10, v16
	s_wait_alu 0xfffd
	v_add_co_ci_u32_e64 v14, null, 0, v12, vcc_lo
	s_delay_alu instid0(VALU_DEP_2) | instskip(SKIP_1) | instid1(VALU_DEP_3)
	v_mul_lo_u32 v15, s41, v10
	v_mad_co_u64_u32 v[12:13], null, s40, v10, 0
	v_mul_lo_u32 v16, s40, v14
	s_delay_alu instid0(VALU_DEP_2) | instskip(NEXT) | instid1(VALU_DEP_2)
	v_sub_co_u32 v5, vcc_lo, v5, v12
	v_add3_u32 v13, v13, v16, v15
	s_delay_alu instid0(VALU_DEP_1) | instskip(SKIP_2) | instid1(VALU_DEP_2)
	v_sub_nc_u32_e32 v15, v8, v13
	s_wait_alu 0xfffd
	v_sub_co_ci_u32_e64 v8, null, v8, v13, vcc_lo
	v_subrev_co_ci_u32_e64 v12, null, s41, v15, vcc_lo
	v_add_co_u32 v15, s2, v10, 2
	s_wait_alu 0xf1ff
	v_add_co_ci_u32_e64 v16, null, 0, v14, s2
	v_sub_co_u32 v17, s2, v5, s40
	s_wait_alu 0xf1ff
	v_subrev_co_ci_u32_e64 v12, null, 0, v12, s2
	s_delay_alu instid0(VALU_DEP_2) | instskip(SKIP_2) | instid1(VALU_DEP_3)
	v_cmp_le_u32_e32 vcc_lo, s40, v17
	s_wait_alu 0xfffd
	v_cndmask_b32_e64 v13, 0, -1, vcc_lo
	v_cmp_le_u32_e32 vcc_lo, s41, v12
	s_wait_alu 0xfffd
	v_cndmask_b32_e64 v17, 0, -1, vcc_lo
	;; [unrolled: 3-line block ×4, first 2 shown]
	v_cmp_eq_u32_e32 vcc_lo, s41, v12
	s_wait_alu 0xfffd
	v_cndmask_b32_e32 v12, v17, v13, vcc_lo
	v_add_co_u32 v13, vcc_lo, v10, 1
	s_wait_alu 0xfffd
	v_add_co_ci_u32_e64 v17, null, 0, v14, vcc_lo
	v_cmp_eq_u32_e32 vcc_lo, s41, v8
	s_wait_alu 0xfffd
	v_cndmask_b32_e32 v5, v18, v5, vcc_lo
	v_cmp_ne_u32_e32 vcc_lo, 0, v12
	s_wait_alu 0xfffd
	v_cndmask_b32_e32 v8, v17, v16, vcc_lo
	s_delay_alu instid0(VALU_DEP_3) | instskip(SKIP_2) | instid1(VALU_DEP_2)
	v_cmp_ne_u32_e64 s2, 0, v5
	v_cndmask_b32_e32 v5, v13, v15, vcc_lo
	s_wait_alu 0xf1ff
	v_cndmask_b32_e64 v8, v14, v8, s2
	s_delay_alu instid0(VALU_DEP_2) | instskip(NEXT) | instid1(VALU_DEP_2)
	v_cndmask_b32_e64 v5, v10, v5, s2
	v_xor_b32_e32 v8, v8, v3
	s_delay_alu instid0(VALU_DEP_2) | instskip(NEXT) | instid1(VALU_DEP_1)
	v_xor_b32_e32 v5, v5, v3
	v_sub_co_u32 v13, vcc_lo, v5, v3
	s_wait_alu 0xfffd
	s_delay_alu instid0(VALU_DEP_3)
	v_sub_co_ci_u32_e64 v14, null, v8, v3, vcc_lo
.LBB8_32:                               ;   in Loop: Header=BB8_22 Depth=2
	s_wait_alu 0xfffe
	s_and_not1_saveexec_b32 s2, s27
	s_cbranch_execz .LBB8_34
; %bb.33:                               ;   in Loop: Header=BB8_22 Depth=2
	v_cvt_f32_u32_e32 v3, s34
	s_sub_co_i32 s18, 0, s34
	v_mov_b32_e32 v14, v2
	s_delay_alu instid0(VALU_DEP_2) | instskip(NEXT) | instid1(TRANS32_DEP_1)
	v_rcp_iflag_f32_e32 v3, v3
	v_mul_f32_e32 v3, 0x4f7ffffe, v3
	s_delay_alu instid0(VALU_DEP_1) | instskip(SKIP_1) | instid1(VALU_DEP_1)
	v_cvt_u32_f32_e32 v3, v3
	s_wait_alu 0xfffe
	v_mul_lo_u32 v5, s18, v3
	s_delay_alu instid0(VALU_DEP_1) | instskip(NEXT) | instid1(VALU_DEP_1)
	v_mul_hi_u32 v5, v3, v5
	v_add_nc_u32_e32 v3, v3, v5
	s_delay_alu instid0(VALU_DEP_1) | instskip(NEXT) | instid1(VALU_DEP_1)
	v_mul_hi_u32 v3, v11, v3
	v_mul_lo_u32 v5, v3, s34
	s_delay_alu instid0(VALU_DEP_1) | instskip(NEXT) | instid1(VALU_DEP_1)
	v_sub_nc_u32_e32 v5, v11, v5
	v_subrev_nc_u32_e32 v10, s34, v5
	v_cmp_le_u32_e32 vcc_lo, s34, v5
	s_wait_alu 0xfffd
	s_delay_alu instid0(VALU_DEP_2) | instskip(NEXT) | instid1(VALU_DEP_1)
	v_dual_cndmask_b32 v5, v5, v10 :: v_dual_add_nc_u32 v8, 1, v3
	v_cndmask_b32_e32 v3, v3, v8, vcc_lo
	s_delay_alu instid0(VALU_DEP_2) | instskip(NEXT) | instid1(VALU_DEP_2)
	v_cmp_le_u32_e32 vcc_lo, s34, v5
	v_add_nc_u32_e32 v8, 1, v3
	s_wait_alu 0xfffd
	s_delay_alu instid0(VALU_DEP_1)
	v_cndmask_b32_e32 v13, v3, v8, vcc_lo
.LBB8_34:                               ;   in Loop: Header=BB8_22 Depth=2
	s_wait_alu 0xfffe
	s_or_b32 exec_lo, exec_lo, s2
	s_add_co_i32 s18, s26, 4
	s_add_nc_u64 s[38:39], s[0:1], s[38:39]
	s_wait_alu 0xfffe
	s_lshl_b64 s[40:41], s[18:19], 2
                                        ; implicit-def: $vgpr15_vgpr16
	s_mov_b32 s2, exec_lo
	s_wait_alu 0xfffe
	s_add_nc_u64 s[36:37], s[10:11], s[40:41]
	s_clause 0x1
	s_load_b32 s31, s[38:39], 0x6c
	s_load_b32 s36, s[36:37], 0x8
	s_wait_kmcnt 0x0
	s_ashr_i32 s37, s36, 31
	s_wait_alu 0xfffe
	v_or_b32_e32 v3, s37, v14
	s_delay_alu instid0(VALU_DEP_1)
	v_cmpx_ne_u64_e32 0, v[2:3]
	s_xor_b32 s27, exec_lo, s2
	s_cbranch_execz .LBB8_36
; %bb.35:                               ;   in Loop: Header=BB8_22 Depth=2
	s_ashr_i32 s38, s37, 31
	v_ashrrev_i32_e32 v3, 31, v14
	s_wait_alu 0xfffe
	s_mov_b32 s39, s38
	s_wait_alu 0xfffe
	s_add_nc_u64 s[42:43], s[36:37], s[38:39]
	v_add_co_u32 v5, vcc_lo, v13, v3
	s_wait_alu 0xfffe
	s_xor_b64 s[42:43], s[42:43], s[38:39]
	s_wait_alu 0xfffd
	v_add_co_ci_u32_e64 v8, null, v14, v3, vcc_lo
	s_wait_alu 0xfffe
	s_cvt_f32_u32 s2, s42
	s_cvt_f32_u32 s18, s43
	s_sub_nc_u64 s[46:47], 0, s[42:43]
	v_xor_b32_e32 v5, v5, v3
	v_xor_b32_e32 v8, v8, v3
	s_wait_alu 0xfffe
	s_fmamk_f32 s2, s18, 0x4f800000, s2
	v_xor_b32_e32 v3, s38, v3
	s_wait_alu 0xfffe
	s_delay_alu instid0(SALU_CYCLE_1) | instskip(NEXT) | instid1(TRANS32_DEP_1)
	v_s_rcp_f32 s2, s2
	s_mul_f32 s2, s2, 0x5f7ffffc
	s_wait_alu 0xfffe
	s_delay_alu instid0(SALU_CYCLE_2) | instskip(SKIP_1) | instid1(SALU_CYCLE_2)
	s_mul_f32 s18, s2, 0x2f800000
	s_wait_alu 0xfffe
	s_trunc_f32 s18, s18
	s_wait_alu 0xfffe
	s_delay_alu instid0(SALU_CYCLE_2) | instskip(SKIP_2) | instid1(SALU_CYCLE_1)
	s_fmamk_f32 s2, s18, 0xcf800000, s2
	s_cvt_u32_f32 s45, s18
	s_wait_alu 0xfffe
	s_cvt_u32_f32 s44, s2
	s_wait_alu 0xfffe
	s_delay_alu instid0(SALU_CYCLE_2)
	s_mul_u64 s[48:49], s[46:47], s[44:45]
	s_wait_alu 0xfffe
	s_mul_hi_u32 s51, s44, s49
	s_mul_i32 s50, s44, s49
	s_mul_hi_u32 s18, s44, s48
	s_mul_i32 s35, s45, s48
	s_wait_alu 0xfffe
	s_add_nc_u64 s[50:51], s[18:19], s[50:51]
	s_mul_hi_u32 s2, s45, s48
	s_mul_hi_u32 s37, s45, s49
	s_wait_alu 0xfffe
	s_add_co_u32 s18, s50, s35
	s_add_co_ci_u32 s18, s51, s2
	s_mul_i32 s48, s45, s49
	s_add_co_ci_u32 s49, s37, 0
	s_wait_alu 0xfffe
	s_add_nc_u64 s[48:49], s[18:19], s[48:49]
	s_wait_alu 0xfffe
	s_add_co_u32 s44, s44, s48
	s_cselect_b32 s2, -1, 0
	s_wait_alu 0xfffe
	s_cmp_lg_u32 s2, 0
	s_add_co_ci_u32 s45, s45, s49
	s_wait_alu 0xfffe
	s_mul_u64 s[46:47], s[46:47], s[44:45]
	s_wait_alu 0xfffe
	s_mul_hi_u32 s49, s44, s47
	s_mul_i32 s48, s44, s47
	s_mul_hi_u32 s18, s44, s46
	s_mul_i32 s35, s45, s46
	s_wait_alu 0xfffe
	s_add_nc_u64 s[48:49], s[18:19], s[48:49]
	s_mul_hi_u32 s2, s45, s46
	s_mul_hi_u32 s37, s45, s47
	s_wait_alu 0xfffe
	s_add_co_u32 s18, s48, s35
	s_add_co_ci_u32 s18, s49, s2
	s_mul_i32 s46, s45, s47
	s_add_co_ci_u32 s47, s37, 0
	s_wait_alu 0xfffe
	s_add_nc_u64 s[46:47], s[18:19], s[46:47]
	s_wait_alu 0xfffe
	s_add_co_u32 s2, s44, s46
	s_cselect_b32 s18, -1, 0
	s_wait_alu 0xfffe
	v_mul_hi_u32 v10, v5, s2
	s_cmp_lg_u32 s18, 0
	v_mad_co_u64_u32 v[16:17], null, v8, s2, 0
	s_add_co_ci_u32 s18, s45, s47
	s_wait_alu 0xfffe
	v_mad_co_u64_u32 v[14:15], null, v5, s18, 0
	v_mad_co_u64_u32 v[18:19], null, v8, s18, 0
	s_delay_alu instid0(VALU_DEP_2) | instskip(SKIP_1) | instid1(VALU_DEP_3)
	v_add_co_u32 v10, vcc_lo, v10, v14
	s_wait_alu 0xfffd
	v_add_co_ci_u32_e64 v12, null, 0, v15, vcc_lo
	s_delay_alu instid0(VALU_DEP_2) | instskip(SKIP_1) | instid1(VALU_DEP_2)
	v_add_co_u32 v10, vcc_lo, v10, v16
	s_wait_alu 0xfffd
	v_add_co_ci_u32_e32 v10, vcc_lo, v12, v17, vcc_lo
	s_wait_alu 0xfffd
	v_add_co_ci_u32_e32 v12, vcc_lo, 0, v19, vcc_lo
	s_delay_alu instid0(VALU_DEP_2) | instskip(SKIP_1) | instid1(VALU_DEP_2)
	v_add_co_u32 v10, vcc_lo, v10, v18
	s_wait_alu 0xfffd
	v_add_co_ci_u32_e64 v12, null, 0, v12, vcc_lo
	s_delay_alu instid0(VALU_DEP_2) | instskip(SKIP_1) | instid1(VALU_DEP_3)
	v_mul_lo_u32 v16, s43, v10
	v_mad_co_u64_u32 v[14:15], null, s42, v10, 0
	v_mul_lo_u32 v17, s42, v12
	s_delay_alu instid0(VALU_DEP_2) | instskip(NEXT) | instid1(VALU_DEP_2)
	v_sub_co_u32 v5, vcc_lo, v5, v14
	v_add3_u32 v15, v15, v17, v16
	s_delay_alu instid0(VALU_DEP_1) | instskip(SKIP_2) | instid1(VALU_DEP_2)
	v_sub_nc_u32_e32 v16, v8, v15
	s_wait_alu 0xfffd
	v_sub_co_ci_u32_e64 v8, null, v8, v15, vcc_lo
	v_subrev_co_ci_u32_e64 v14, null, s43, v16, vcc_lo
	v_add_co_u32 v16, s2, v10, 2
	s_wait_alu 0xf1ff
	v_add_co_ci_u32_e64 v17, null, 0, v12, s2
	v_sub_co_u32 v18, s2, v5, s42
	s_wait_alu 0xf1ff
	v_subrev_co_ci_u32_e64 v14, null, 0, v14, s2
	s_delay_alu instid0(VALU_DEP_2) | instskip(SKIP_2) | instid1(VALU_DEP_3)
	v_cmp_le_u32_e32 vcc_lo, s42, v18
	s_wait_alu 0xfffd
	v_cndmask_b32_e64 v15, 0, -1, vcc_lo
	v_cmp_le_u32_e32 vcc_lo, s43, v14
	s_wait_alu 0xfffd
	v_cndmask_b32_e64 v18, 0, -1, vcc_lo
	;; [unrolled: 3-line block ×4, first 2 shown]
	v_cmp_eq_u32_e32 vcc_lo, s43, v14
	s_wait_alu 0xfffd
	v_cndmask_b32_e32 v14, v18, v15, vcc_lo
	v_add_co_u32 v15, vcc_lo, v10, 1
	s_wait_alu 0xfffd
	v_add_co_ci_u32_e64 v18, null, 0, v12, vcc_lo
	v_cmp_eq_u32_e32 vcc_lo, s43, v8
	s_wait_alu 0xfffd
	v_cndmask_b32_e32 v5, v19, v5, vcc_lo
	v_cmp_ne_u32_e32 vcc_lo, 0, v14
	s_delay_alu instid0(VALU_DEP_2) | instskip(SKIP_3) | instid1(VALU_DEP_1)
	v_cmp_ne_u32_e64 s2, 0, v5
	s_wait_alu 0xfffd
	v_dual_cndmask_b32 v8, v18, v17 :: v_dual_cndmask_b32 v5, v15, v16
	s_wait_alu 0xf1ff
	v_cndmask_b32_e64 v8, v12, v8, s2
	s_delay_alu instid0(VALU_DEP_2) | instskip(NEXT) | instid1(VALU_DEP_2)
	v_cndmask_b32_e64 v5, v10, v5, s2
	v_xor_b32_e32 v8, v8, v3
	s_delay_alu instid0(VALU_DEP_2) | instskip(NEXT) | instid1(VALU_DEP_1)
	v_xor_b32_e32 v5, v5, v3
	v_sub_co_u32 v15, vcc_lo, v5, v3
	s_wait_alu 0xfffd
	s_delay_alu instid0(VALU_DEP_3)
	v_sub_co_ci_u32_e64 v16, null, v8, v3, vcc_lo
.LBB8_36:                               ;   in Loop: Header=BB8_22 Depth=2
	s_wait_alu 0xfffe
	s_and_not1_saveexec_b32 s2, s27
	s_cbranch_execz .LBB8_38
; %bb.37:                               ;   in Loop: Header=BB8_22 Depth=2
	v_cvt_f32_u32_e32 v3, s36
	s_sub_co_i32 s18, 0, s36
	v_mov_b32_e32 v16, v2
	s_delay_alu instid0(VALU_DEP_2) | instskip(NEXT) | instid1(TRANS32_DEP_1)
	v_rcp_iflag_f32_e32 v3, v3
	v_mul_f32_e32 v3, 0x4f7ffffe, v3
	s_delay_alu instid0(VALU_DEP_1) | instskip(SKIP_1) | instid1(VALU_DEP_1)
	v_cvt_u32_f32_e32 v3, v3
	s_wait_alu 0xfffe
	v_mul_lo_u32 v5, s18, v3
	s_delay_alu instid0(VALU_DEP_1) | instskip(NEXT) | instid1(VALU_DEP_1)
	v_mul_hi_u32 v5, v3, v5
	v_add_nc_u32_e32 v3, v3, v5
	s_delay_alu instid0(VALU_DEP_1) | instskip(NEXT) | instid1(VALU_DEP_1)
	v_mul_hi_u32 v3, v13, v3
	v_mul_lo_u32 v5, v3, s36
	s_delay_alu instid0(VALU_DEP_1) | instskip(NEXT) | instid1(VALU_DEP_1)
	v_sub_nc_u32_e32 v5, v13, v5
	v_subrev_nc_u32_e32 v10, s36, v5
	v_cmp_le_u32_e32 vcc_lo, s36, v5
	s_wait_alu 0xfffd
	s_delay_alu instid0(VALU_DEP_2) | instskip(NEXT) | instid1(VALU_DEP_1)
	v_dual_cndmask_b32 v5, v5, v10 :: v_dual_add_nc_u32 v8, 1, v3
	v_cndmask_b32_e32 v3, v3, v8, vcc_lo
	s_delay_alu instid0(VALU_DEP_2) | instskip(NEXT) | instid1(VALU_DEP_2)
	v_cmp_le_u32_e32 vcc_lo, s36, v5
	v_add_nc_u32_e32 v8, 1, v3
	s_wait_alu 0xfffd
	s_delay_alu instid0(VALU_DEP_1)
	v_cndmask_b32_e32 v15, v3, v8, vcc_lo
.LBB8_38:                               ;   in Loop: Header=BB8_22 Depth=2
	s_wait_alu 0xfffe
	s_or_b32 exec_lo, exec_lo, s2
	s_add_co_i32 s18, s26, 3
	s_add_nc_u64 s[40:41], s[0:1], s[40:41]
	s_wait_alu 0xfffe
	s_lshl_b64 s[42:43], s[18:19], 2
                                        ; implicit-def: $vgpr17_vgpr18
	s_mov_b32 s2, exec_lo
	s_wait_alu 0xfffe
	s_add_nc_u64 s[38:39], s[10:11], s[42:43]
	s_clause 0x1
	s_load_b32 s35, s[40:41], 0x6c
	s_load_b32 s38, s[38:39], 0x8
	s_wait_kmcnt 0x0
	s_ashr_i32 s39, s38, 31
	s_wait_alu 0xfffe
	v_or_b32_e32 v3, s39, v16
	s_delay_alu instid0(VALU_DEP_1)
	v_cmpx_ne_u64_e32 0, v[2:3]
	s_xor_b32 s27, exec_lo, s2
	s_cbranch_execz .LBB8_40
; %bb.39:                               ;   in Loop: Header=BB8_22 Depth=2
	s_ashr_i32 s40, s39, 31
	v_ashrrev_i32_e32 v3, 31, v16
	s_wait_alu 0xfffe
	s_mov_b32 s41, s40
	s_wait_alu 0xfffe
	s_add_nc_u64 s[44:45], s[38:39], s[40:41]
	v_add_co_u32 v5, vcc_lo, v15, v3
	s_wait_alu 0xfffe
	s_xor_b64 s[44:45], s[44:45], s[40:41]
	s_wait_alu 0xfffd
	v_add_co_ci_u32_e64 v8, null, v16, v3, vcc_lo
	s_wait_alu 0xfffe
	s_cvt_f32_u32 s2, s44
	s_cvt_f32_u32 s18, s45
	s_sub_nc_u64 s[48:49], 0, s[44:45]
	v_xor_b32_e32 v5, v5, v3
	v_xor_b32_e32 v8, v8, v3
	s_wait_alu 0xfffe
	s_fmamk_f32 s2, s18, 0x4f800000, s2
	v_xor_b32_e32 v3, s40, v3
	s_wait_alu 0xfffe
	s_delay_alu instid0(SALU_CYCLE_1) | instskip(NEXT) | instid1(TRANS32_DEP_1)
	v_s_rcp_f32 s2, s2
	s_mul_f32 s2, s2, 0x5f7ffffc
	s_wait_alu 0xfffe
	s_delay_alu instid0(SALU_CYCLE_2) | instskip(SKIP_1) | instid1(SALU_CYCLE_2)
	s_mul_f32 s18, s2, 0x2f800000
	s_wait_alu 0xfffe
	s_trunc_f32 s18, s18
	s_wait_alu 0xfffe
	s_delay_alu instid0(SALU_CYCLE_2) | instskip(SKIP_2) | instid1(SALU_CYCLE_1)
	s_fmamk_f32 s2, s18, 0xcf800000, s2
	s_cvt_u32_f32 s47, s18
	s_wait_alu 0xfffe
	s_cvt_u32_f32 s46, s2
	s_wait_alu 0xfffe
	s_delay_alu instid0(SALU_CYCLE_2)
	s_mul_u64 s[50:51], s[48:49], s[46:47]
	s_wait_alu 0xfffe
	s_mul_hi_u32 s59, s46, s51
	s_mul_i32 s58, s46, s51
	s_mul_hi_u32 s18, s46, s50
	s_mul_i32 s37, s47, s50
	s_wait_alu 0xfffe
	s_add_nc_u64 s[58:59], s[18:19], s[58:59]
	s_mul_hi_u32 s2, s47, s50
	s_mul_hi_u32 s39, s47, s51
	s_add_co_u32 s18, s58, s37
	s_wait_alu 0xfffe
	s_add_co_ci_u32 s18, s59, s2
	s_mul_i32 s50, s47, s51
	s_add_co_ci_u32 s51, s39, 0
	s_wait_alu 0xfffe
	s_add_nc_u64 s[50:51], s[18:19], s[50:51]
	s_wait_alu 0xfffe
	s_add_co_u32 s46, s46, s50
	s_cselect_b32 s2, -1, 0
	s_wait_alu 0xfffe
	s_cmp_lg_u32 s2, 0
	s_add_co_ci_u32 s47, s47, s51
	s_wait_alu 0xfffe
	s_mul_u64 s[48:49], s[48:49], s[46:47]
	s_wait_alu 0xfffe
	s_mul_hi_u32 s51, s46, s49
	s_mul_i32 s50, s46, s49
	s_mul_hi_u32 s18, s46, s48
	s_mul_i32 s37, s47, s48
	s_wait_alu 0xfffe
	s_add_nc_u64 s[50:51], s[18:19], s[50:51]
	s_mul_hi_u32 s2, s47, s48
	s_mul_hi_u32 s39, s47, s49
	s_wait_alu 0xfffe
	s_add_co_u32 s18, s50, s37
	s_add_co_ci_u32 s18, s51, s2
	s_mul_i32 s48, s47, s49
	s_add_co_ci_u32 s49, s39, 0
	s_wait_alu 0xfffe
	s_add_nc_u64 s[48:49], s[18:19], s[48:49]
	s_wait_alu 0xfffe
	s_add_co_u32 s2, s46, s48
	s_cselect_b32 s18, -1, 0
	s_wait_alu 0xfffe
	v_mul_hi_u32 v10, v5, s2
	s_cmp_lg_u32 s18, 0
	v_mad_co_u64_u32 v[18:19], null, v8, s2, 0
	s_add_co_ci_u32 s18, s47, s49
	s_wait_alu 0xfffe
	v_mad_co_u64_u32 v[16:17], null, v5, s18, 0
	v_mad_co_u64_u32 v[20:21], null, v8, s18, 0
	s_delay_alu instid0(VALU_DEP_2) | instskip(SKIP_1) | instid1(VALU_DEP_3)
	v_add_co_u32 v10, vcc_lo, v10, v16
	s_wait_alu 0xfffd
	v_add_co_ci_u32_e64 v12, null, 0, v17, vcc_lo
	s_delay_alu instid0(VALU_DEP_2) | instskip(SKIP_1) | instid1(VALU_DEP_2)
	v_add_co_u32 v10, vcc_lo, v10, v18
	s_wait_alu 0xfffd
	v_add_co_ci_u32_e32 v10, vcc_lo, v12, v19, vcc_lo
	s_wait_alu 0xfffd
	v_add_co_ci_u32_e32 v12, vcc_lo, 0, v21, vcc_lo
	s_delay_alu instid0(VALU_DEP_2) | instskip(SKIP_1) | instid1(VALU_DEP_2)
	v_add_co_u32 v10, vcc_lo, v10, v20
	s_wait_alu 0xfffd
	v_add_co_ci_u32_e64 v12, null, 0, v12, vcc_lo
	s_delay_alu instid0(VALU_DEP_2) | instskip(SKIP_1) | instid1(VALU_DEP_3)
	v_mul_lo_u32 v14, s45, v10
	v_mad_co_u64_u32 v[16:17], null, s44, v10, 0
	v_mul_lo_u32 v18, s44, v12
	s_delay_alu instid0(VALU_DEP_2) | instskip(NEXT) | instid1(VALU_DEP_2)
	v_sub_co_u32 v5, vcc_lo, v5, v16
	v_add3_u32 v14, v17, v18, v14
	s_delay_alu instid0(VALU_DEP_1) | instskip(SKIP_2) | instid1(VALU_DEP_2)
	v_sub_nc_u32_e32 v17, v8, v14
	s_wait_alu 0xfffd
	v_sub_co_ci_u32_e64 v8, null, v8, v14, vcc_lo
	v_subrev_co_ci_u32_e64 v16, null, s45, v17, vcc_lo
	v_add_co_u32 v17, s2, v10, 2
	s_wait_alu 0xf1ff
	v_add_co_ci_u32_e64 v18, null, 0, v12, s2
	v_sub_co_u32 v19, s2, v5, s44
	s_wait_alu 0xf1ff
	v_subrev_co_ci_u32_e64 v16, null, 0, v16, s2
	s_delay_alu instid0(VALU_DEP_2) | instskip(SKIP_2) | instid1(VALU_DEP_3)
	v_cmp_le_u32_e32 vcc_lo, s44, v19
	s_wait_alu 0xfffd
	v_cndmask_b32_e64 v14, 0, -1, vcc_lo
	v_cmp_le_u32_e32 vcc_lo, s45, v16
	s_wait_alu 0xfffd
	v_cndmask_b32_e64 v19, 0, -1, vcc_lo
	;; [unrolled: 3-line block ×4, first 2 shown]
	v_cmp_eq_u32_e32 vcc_lo, s45, v16
	s_wait_alu 0xfffd
	v_cndmask_b32_e32 v14, v19, v14, vcc_lo
	v_add_co_u32 v16, vcc_lo, v10, 1
	s_wait_alu 0xfffd
	v_add_co_ci_u32_e64 v19, null, 0, v12, vcc_lo
	v_cmp_eq_u32_e32 vcc_lo, s45, v8
	s_wait_alu 0xfffd
	v_cndmask_b32_e32 v5, v20, v5, vcc_lo
	v_cmp_ne_u32_e32 vcc_lo, 0, v14
	s_delay_alu instid0(VALU_DEP_2) | instskip(SKIP_3) | instid1(VALU_DEP_1)
	v_cmp_ne_u32_e64 s2, 0, v5
	s_wait_alu 0xfffd
	v_dual_cndmask_b32 v8, v19, v18 :: v_dual_cndmask_b32 v5, v16, v17
	s_wait_alu 0xf1ff
	v_cndmask_b32_e64 v8, v12, v8, s2
	s_delay_alu instid0(VALU_DEP_2) | instskip(NEXT) | instid1(VALU_DEP_2)
	v_cndmask_b32_e64 v5, v10, v5, s2
	v_xor_b32_e32 v8, v8, v3
	s_delay_alu instid0(VALU_DEP_2) | instskip(NEXT) | instid1(VALU_DEP_1)
	v_xor_b32_e32 v5, v5, v3
	v_sub_co_u32 v17, vcc_lo, v5, v3
	s_wait_alu 0xfffd
	s_delay_alu instid0(VALU_DEP_3)
	v_sub_co_ci_u32_e64 v18, null, v8, v3, vcc_lo
.LBB8_40:                               ;   in Loop: Header=BB8_22 Depth=2
	s_wait_alu 0xfffe
	s_and_not1_saveexec_b32 s2, s27
	s_cbranch_execz .LBB8_42
; %bb.41:                               ;   in Loop: Header=BB8_22 Depth=2
	v_cvt_f32_u32_e32 v3, s38
	s_sub_co_i32 s18, 0, s38
	v_mov_b32_e32 v18, v2
	s_delay_alu instid0(VALU_DEP_2) | instskip(NEXT) | instid1(TRANS32_DEP_1)
	v_rcp_iflag_f32_e32 v3, v3
	v_mul_f32_e32 v3, 0x4f7ffffe, v3
	s_delay_alu instid0(VALU_DEP_1) | instskip(SKIP_1) | instid1(VALU_DEP_1)
	v_cvt_u32_f32_e32 v3, v3
	s_wait_alu 0xfffe
	v_mul_lo_u32 v5, s18, v3
	s_delay_alu instid0(VALU_DEP_1) | instskip(NEXT) | instid1(VALU_DEP_1)
	v_mul_hi_u32 v5, v3, v5
	v_add_nc_u32_e32 v3, v3, v5
	s_delay_alu instid0(VALU_DEP_1) | instskip(NEXT) | instid1(VALU_DEP_1)
	v_mul_hi_u32 v3, v15, v3
	v_mul_lo_u32 v5, v3, s38
	s_delay_alu instid0(VALU_DEP_1) | instskip(NEXT) | instid1(VALU_DEP_1)
	v_sub_nc_u32_e32 v5, v15, v5
	v_subrev_nc_u32_e32 v10, s38, v5
	v_cmp_le_u32_e32 vcc_lo, s38, v5
	s_wait_alu 0xfffd
	s_delay_alu instid0(VALU_DEP_2) | instskip(NEXT) | instid1(VALU_DEP_1)
	v_dual_cndmask_b32 v5, v5, v10 :: v_dual_add_nc_u32 v8, 1, v3
	v_cndmask_b32_e32 v3, v3, v8, vcc_lo
	s_delay_alu instid0(VALU_DEP_2) | instskip(NEXT) | instid1(VALU_DEP_2)
	v_cmp_le_u32_e32 vcc_lo, s38, v5
	v_add_nc_u32_e32 v8, 1, v3
	s_wait_alu 0xfffd
	s_delay_alu instid0(VALU_DEP_1)
	v_cndmask_b32_e32 v17, v3, v8, vcc_lo
.LBB8_42:                               ;   in Loop: Header=BB8_22 Depth=2
	s_wait_alu 0xfffe
	s_or_b32 exec_lo, exec_lo, s2
	s_add_co_i32 s18, s26, 2
	s_add_nc_u64 s[42:43], s[0:1], s[42:43]
	s_wait_alu 0xfffe
	s_lshl_b64 s[44:45], s[18:19], 2
                                        ; implicit-def: $vgpr19_vgpr20
	s_mov_b32 s2, exec_lo
	s_wait_alu 0xfffe
	s_add_nc_u64 s[40:41], s[10:11], s[44:45]
	s_clause 0x1
	s_load_b32 s37, s[42:43], 0x6c
	s_load_b32 s40, s[40:41], 0x8
	s_wait_kmcnt 0x0
	s_ashr_i32 s41, s40, 31
	s_wait_alu 0xfffe
	v_or_b32_e32 v3, s41, v18
	s_delay_alu instid0(VALU_DEP_1)
	v_cmpx_ne_u64_e32 0, v[2:3]
	s_xor_b32 s27, exec_lo, s2
	s_cbranch_execz .LBB8_44
; %bb.43:                               ;   in Loop: Header=BB8_22 Depth=2
	s_ashr_i32 s42, s41, 31
	v_ashrrev_i32_e32 v3, 31, v18
	s_wait_alu 0xfffe
	s_mov_b32 s43, s42
	s_wait_alu 0xfffe
	s_add_nc_u64 s[46:47], s[40:41], s[42:43]
	v_add_co_u32 v5, vcc_lo, v17, v3
	s_wait_alu 0xfffe
	s_xor_b64 s[46:47], s[46:47], s[42:43]
	s_wait_alu 0xfffd
	v_add_co_ci_u32_e64 v8, null, v18, v3, vcc_lo
	s_wait_alu 0xfffe
	s_cvt_f32_u32 s2, s46
	s_cvt_f32_u32 s18, s47
	s_sub_nc_u64 s[50:51], 0, s[46:47]
	v_xor_b32_e32 v5, v5, v3
	v_xor_b32_e32 v8, v8, v3
	s_wait_alu 0xfffe
	s_fmamk_f32 s2, s18, 0x4f800000, s2
	v_xor_b32_e32 v3, s42, v3
	s_wait_alu 0xfffe
	s_delay_alu instid0(SALU_CYCLE_1) | instskip(NEXT) | instid1(TRANS32_DEP_1)
	v_s_rcp_f32 s2, s2
	s_mul_f32 s2, s2, 0x5f7ffffc
	s_wait_alu 0xfffe
	s_delay_alu instid0(SALU_CYCLE_2) | instskip(SKIP_1) | instid1(SALU_CYCLE_2)
	s_mul_f32 s18, s2, 0x2f800000
	s_wait_alu 0xfffe
	s_trunc_f32 s18, s18
	s_wait_alu 0xfffe
	s_delay_alu instid0(SALU_CYCLE_2) | instskip(SKIP_2) | instid1(SALU_CYCLE_1)
	s_fmamk_f32 s2, s18, 0xcf800000, s2
	s_cvt_u32_f32 s49, s18
	s_wait_alu 0xfffe
	s_cvt_u32_f32 s48, s2
	s_wait_alu 0xfffe
	s_delay_alu instid0(SALU_CYCLE_2) | instskip(NEXT) | instid1(SALU_CYCLE_1)
	s_mul_u64 s[58:59], s[50:51], s[48:49]
	s_mul_hi_u32 s61, s48, s59
	s_mul_i32 s60, s48, s59
	s_mul_hi_u32 s18, s48, s58
	s_mul_i32 s39, s49, s58
	s_wait_alu 0xfffe
	s_add_nc_u64 s[60:61], s[18:19], s[60:61]
	s_mul_hi_u32 s2, s49, s58
	s_mul_hi_u32 s41, s49, s59
	s_add_co_u32 s18, s60, s39
	s_wait_alu 0xfffe
	s_add_co_ci_u32 s18, s61, s2
	s_mul_i32 s58, s49, s59
	s_add_co_ci_u32 s59, s41, 0
	s_wait_alu 0xfffe
	s_add_nc_u64 s[58:59], s[18:19], s[58:59]
	s_delay_alu instid0(SALU_CYCLE_1)
	s_add_co_u32 s48, s48, s58
	s_cselect_b32 s2, -1, 0
	s_wait_alu 0xfffe
	s_cmp_lg_u32 s2, 0
	s_add_co_ci_u32 s49, s49, s59
	s_wait_alu 0xfffe
	s_mul_u64 s[50:51], s[50:51], s[48:49]
	s_wait_alu 0xfffe
	s_mul_hi_u32 s59, s48, s51
	s_mul_i32 s58, s48, s51
	s_mul_hi_u32 s18, s48, s50
	s_mul_i32 s39, s49, s50
	s_wait_alu 0xfffe
	s_add_nc_u64 s[58:59], s[18:19], s[58:59]
	s_mul_hi_u32 s2, s49, s50
	s_mul_hi_u32 s41, s49, s51
	s_add_co_u32 s18, s58, s39
	s_wait_alu 0xfffe
	s_add_co_ci_u32 s18, s59, s2
	s_mul_i32 s50, s49, s51
	s_add_co_ci_u32 s51, s41, 0
	s_wait_alu 0xfffe
	s_add_nc_u64 s[50:51], s[18:19], s[50:51]
	s_wait_alu 0xfffe
	s_add_co_u32 s2, s48, s50
	s_cselect_b32 s18, -1, 0
	s_wait_alu 0xfffe
	v_mul_hi_u32 v10, v5, s2
	s_cmp_lg_u32 s18, 0
	v_mad_co_u64_u32 v[20:21], null, v8, s2, 0
	s_add_co_ci_u32 s18, s49, s51
	s_wait_alu 0xfffe
	v_mad_co_u64_u32 v[18:19], null, v5, s18, 0
	v_mad_co_u64_u32 v[22:23], null, v8, s18, 0
	s_delay_alu instid0(VALU_DEP_2) | instskip(SKIP_1) | instid1(VALU_DEP_3)
	v_add_co_u32 v10, vcc_lo, v10, v18
	s_wait_alu 0xfffd
	v_add_co_ci_u32_e64 v12, null, 0, v19, vcc_lo
	s_delay_alu instid0(VALU_DEP_2) | instskip(SKIP_1) | instid1(VALU_DEP_2)
	v_add_co_u32 v10, vcc_lo, v10, v20
	s_wait_alu 0xfffd
	v_add_co_ci_u32_e32 v10, vcc_lo, v12, v21, vcc_lo
	s_wait_alu 0xfffd
	v_add_co_ci_u32_e32 v12, vcc_lo, 0, v23, vcc_lo
	s_delay_alu instid0(VALU_DEP_2) | instskip(SKIP_1) | instid1(VALU_DEP_2)
	v_add_co_u32 v10, vcc_lo, v10, v22
	s_wait_alu 0xfffd
	v_add_co_ci_u32_e64 v12, null, 0, v12, vcc_lo
	s_delay_alu instid0(VALU_DEP_2) | instskip(SKIP_1) | instid1(VALU_DEP_3)
	v_mul_lo_u32 v14, s47, v10
	v_mad_co_u64_u32 v[18:19], null, s46, v10, 0
	v_mul_lo_u32 v16, s46, v12
	s_delay_alu instid0(VALU_DEP_2) | instskip(NEXT) | instid1(VALU_DEP_2)
	v_sub_co_u32 v5, vcc_lo, v5, v18
	v_add3_u32 v14, v19, v16, v14
	v_add_co_u32 v18, s2, v10, 2
	s_wait_alu 0xf1ff
	v_add_co_ci_u32_e64 v19, null, 0, v12, s2
	s_delay_alu instid0(VALU_DEP_3) | instskip(SKIP_3) | instid1(VALU_DEP_3)
	v_sub_nc_u32_e32 v16, v8, v14
	v_sub_co_u32 v20, s2, v5, s46
	s_wait_alu 0xfffd
	v_sub_co_ci_u32_e64 v8, null, v8, v14, vcc_lo
	v_subrev_co_ci_u32_e64 v16, null, s47, v16, vcc_lo
	s_delay_alu instid0(VALU_DEP_3) | instskip(SKIP_1) | instid1(VALU_DEP_2)
	v_cmp_le_u32_e32 vcc_lo, s46, v20
	s_wait_alu 0xf1ff
	v_subrev_co_ci_u32_e64 v16, null, 0, v16, s2
	s_wait_alu 0xfffd
	v_cndmask_b32_e64 v14, 0, -1, vcc_lo
	s_delay_alu instid0(VALU_DEP_2)
	v_cmp_le_u32_e32 vcc_lo, s47, v16
	s_wait_alu 0xfffd
	v_cndmask_b32_e64 v20, 0, -1, vcc_lo
	v_cmp_le_u32_e32 vcc_lo, s46, v5
	s_wait_alu 0xfffd
	v_cndmask_b32_e64 v5, 0, -1, vcc_lo
	v_cmp_le_u32_e32 vcc_lo, s47, v8
	s_wait_alu 0xfffd
	v_cndmask_b32_e64 v21, 0, -1, vcc_lo
	v_cmp_eq_u32_e32 vcc_lo, s47, v16
	s_wait_alu 0xfffd
	v_cndmask_b32_e32 v14, v20, v14, vcc_lo
	v_add_co_u32 v16, vcc_lo, v10, 1
	s_wait_alu 0xfffd
	v_add_co_ci_u32_e64 v20, null, 0, v12, vcc_lo
	v_cmp_eq_u32_e32 vcc_lo, s47, v8
	s_wait_alu 0xfffd
	v_cndmask_b32_e32 v5, v21, v5, vcc_lo
	v_cmp_ne_u32_e32 vcc_lo, 0, v14
	s_delay_alu instid0(VALU_DEP_2) | instskip(SKIP_4) | instid1(VALU_DEP_2)
	v_cmp_ne_u32_e64 s2, 0, v5
	s_wait_alu 0xfffd
	v_cndmask_b32_e32 v5, v16, v18, vcc_lo
	v_cndmask_b32_e32 v8, v20, v19, vcc_lo
	s_wait_alu 0xf1ff
	v_cndmask_b32_e64 v5, v10, v5, s2
	s_delay_alu instid0(VALU_DEP_2) | instskip(NEXT) | instid1(VALU_DEP_2)
	v_cndmask_b32_e64 v8, v12, v8, s2
	v_xor_b32_e32 v5, v5, v3
	s_delay_alu instid0(VALU_DEP_2) | instskip(NEXT) | instid1(VALU_DEP_2)
	v_xor_b32_e32 v8, v8, v3
	v_sub_co_u32 v19, vcc_lo, v5, v3
	s_wait_alu 0xfffd
	s_delay_alu instid0(VALU_DEP_2)
	v_sub_co_ci_u32_e64 v20, null, v8, v3, vcc_lo
.LBB8_44:                               ;   in Loop: Header=BB8_22 Depth=2
	s_wait_alu 0xfffe
	s_and_not1_saveexec_b32 s2, s27
	s_cbranch_execz .LBB8_46
; %bb.45:                               ;   in Loop: Header=BB8_22 Depth=2
	v_cvt_f32_u32_e32 v3, s40
	s_sub_co_i32 s18, 0, s40
	v_mov_b32_e32 v20, v2
	s_delay_alu instid0(VALU_DEP_2) | instskip(NEXT) | instid1(TRANS32_DEP_1)
	v_rcp_iflag_f32_e32 v3, v3
	v_mul_f32_e32 v3, 0x4f7ffffe, v3
	s_delay_alu instid0(VALU_DEP_1) | instskip(SKIP_1) | instid1(VALU_DEP_1)
	v_cvt_u32_f32_e32 v3, v3
	s_wait_alu 0xfffe
	v_mul_lo_u32 v5, s18, v3
	s_delay_alu instid0(VALU_DEP_1) | instskip(NEXT) | instid1(VALU_DEP_1)
	v_mul_hi_u32 v5, v3, v5
	v_add_nc_u32_e32 v3, v3, v5
	s_delay_alu instid0(VALU_DEP_1) | instskip(NEXT) | instid1(VALU_DEP_1)
	v_mul_hi_u32 v3, v17, v3
	v_mul_lo_u32 v5, v3, s40
	s_delay_alu instid0(VALU_DEP_1) | instskip(NEXT) | instid1(VALU_DEP_1)
	v_sub_nc_u32_e32 v5, v17, v5
	v_subrev_nc_u32_e32 v10, s40, v5
	v_cmp_le_u32_e32 vcc_lo, s40, v5
	s_wait_alu 0xfffd
	s_delay_alu instid0(VALU_DEP_2) | instskip(NEXT) | instid1(VALU_DEP_1)
	v_dual_cndmask_b32 v5, v5, v10 :: v_dual_add_nc_u32 v8, 1, v3
	v_cndmask_b32_e32 v3, v3, v8, vcc_lo
	s_delay_alu instid0(VALU_DEP_2) | instskip(NEXT) | instid1(VALU_DEP_2)
	v_cmp_le_u32_e32 vcc_lo, s40, v5
	v_add_nc_u32_e32 v8, 1, v3
	s_wait_alu 0xfffd
	s_delay_alu instid0(VALU_DEP_1)
	v_cndmask_b32_e32 v19, v3, v8, vcc_lo
.LBB8_46:                               ;   in Loop: Header=BB8_22 Depth=2
	s_wait_alu 0xfffe
	s_or_b32 exec_lo, exec_lo, s2
	s_add_co_i32 s18, s26, 1
	s_add_nc_u64 s[44:45], s[0:1], s[44:45]
	s_wait_alu 0xfffe
	s_lshl_b64 s[48:49], s[18:19], 2
                                        ; implicit-def: $vgpr21_vgpr22
	s_mov_b32 s2, exec_lo
	s_wait_alu 0xfffe
	s_add_nc_u64 s[42:43], s[10:11], s[48:49]
	s_clause 0x1
	s_load_b32 s39, s[44:45], 0x6c
	s_load_b32 s42, s[42:43], 0x8
	s_wait_kmcnt 0x0
	s_ashr_i32 s43, s42, 31
	s_wait_alu 0xfffe
	v_or_b32_e32 v3, s43, v20
	s_delay_alu instid0(VALU_DEP_1)
	v_cmpx_ne_u64_e32 0, v[2:3]
	s_xor_b32 s27, exec_lo, s2
	s_cbranch_execz .LBB8_48
; %bb.47:                               ;   in Loop: Header=BB8_22 Depth=2
	s_ashr_i32 s44, s43, 31
	v_ashrrev_i32_e32 v3, 31, v20
	s_wait_alu 0xfffe
	s_mov_b32 s45, s44
	s_wait_alu 0xfffe
	s_add_nc_u64 s[46:47], s[42:43], s[44:45]
	v_add_co_u32 v5, vcc_lo, v19, v3
	s_wait_alu 0xfffe
	s_xor_b64 s[46:47], s[46:47], s[44:45]
	s_wait_alu 0xfffd
	v_add_co_ci_u32_e64 v8, null, v20, v3, vcc_lo
	s_wait_alu 0xfffe
	s_cvt_f32_u32 s2, s46
	s_cvt_f32_u32 s18, s47
	s_sub_nc_u64 s[58:59], 0, s[46:47]
	v_xor_b32_e32 v5, v5, v3
	v_xor_b32_e32 v8, v8, v3
	s_wait_alu 0xfffe
	s_fmamk_f32 s2, s18, 0x4f800000, s2
	v_xor_b32_e32 v3, s44, v3
	s_wait_alu 0xfffe
	s_delay_alu instid0(SALU_CYCLE_1) | instskip(NEXT) | instid1(TRANS32_DEP_1)
	v_s_rcp_f32 s2, s2
	s_mul_f32 s2, s2, 0x5f7ffffc
	s_wait_alu 0xfffe
	s_delay_alu instid0(SALU_CYCLE_2) | instskip(SKIP_1) | instid1(SALU_CYCLE_2)
	s_mul_f32 s18, s2, 0x2f800000
	s_wait_alu 0xfffe
	s_trunc_f32 s18, s18
	s_wait_alu 0xfffe
	s_delay_alu instid0(SALU_CYCLE_2) | instskip(SKIP_2) | instid1(SALU_CYCLE_1)
	s_fmamk_f32 s2, s18, 0xcf800000, s2
	s_cvt_u32_f32 s51, s18
	s_wait_alu 0xfffe
	s_cvt_u32_f32 s50, s2
	s_wait_alu 0xfffe
	s_delay_alu instid0(SALU_CYCLE_2) | instskip(NEXT) | instid1(SALU_CYCLE_1)
	s_mul_u64 s[60:61], s[58:59], s[50:51]
	s_mul_hi_u32 s63, s50, s61
	s_mul_i32 s62, s50, s61
	s_mul_hi_u32 s18, s50, s60
	s_mul_i32 s41, s51, s60
	s_wait_alu 0xfffe
	s_add_nc_u64 s[62:63], s[18:19], s[62:63]
	s_mul_hi_u32 s2, s51, s60
	s_mul_hi_u32 s43, s51, s61
	s_add_co_u32 s18, s62, s41
	s_wait_alu 0xfffe
	s_add_co_ci_u32 s18, s63, s2
	s_mul_i32 s60, s51, s61
	s_add_co_ci_u32 s61, s43, 0
	s_wait_alu 0xfffe
	s_add_nc_u64 s[60:61], s[18:19], s[60:61]
	s_delay_alu instid0(SALU_CYCLE_1)
	s_add_co_u32 s50, s50, s60
	s_cselect_b32 s2, -1, 0
	s_wait_alu 0xfffe
	s_cmp_lg_u32 s2, 0
	s_add_co_ci_u32 s51, s51, s61
	s_wait_alu 0xfffe
	s_mul_u64 s[58:59], s[58:59], s[50:51]
	s_delay_alu instid0(SALU_CYCLE_1)
	s_mul_hi_u32 s61, s50, s59
	s_mul_i32 s60, s50, s59
	s_mul_hi_u32 s18, s50, s58
	s_mul_i32 s41, s51, s58
	s_wait_alu 0xfffe
	s_add_nc_u64 s[60:61], s[18:19], s[60:61]
	s_mul_hi_u32 s2, s51, s58
	s_mul_hi_u32 s43, s51, s59
	s_add_co_u32 s18, s60, s41
	s_wait_alu 0xfffe
	s_add_co_ci_u32 s18, s61, s2
	s_mul_i32 s58, s51, s59
	s_add_co_ci_u32 s59, s43, 0
	s_wait_alu 0xfffe
	s_add_nc_u64 s[58:59], s[18:19], s[58:59]
	s_delay_alu instid0(SALU_CYCLE_1)
	s_add_co_u32 s2, s50, s58
	s_cselect_b32 s18, -1, 0
	s_wait_alu 0xfffe
	v_mul_hi_u32 v10, v5, s2
	s_cmp_lg_u32 s18, 0
	v_mad_co_u64_u32 v[22:23], null, v8, s2, 0
	s_add_co_ci_u32 s18, s51, s59
	s_wait_alu 0xfffe
	v_mad_co_u64_u32 v[20:21], null, v5, s18, 0
	v_mad_co_u64_u32 v[29:30], null, v8, s18, 0
	s_delay_alu instid0(VALU_DEP_2) | instskip(SKIP_1) | instid1(VALU_DEP_3)
	v_add_co_u32 v10, vcc_lo, v10, v20
	s_wait_alu 0xfffd
	v_add_co_ci_u32_e64 v12, null, 0, v21, vcc_lo
	s_delay_alu instid0(VALU_DEP_2) | instskip(SKIP_1) | instid1(VALU_DEP_2)
	v_add_co_u32 v10, vcc_lo, v10, v22
	s_wait_alu 0xfffd
	v_add_co_ci_u32_e32 v10, vcc_lo, v12, v23, vcc_lo
	s_wait_alu 0xfffd
	v_add_co_ci_u32_e32 v12, vcc_lo, 0, v30, vcc_lo
	s_delay_alu instid0(VALU_DEP_2) | instskip(SKIP_1) | instid1(VALU_DEP_2)
	v_add_co_u32 v10, vcc_lo, v10, v29
	s_wait_alu 0xfffd
	v_add_co_ci_u32_e64 v12, null, 0, v12, vcc_lo
	s_delay_alu instid0(VALU_DEP_2) | instskip(SKIP_1) | instid1(VALU_DEP_3)
	v_mul_lo_u32 v14, s47, v10
	v_mad_co_u64_u32 v[20:21], null, s46, v10, 0
	v_mul_lo_u32 v16, s46, v12
	v_add_co_u32 v18, s2, v10, 2
	s_delay_alu instid0(VALU_DEP_3) | instskip(NEXT) | instid1(VALU_DEP_3)
	v_sub_co_u32 v5, vcc_lo, v5, v20
	v_add3_u32 v14, v21, v16, v14
	s_wait_alu 0xf1ff
	v_add_co_ci_u32_e64 v20, null, 0, v12, s2
	s_delay_alu instid0(VALU_DEP_3) | instskip(NEXT) | instid1(VALU_DEP_3)
	v_sub_co_u32 v21, s2, v5, s46
	v_sub_nc_u32_e32 v16, v8, v14
	s_wait_alu 0xfffd
	v_sub_co_ci_u32_e64 v8, null, v8, v14, vcc_lo
	s_delay_alu instid0(VALU_DEP_2) | instskip(SKIP_2) | instid1(VALU_DEP_2)
	v_subrev_co_ci_u32_e64 v16, null, s47, v16, vcc_lo
	v_cmp_le_u32_e32 vcc_lo, s46, v21
	s_wait_alu 0xf1ff
	v_subrev_co_ci_u32_e64 v16, null, 0, v16, s2
	s_wait_alu 0xfffd
	v_cndmask_b32_e64 v14, 0, -1, vcc_lo
	s_delay_alu instid0(VALU_DEP_2)
	v_cmp_le_u32_e32 vcc_lo, s47, v16
	s_wait_alu 0xfffd
	v_cndmask_b32_e64 v21, 0, -1, vcc_lo
	v_cmp_le_u32_e32 vcc_lo, s46, v5
	s_wait_alu 0xfffd
	v_cndmask_b32_e64 v5, 0, -1, vcc_lo
	;; [unrolled: 3-line block ×3, first 2 shown]
	v_cmp_eq_u32_e32 vcc_lo, s47, v16
	s_wait_alu 0xfffd
	v_cndmask_b32_e32 v14, v21, v14, vcc_lo
	v_add_co_u32 v16, vcc_lo, v10, 1
	s_wait_alu 0xfffd
	v_add_co_ci_u32_e64 v21, null, 0, v12, vcc_lo
	v_cmp_eq_u32_e32 vcc_lo, s47, v8
	s_wait_alu 0xfffd
	v_cndmask_b32_e32 v5, v22, v5, vcc_lo
	v_cmp_ne_u32_e32 vcc_lo, 0, v14
	s_delay_alu instid0(VALU_DEP_2) | instskip(SKIP_3) | instid1(VALU_DEP_1)
	v_cmp_ne_u32_e64 s2, 0, v5
	s_wait_alu 0xfffd
	v_dual_cndmask_b32 v8, v21, v20 :: v_dual_cndmask_b32 v5, v16, v18
	s_wait_alu 0xf1ff
	v_cndmask_b32_e64 v8, v12, v8, s2
	s_delay_alu instid0(VALU_DEP_2) | instskip(NEXT) | instid1(VALU_DEP_2)
	v_cndmask_b32_e64 v5, v10, v5, s2
	v_xor_b32_e32 v8, v8, v3
	s_delay_alu instid0(VALU_DEP_2) | instskip(NEXT) | instid1(VALU_DEP_1)
	v_xor_b32_e32 v5, v5, v3
	v_sub_co_u32 v21, vcc_lo, v5, v3
	s_wait_alu 0xfffd
	s_delay_alu instid0(VALU_DEP_3)
	v_sub_co_ci_u32_e64 v22, null, v8, v3, vcc_lo
.LBB8_48:                               ;   in Loop: Header=BB8_22 Depth=2
	s_wait_alu 0xfffe
	s_and_not1_saveexec_b32 s2, s27
	s_cbranch_execz .LBB8_50
; %bb.49:                               ;   in Loop: Header=BB8_22 Depth=2
	v_cvt_f32_u32_e32 v3, s42
	s_sub_co_i32 s18, 0, s42
	v_mov_b32_e32 v22, v2
	s_delay_alu instid0(VALU_DEP_2) | instskip(NEXT) | instid1(TRANS32_DEP_1)
	v_rcp_iflag_f32_e32 v3, v3
	v_mul_f32_e32 v3, 0x4f7ffffe, v3
	s_delay_alu instid0(VALU_DEP_1) | instskip(SKIP_1) | instid1(VALU_DEP_1)
	v_cvt_u32_f32_e32 v3, v3
	s_wait_alu 0xfffe
	v_mul_lo_u32 v5, s18, v3
	s_delay_alu instid0(VALU_DEP_1) | instskip(NEXT) | instid1(VALU_DEP_1)
	v_mul_hi_u32 v5, v3, v5
	v_add_nc_u32_e32 v3, v3, v5
	s_delay_alu instid0(VALU_DEP_1) | instskip(NEXT) | instid1(VALU_DEP_1)
	v_mul_hi_u32 v3, v19, v3
	v_mul_lo_u32 v5, v3, s42
	s_delay_alu instid0(VALU_DEP_1) | instskip(NEXT) | instid1(VALU_DEP_1)
	v_sub_nc_u32_e32 v5, v19, v5
	v_subrev_nc_u32_e32 v10, s42, v5
	v_cmp_le_u32_e32 vcc_lo, s42, v5
	s_wait_alu 0xfffd
	s_delay_alu instid0(VALU_DEP_2) | instskip(NEXT) | instid1(VALU_DEP_1)
	v_dual_cndmask_b32 v5, v5, v10 :: v_dual_add_nc_u32 v8, 1, v3
	v_cndmask_b32_e32 v3, v3, v8, vcc_lo
	s_delay_alu instid0(VALU_DEP_2) | instskip(NEXT) | instid1(VALU_DEP_2)
	v_cmp_le_u32_e32 vcc_lo, s42, v5
	v_add_nc_u32_e32 v8, 1, v3
	s_wait_alu 0xfffd
	s_delay_alu instid0(VALU_DEP_1)
	v_cndmask_b32_e32 v21, v3, v8, vcc_lo
.LBB8_50:                               ;   in Loop: Header=BB8_22 Depth=2
	s_wait_alu 0xfffe
	s_or_b32 exec_lo, exec_lo, s2
	s_mov_b32 s27, s19
	s_add_nc_u64 s[48:49], s[0:1], s[48:49]
	s_wait_alu 0xfffe
	s_lshl_b64 s[46:47], s[26:27], 2
                                        ; implicit-def: $vgpr23_vgpr24
	s_mov_b32 s2, exec_lo
	s_wait_alu 0xfffe
	s_add_nc_u64 s[44:45], s[10:11], s[46:47]
	s_clause 0x1
	s_load_b32 s27, s[48:49], 0x6c
	s_load_b32 s44, s[44:45], 0x8
	s_wait_kmcnt 0x0
	s_ashr_i32 s45, s44, 31
	s_wait_alu 0xfffe
	v_or_b32_e32 v3, s45, v22
	s_delay_alu instid0(VALU_DEP_1)
	v_cmpx_ne_u64_e32 0, v[2:3]
	s_xor_b32 s41, exec_lo, s2
	s_cbranch_execz .LBB8_52
; %bb.51:                               ;   in Loop: Header=BB8_22 Depth=2
	s_ashr_i32 s48, s45, 31
	v_ashrrev_i32_e32 v3, 31, v22
	s_wait_alu 0xfffe
	s_mov_b32 s49, s48
	s_wait_alu 0xfffe
	s_add_nc_u64 s[50:51], s[44:45], s[48:49]
	v_add_co_u32 v5, vcc_lo, v21, v3
	s_wait_alu 0xfffe
	s_xor_b64 s[50:51], s[50:51], s[48:49]
	s_wait_alu 0xfffd
	v_add_co_ci_u32_e64 v8, null, v22, v3, vcc_lo
	s_wait_alu 0xfffe
	s_cvt_f32_u32 s2, s50
	s_cvt_f32_u32 s18, s51
	s_sub_nc_u64 s[60:61], 0, s[50:51]
	v_xor_b32_e32 v5, v5, v3
	v_xor_b32_e32 v8, v8, v3
	s_wait_alu 0xfffe
	s_fmamk_f32 s2, s18, 0x4f800000, s2
	v_xor_b32_e32 v3, s48, v3
	s_wait_alu 0xfffe
	s_delay_alu instid0(SALU_CYCLE_1) | instskip(NEXT) | instid1(TRANS32_DEP_1)
	v_s_rcp_f32 s2, s2
	s_mul_f32 s2, s2, 0x5f7ffffc
	s_wait_alu 0xfffe
	s_delay_alu instid0(SALU_CYCLE_2) | instskip(SKIP_1) | instid1(SALU_CYCLE_2)
	s_mul_f32 s18, s2, 0x2f800000
	s_wait_alu 0xfffe
	s_trunc_f32 s18, s18
	s_wait_alu 0xfffe
	s_delay_alu instid0(SALU_CYCLE_2) | instskip(SKIP_2) | instid1(SALU_CYCLE_1)
	s_fmamk_f32 s2, s18, 0xcf800000, s2
	s_cvt_u32_f32 s59, s18
	s_wait_alu 0xfffe
	s_cvt_u32_f32 s58, s2
	s_delay_alu instid0(SALU_CYCLE_3) | instskip(NEXT) | instid1(SALU_CYCLE_1)
	s_mul_u64 s[62:63], s[60:61], s[58:59]
	s_mul_hi_u32 s65, s58, s63
	s_mul_i32 s64, s58, s63
	s_mul_hi_u32 s18, s58, s62
	s_mul_i32 s43, s59, s62
	s_wait_alu 0xfffe
	s_add_nc_u64 s[64:65], s[18:19], s[64:65]
	s_mul_hi_u32 s2, s59, s62
	s_mul_hi_u32 s45, s59, s63
	s_add_co_u32 s18, s64, s43
	s_wait_alu 0xfffe
	s_add_co_ci_u32 s18, s65, s2
	s_mul_i32 s62, s59, s63
	s_add_co_ci_u32 s63, s45, 0
	s_wait_alu 0xfffe
	s_add_nc_u64 s[62:63], s[18:19], s[62:63]
	s_delay_alu instid0(SALU_CYCLE_1) | instskip(SKIP_4) | instid1(SALU_CYCLE_1)
	s_add_co_u32 s58, s58, s62
	s_cselect_b32 s2, -1, 0
	s_wait_alu 0xfffe
	s_cmp_lg_u32 s2, 0
	s_add_co_ci_u32 s59, s59, s63
	s_mul_u64 s[60:61], s[60:61], s[58:59]
	s_delay_alu instid0(SALU_CYCLE_1)
	s_mul_hi_u32 s63, s58, s61
	s_mul_i32 s62, s58, s61
	s_mul_hi_u32 s18, s58, s60
	s_mul_i32 s43, s59, s60
	s_wait_alu 0xfffe
	s_add_nc_u64 s[62:63], s[18:19], s[62:63]
	s_mul_hi_u32 s2, s59, s60
	s_mul_hi_u32 s45, s59, s61
	s_add_co_u32 s18, s62, s43
	s_wait_alu 0xfffe
	s_add_co_ci_u32 s18, s63, s2
	s_mul_i32 s60, s59, s61
	s_add_co_ci_u32 s61, s45, 0
	s_wait_alu 0xfffe
	s_add_nc_u64 s[60:61], s[18:19], s[60:61]
	s_delay_alu instid0(SALU_CYCLE_1)
	s_add_co_u32 s2, s58, s60
	s_cselect_b32 s18, -1, 0
	s_wait_alu 0xfffe
	v_mul_hi_u32 v10, v5, s2
	s_cmp_lg_u32 s18, 0
	v_mad_co_u64_u32 v[29:30], null, v8, s2, 0
	s_add_co_ci_u32 s18, s59, s61
	s_wait_alu 0xfffe
	v_mad_co_u64_u32 v[22:23], null, v5, s18, 0
	v_mad_co_u64_u32 v[31:32], null, v8, s18, 0
	s_delay_alu instid0(VALU_DEP_2) | instskip(SKIP_1) | instid1(VALU_DEP_3)
	v_add_co_u32 v10, vcc_lo, v10, v22
	s_wait_alu 0xfffd
	v_add_co_ci_u32_e64 v12, null, 0, v23, vcc_lo
	s_delay_alu instid0(VALU_DEP_2) | instskip(SKIP_1) | instid1(VALU_DEP_2)
	v_add_co_u32 v10, vcc_lo, v10, v29
	s_wait_alu 0xfffd
	v_add_co_ci_u32_e32 v10, vcc_lo, v12, v30, vcc_lo
	s_wait_alu 0xfffd
	v_add_co_ci_u32_e32 v12, vcc_lo, 0, v32, vcc_lo
	s_delay_alu instid0(VALU_DEP_2) | instskip(SKIP_1) | instid1(VALU_DEP_2)
	v_add_co_u32 v10, vcc_lo, v10, v31
	s_wait_alu 0xfffd
	v_add_co_ci_u32_e64 v12, null, 0, v12, vcc_lo
	s_delay_alu instid0(VALU_DEP_2) | instskip(SKIP_1) | instid1(VALU_DEP_3)
	v_mul_lo_u32 v14, s51, v10
	v_mad_co_u64_u32 v[22:23], null, s50, v10, 0
	v_mul_lo_u32 v16, s50, v12
	v_add_co_u32 v18, s2, v10, 2
	s_wait_alu 0xf1ff
	v_add_co_ci_u32_e64 v20, null, 0, v12, s2
	s_delay_alu instid0(VALU_DEP_4) | instskip(NEXT) | instid1(VALU_DEP_4)
	v_sub_co_u32 v5, vcc_lo, v5, v22
	v_add3_u32 v14, v23, v16, v14
	s_delay_alu instid0(VALU_DEP_2) | instskip(NEXT) | instid1(VALU_DEP_2)
	v_sub_co_u32 v22, s2, v5, s50
	v_sub_nc_u32_e32 v16, v8, v14
	s_wait_alu 0xfffd
	v_sub_co_ci_u32_e64 v8, null, v8, v14, vcc_lo
	s_delay_alu instid0(VALU_DEP_2) | instskip(SKIP_2) | instid1(VALU_DEP_2)
	v_subrev_co_ci_u32_e64 v16, null, s51, v16, vcc_lo
	v_cmp_le_u32_e32 vcc_lo, s50, v22
	s_wait_alu 0xf1ff
	v_subrev_co_ci_u32_e64 v16, null, 0, v16, s2
	s_wait_alu 0xfffd
	v_cndmask_b32_e64 v14, 0, -1, vcc_lo
	s_delay_alu instid0(VALU_DEP_2)
	v_cmp_le_u32_e32 vcc_lo, s51, v16
	s_wait_alu 0xfffd
	v_cndmask_b32_e64 v22, 0, -1, vcc_lo
	v_cmp_le_u32_e32 vcc_lo, s50, v5
	s_wait_alu 0xfffd
	v_cndmask_b32_e64 v5, 0, -1, vcc_lo
	;; [unrolled: 3-line block ×3, first 2 shown]
	v_cmp_eq_u32_e32 vcc_lo, s51, v16
	s_wait_alu 0xfffd
	v_cndmask_b32_e32 v14, v22, v14, vcc_lo
	v_add_co_u32 v16, vcc_lo, v10, 1
	s_wait_alu 0xfffd
	v_add_co_ci_u32_e64 v22, null, 0, v12, vcc_lo
	v_cmp_eq_u32_e32 vcc_lo, s51, v8
	s_wait_alu 0xfffd
	v_cndmask_b32_e32 v5, v23, v5, vcc_lo
	v_cmp_ne_u32_e32 vcc_lo, 0, v14
	s_delay_alu instid0(VALU_DEP_2) | instskip(SKIP_3) | instid1(VALU_DEP_1)
	v_cmp_ne_u32_e64 s2, 0, v5
	s_wait_alu 0xfffd
	v_dual_cndmask_b32 v8, v22, v20 :: v_dual_cndmask_b32 v5, v16, v18
	s_wait_alu 0xf1ff
	v_cndmask_b32_e64 v8, v12, v8, s2
	s_delay_alu instid0(VALU_DEP_2) | instskip(NEXT) | instid1(VALU_DEP_2)
	v_cndmask_b32_e64 v5, v10, v5, s2
	v_xor_b32_e32 v8, v8, v3
	s_delay_alu instid0(VALU_DEP_2) | instskip(NEXT) | instid1(VALU_DEP_1)
	v_xor_b32_e32 v5, v5, v3
	v_sub_co_u32 v23, vcc_lo, v5, v3
	s_wait_alu 0xfffd
	s_delay_alu instid0(VALU_DEP_3)
	v_sub_co_ci_u32_e64 v24, null, v8, v3, vcc_lo
.LBB8_52:                               ;   in Loop: Header=BB8_22 Depth=2
	s_wait_alu 0xfffe
	s_and_not1_saveexec_b32 s2, s41
	s_cbranch_execz .LBB8_54
; %bb.53:                               ;   in Loop: Header=BB8_22 Depth=2
	v_cvt_f32_u32_e32 v3, s44
	s_sub_co_i32 s18, 0, s44
	v_mov_b32_e32 v24, v2
	s_delay_alu instid0(VALU_DEP_2) | instskip(NEXT) | instid1(TRANS32_DEP_1)
	v_rcp_iflag_f32_e32 v3, v3
	v_mul_f32_e32 v3, 0x4f7ffffe, v3
	s_delay_alu instid0(VALU_DEP_1) | instskip(SKIP_1) | instid1(VALU_DEP_1)
	v_cvt_u32_f32_e32 v3, v3
	s_wait_alu 0xfffe
	v_mul_lo_u32 v5, s18, v3
	s_delay_alu instid0(VALU_DEP_1) | instskip(NEXT) | instid1(VALU_DEP_1)
	v_mul_hi_u32 v5, v3, v5
	v_add_nc_u32_e32 v3, v3, v5
	s_delay_alu instid0(VALU_DEP_1) | instskip(NEXT) | instid1(VALU_DEP_1)
	v_mul_hi_u32 v3, v21, v3
	v_mul_lo_u32 v5, v3, s44
	s_delay_alu instid0(VALU_DEP_1) | instskip(NEXT) | instid1(VALU_DEP_1)
	v_sub_nc_u32_e32 v5, v21, v5
	v_subrev_nc_u32_e32 v10, s44, v5
	v_cmp_le_u32_e32 vcc_lo, s44, v5
	s_wait_alu 0xfffd
	s_delay_alu instid0(VALU_DEP_2) | instskip(NEXT) | instid1(VALU_DEP_1)
	v_dual_cndmask_b32 v5, v5, v10 :: v_dual_add_nc_u32 v8, 1, v3
	v_cndmask_b32_e32 v3, v3, v8, vcc_lo
	s_delay_alu instid0(VALU_DEP_2) | instskip(NEXT) | instid1(VALU_DEP_2)
	v_cmp_le_u32_e32 vcc_lo, s44, v5
	v_add_nc_u32_e32 v8, 1, v3
	s_wait_alu 0xfffd
	s_delay_alu instid0(VALU_DEP_1)
	v_cndmask_b32_e32 v23, v3, v8, vcc_lo
.LBB8_54:                               ;   in Loop: Header=BB8_22 Depth=2
	s_wait_alu 0xfffe
	s_or_b32 exec_lo, exec_lo, s2
	v_mul_lo_u32 v3, v9, s28
	v_mul_lo_u32 v5, v11, s30
	;; [unrolled: 1-line block ×5, first 2 shown]
	s_add_nc_u64 s[40:41], s[0:1], s[46:47]
	v_mul_lo_u32 v12, v17, s38
	s_load_b32 s2, s[40:41], 0x6c
	v_sub_nc_u32_e32 v3, v7, v3
	v_sub_nc_u32_e32 v5, v9, v5
	;; [unrolled: 1-line block ×4, first 2 shown]
	v_mul_lo_u32 v9, v21, s42
	v_mul_lo_u32 v3, s25, v3
	;; [unrolled: 1-line block ×4, first 2 shown]
	v_sub_nc_u32_e32 v11, v15, v12
	v_sub_nc_u32_e32 v12, v17, v14
	v_mul_lo_u32 v7, s31, v7
	v_mul_lo_u32 v8, s35, v8
	s_add_co_i32 s26, s26, -8
	v_mul_lo_u32 v11, s37, v11
	v_add3_u32 v3, v3, v4, v5
	v_sub_nc_u32_e32 v4, v19, v9
	v_sub_nc_u32_e32 v5, v21, v10
	v_mul_lo_u32 v9, s39, v12
	s_wait_alu 0xfffe
	s_cmp_eq_u32 s26, -8
	v_add3_u32 v3, v7, v3, v8
	v_mul_lo_u32 v4, s27, v4
	s_wait_kmcnt 0x0
	v_mul_lo_u32 v5, s2, v5
	s_delay_alu instid0(VALU_DEP_3) | instskip(NEXT) | instid1(VALU_DEP_1)
	v_add3_u32 v3, v11, v3, v9
	v_add3_u32 v4, v4, v3, v5
	s_cbranch_scc1 .LBB8_56
; %bb.55:                               ;   in Loop: Header=BB8_22 Depth=2
	v_dual_mov_b32 v7, v23 :: v_dual_mov_b32 v8, v24
	s_branch .LBB8_22
.LBB8_56:                               ;   in Loop: Header=BB8_3 Depth=1
	s_load_b32 s2, s[12:13], 0x4
	s_wait_kmcnt 0x0
	v_cmp_gt_i32_e32 vcc_lo, s2, v28
	s_and_b32 exec_lo, exec_lo, vcc_lo
	s_cbranch_execz .LBB8_2
; %bb.57:                               ;   in Loop: Header=BB8_3 Depth=1
	v_ashrrev_i32_e32 v7, 31, v6
	s_mov_b32 s18, exec_lo
	s_delay_alu instid0(VALU_DEP_1)
	v_cmpx_lt_i64_e64 s[4:5], v[6:7]
	s_cbranch_execz .LBB8_59
; %bb.58:                               ;   in Loop: Header=BB8_3 Depth=1
	v_ashrrev_i32_e32 v5, 31, v4
	s_delay_alu instid0(VALU_DEP_1) | instskip(NEXT) | instid1(VALU_DEP_1)
	v_lshlrev_b64_e32 v[5:6], 2, v[4:5]
	v_add_co_u32 v5, vcc_lo, s16, v5
	s_wait_alu 0xfffd
	s_delay_alu instid0(VALU_DEP_2)
	v_add_co_ci_u32_e64 v6, null, s17, v6, vcc_lo
	global_store_b32 v[5:6], v2, off
.LBB8_59:                               ;   in Loop: Header=BB8_3 Depth=1
	s_wait_alu 0xfffe
	s_or_b32 exec_lo, exec_lo, s18
	v_add_nc_u32_e32 v3, 1, v28
	s_delay_alu instid0(VALU_DEP_1)
	v_cmp_gt_i32_e32 vcc_lo, s2, v3
	s_and_b32 exec_lo, exec_lo, vcc_lo
	s_cbranch_execz .LBB8_2
; %bb.60:                               ;   in Loop: Header=BB8_3 Depth=1
	v_sub_nc_u32_e32 v5, v3, v27
	s_delay_alu instid0(VALU_DEP_1) | instskip(NEXT) | instid1(VALU_DEP_1)
	v_ashrrev_i32_e32 v6, 31, v5
	v_cmp_lt_i64_e32 vcc_lo, s[4:5], v[5:6]
	s_and_b32 exec_lo, exec_lo, vcc_lo
	s_cbranch_execz .LBB8_2
; %bb.61:                               ;   in Loop: Header=BB8_3 Depth=1
	v_add_nc_u32_e32 v3, s3, v4
	s_delay_alu instid0(VALU_DEP_1) | instskip(NEXT) | instid1(VALU_DEP_1)
	v_ashrrev_i32_e32 v4, 31, v3
	v_lshlrev_b64_e32 v[3:4], 2, v[3:4]
	s_delay_alu instid0(VALU_DEP_1) | instskip(SKIP_1) | instid1(VALU_DEP_2)
	v_add_co_u32 v3, vcc_lo, s16, v3
	s_wait_alu 0xfffd
	v_add_co_ci_u32_e64 v4, null, s17, v4, vcc_lo
	global_store_b32 v[3:4], v2, off
	s_branch .LBB8_2
.LBB8_62:
	s_endpgm
	.section	.rodata,"a",@progbits
	.p2align	6, 0x0
	.amdhsa_kernel _ZN2at6native16triu_tril_kernelIiiLb0ELi2ELb1EEEvNS_4cuda6detail10TensorInfoIT_T0_EENS4_IKS5_S6_EEllS6_
		.amdhsa_group_segment_fixed_size 0
		.amdhsa_private_segment_fixed_size 0
		.amdhsa_kernarg_size 712
		.amdhsa_user_sgpr_count 2
		.amdhsa_user_sgpr_dispatch_ptr 0
		.amdhsa_user_sgpr_queue_ptr 0
		.amdhsa_user_sgpr_kernarg_segment_ptr 1
		.amdhsa_user_sgpr_dispatch_id 0
		.amdhsa_user_sgpr_private_segment_size 0
		.amdhsa_wavefront_size32 1
		.amdhsa_uses_dynamic_stack 0
		.amdhsa_enable_private_segment 0
		.amdhsa_system_sgpr_workgroup_id_x 1
		.amdhsa_system_sgpr_workgroup_id_y 0
		.amdhsa_system_sgpr_workgroup_id_z 0
		.amdhsa_system_sgpr_workgroup_info 0
		.amdhsa_system_vgpr_workitem_id 0
		.amdhsa_next_free_vgpr 33
		.amdhsa_next_free_sgpr 66
		.amdhsa_reserve_vcc 1
		.amdhsa_float_round_mode_32 0
		.amdhsa_float_round_mode_16_64 0
		.amdhsa_float_denorm_mode_32 3
		.amdhsa_float_denorm_mode_16_64 3
		.amdhsa_fp16_overflow 0
		.amdhsa_workgroup_processor_mode 1
		.amdhsa_memory_ordered 1
		.amdhsa_forward_progress 1
		.amdhsa_inst_pref_size 96
		.amdhsa_round_robin_scheduling 0
		.amdhsa_exception_fp_ieee_invalid_op 0
		.amdhsa_exception_fp_denorm_src 0
		.amdhsa_exception_fp_ieee_div_zero 0
		.amdhsa_exception_fp_ieee_overflow 0
		.amdhsa_exception_fp_ieee_underflow 0
		.amdhsa_exception_fp_ieee_inexact 0
		.amdhsa_exception_int_div_zero 0
	.end_amdhsa_kernel
	.section	.text._ZN2at6native16triu_tril_kernelIiiLb0ELi2ELb1EEEvNS_4cuda6detail10TensorInfoIT_T0_EENS4_IKS5_S6_EEllS6_,"axG",@progbits,_ZN2at6native16triu_tril_kernelIiiLb0ELi2ELb1EEEvNS_4cuda6detail10TensorInfoIT_T0_EENS4_IKS5_S6_EEllS6_,comdat
.Lfunc_end8:
	.size	_ZN2at6native16triu_tril_kernelIiiLb0ELi2ELb1EEEvNS_4cuda6detail10TensorInfoIT_T0_EENS4_IKS5_S6_EEllS6_, .Lfunc_end8-_ZN2at6native16triu_tril_kernelIiiLb0ELi2ELb1EEEvNS_4cuda6detail10TensorInfoIT_T0_EENS4_IKS5_S6_EEllS6_
                                        ; -- End function
	.set _ZN2at6native16triu_tril_kernelIiiLb0ELi2ELb1EEEvNS_4cuda6detail10TensorInfoIT_T0_EENS4_IKS5_S6_EEllS6_.num_vgpr, 33
	.set _ZN2at6native16triu_tril_kernelIiiLb0ELi2ELb1EEEvNS_4cuda6detail10TensorInfoIT_T0_EENS4_IKS5_S6_EEllS6_.num_agpr, 0
	.set _ZN2at6native16triu_tril_kernelIiiLb0ELi2ELb1EEEvNS_4cuda6detail10TensorInfoIT_T0_EENS4_IKS5_S6_EEllS6_.numbered_sgpr, 66
	.set _ZN2at6native16triu_tril_kernelIiiLb0ELi2ELb1EEEvNS_4cuda6detail10TensorInfoIT_T0_EENS4_IKS5_S6_EEllS6_.num_named_barrier, 0
	.set _ZN2at6native16triu_tril_kernelIiiLb0ELi2ELb1EEEvNS_4cuda6detail10TensorInfoIT_T0_EENS4_IKS5_S6_EEllS6_.private_seg_size, 0
	.set _ZN2at6native16triu_tril_kernelIiiLb0ELi2ELb1EEEvNS_4cuda6detail10TensorInfoIT_T0_EENS4_IKS5_S6_EEllS6_.uses_vcc, 1
	.set _ZN2at6native16triu_tril_kernelIiiLb0ELi2ELb1EEEvNS_4cuda6detail10TensorInfoIT_T0_EENS4_IKS5_S6_EEllS6_.uses_flat_scratch, 0
	.set _ZN2at6native16triu_tril_kernelIiiLb0ELi2ELb1EEEvNS_4cuda6detail10TensorInfoIT_T0_EENS4_IKS5_S6_EEllS6_.has_dyn_sized_stack, 0
	.set _ZN2at6native16triu_tril_kernelIiiLb0ELi2ELb1EEEvNS_4cuda6detail10TensorInfoIT_T0_EENS4_IKS5_S6_EEllS6_.has_recursion, 0
	.set _ZN2at6native16triu_tril_kernelIiiLb0ELi2ELb1EEEvNS_4cuda6detail10TensorInfoIT_T0_EENS4_IKS5_S6_EEllS6_.has_indirect_call, 0
	.section	.AMDGPU.csdata,"",@progbits
; Kernel info:
; codeLenInByte = 12228
; TotalNumSgprs: 68
; NumVgprs: 33
; ScratchSize: 0
; MemoryBound: 0
; FloatMode: 240
; IeeeMode: 1
; LDSByteSize: 0 bytes/workgroup (compile time only)
; SGPRBlocks: 0
; VGPRBlocks: 4
; NumSGPRsForWavesPerEU: 68
; NumVGPRsForWavesPerEU: 33
; Occupancy: 16
; WaveLimiterHint : 0
; COMPUTE_PGM_RSRC2:SCRATCH_EN: 0
; COMPUTE_PGM_RSRC2:USER_SGPR: 2
; COMPUTE_PGM_RSRC2:TRAP_HANDLER: 0
; COMPUTE_PGM_RSRC2:TGID_X_EN: 1
; COMPUTE_PGM_RSRC2:TGID_Y_EN: 0
; COMPUTE_PGM_RSRC2:TGID_Z_EN: 0
; COMPUTE_PGM_RSRC2:TIDIG_COMP_CNT: 0
	.section	.text._ZN2at6native16triu_tril_kernelIiiLb0ELi2ELb0EEEvNS_4cuda6detail10TensorInfoIT_T0_EENS4_IKS5_S6_EEllS6_,"axG",@progbits,_ZN2at6native16triu_tril_kernelIiiLb0ELi2ELb0EEEvNS_4cuda6detail10TensorInfoIT_T0_EENS4_IKS5_S6_EEllS6_,comdat
	.protected	_ZN2at6native16triu_tril_kernelIiiLb0ELi2ELb0EEEvNS_4cuda6detail10TensorInfoIT_T0_EENS4_IKS5_S6_EEllS6_ ; -- Begin function _ZN2at6native16triu_tril_kernelIiiLb0ELi2ELb0EEEvNS_4cuda6detail10TensorInfoIT_T0_EENS4_IKS5_S6_EEllS6_
	.globl	_ZN2at6native16triu_tril_kernelIiiLb0ELi2ELb0EEEvNS_4cuda6detail10TensorInfoIT_T0_EENS4_IKS5_S6_EEllS6_
	.p2align	8
	.type	_ZN2at6native16triu_tril_kernelIiiLb0ELi2ELb0EEEvNS_4cuda6detail10TensorInfoIT_T0_EENS4_IKS5_S6_EEllS6_,@function
_ZN2at6native16triu_tril_kernelIiiLb0ELi2ELb0EEEvNS_4cuda6detail10TensorInfoIT_T0_EENS4_IKS5_S6_EEllS6_: ; @_ZN2at6native16triu_tril_kernelIiiLb0ELi2ELb0EEEvNS_4cuda6detail10TensorInfoIT_T0_EENS4_IKS5_S6_EEllS6_
; %bb.0:
	s_clause 0x1
	s_load_b32 s2, s[0:1], 0x1d4
	s_load_b128 s[4:7], s[0:1], 0x1b0
	v_mov_b32_e32 v2, 0
	s_delay_alu instid0(VALU_DEP_1) | instskip(SKIP_3) | instid1(VALU_DEP_1)
	v_mov_b32_e32 v1, v2
	s_wait_kmcnt 0x0
	s_and_b32 s21, s2, 0xffff
	s_mov_b32 s2, exec_lo
	v_mad_co_u64_u32 v[0:1], null, s21, ttmp9, v[0:1]
	s_delay_alu instid0(VALU_DEP_1) | instskip(NEXT) | instid1(VALU_DEP_1)
	v_lshlrev_b64_e32 v[0:1], 1, v[0:1]
	v_cmpx_gt_i64_e64 s[6:7], v[0:1]
	s_cbranch_execz .LBB9_47
; %bb.1:
	s_clause 0x2
	s_load_b32 s24, s[0:1], 0x1a8
	s_load_b32 s8, s[0:1], 0x1c0
	s_load_b64 s[10:11], s[0:1], 0xd8
	s_add_nc_u64 s[12:13], s[0:1], 0xd8
	s_add_nc_u64 s[14:15], s[0:1], 0x1c8
	s_load_b32 s26, s[14:15], 0x0
	s_load_b64 s[14:15], s[0:1], 0x0
	s_wait_kmcnt 0x0
	s_ashr_i32 s25, s24, 31
	v_cvt_f32_u32_e32 v3, s8
	s_lshl_b64 s[16:17], s[24:25], 2
	s_and_b32 s48, s24, 3
	s_add_nc_u64 s[18:19], s[12:13], s[16:17]
	s_add_nc_u64 s[22:23], s[0:1], s[16:17]
	s_load_b64 s[2:3], s[18:19], 0x0
	v_rcp_iflag_f32_e32 v3, v3
	s_clause 0x1
	s_load_b64 s[16:17], s[18:19], 0x64
	s_load_b64 s[18:19], s[22:23], 0x64
	s_mul_i32 s26, s26, s21
	s_ashr_i32 s9, s8, 31
	s_add_co_i32 s33, s24, -3
	s_lshl_b32 s50, s26, 1
	v_cmp_gt_i64_e64 s49, s[24:25], 2
	s_mov_b32 s23, 0
	v_mul_f32_e32 v3, 0x4f7ffffe, v3
	s_delay_alu instid0(VALU_DEP_1)
	v_cvt_u32_f32_e32 v18, v3
	s_wait_kmcnt 0x0
	s_mov_b32 s20, s2
	s_ashr_i32 s21, s2, 31
	s_wait_alu 0xfffe
	v_cvt_f32_u32_e32 v4, s20
	s_cmp_lg_u32 s48, 2
	s_mov_b32 s24, s17
	s_cselect_b32 s51, -1, 0
	s_cmp_gt_u32 s33, 2
	v_rcp_iflag_f32_e32 v4, v4
	s_cselect_b32 s52, -1, 0
	s_ashr_i32 s25, s17, 31
	s_ashr_i32 s27, s19, 31
	s_mov_b32 s26, s19
	s_ashr_i32 s28, s9, 31
	s_mov_b32 s17, 0
	s_delay_alu instid0(TRANS32_DEP_1) | instskip(NEXT) | instid1(VALU_DEP_1)
	v_mul_f32_e32 v3, 0x4f7ffffe, v4
	v_cvt_u32_f32_e32 v19, v3
	s_branch .LBB9_3
.LBB9_2:                                ;   in Loop: Header=BB9_3 Depth=1
	s_wait_alu 0xfffe
	s_or_b32 exec_lo, exec_lo, s2
	v_add_co_u32 v0, vcc_lo, v0, s50
	s_wait_alu 0xfffd
	v_add_co_ci_u32_e64 v1, null, 0, v1, vcc_lo
	s_delay_alu instid0(VALU_DEP_1)
	v_cmp_le_i64_e32 vcc_lo, s[6:7], v[0:1]
	s_or_b32 s17, vcc_lo, s17
	s_wait_alu 0xfffe
	s_and_not1_b32 exec_lo, exec_lo, s17
	s_cbranch_execz .LBB9_47
.LBB9_3:                                ; =>This Loop Header: Depth=1
                                        ;     Child Loop BB9_15 Depth 2
                                        ;     Child Loop BB9_20 Depth 2
	v_or_b32_e32 v3, s9, v1
                                        ; implicit-def: $vgpr4_vgpr5
	s_mov_b32 s2, exec_lo
	s_delay_alu instid0(VALU_DEP_1)
	v_cmpx_ne_u64_e32 0, v[2:3]
	s_wait_alu 0xfffe
	s_xor_b32 s19, exec_lo, s2
	s_cbranch_execz .LBB9_5
; %bb.4:                                ;   in Loop: Header=BB9_3 Depth=1
	s_mov_b32 s29, s28
	v_ashrrev_i32_e32 v9, 31, v1
	s_wait_alu 0xfffe
	s_add_nc_u64 s[30:31], s[8:9], s[28:29]
	s_wait_alu 0xfffe
	s_xor_b64 s[30:31], s[30:31], s[28:29]
	v_add_co_u32 v3, vcc_lo, v0, v9
	s_wait_alu 0xfffe
	s_cvt_f32_u32 s2, s30
	s_cvt_f32_u32 s22, s31
	s_sub_nc_u64 s[36:37], 0, s[30:31]
	s_wait_alu 0xfffd
	v_add_co_ci_u32_e64 v4, null, v1, v9, vcc_lo
	s_wait_alu 0xfffe
	s_fmamk_f32 s2, s22, 0x4f800000, s2
	v_xor_b32_e32 v10, v3, v9
	s_delay_alu instid0(VALU_DEP_2) | instskip(SKIP_2) | instid1(TRANS32_DEP_1)
	v_xor_b32_e32 v11, v4, v9
	s_wait_alu 0xfffe
	v_s_rcp_f32 s2, s2
	s_mul_f32 s2, s2, 0x5f7ffffc
	s_wait_alu 0xfffe
	s_delay_alu instid0(SALU_CYCLE_2) | instskip(SKIP_1) | instid1(SALU_CYCLE_2)
	s_mul_f32 s22, s2, 0x2f800000
	s_wait_alu 0xfffe
	s_trunc_f32 s22, s22
	s_wait_alu 0xfffe
	s_delay_alu instid0(SALU_CYCLE_2) | instskip(SKIP_2) | instid1(SALU_CYCLE_1)
	s_fmamk_f32 s2, s22, 0xcf800000, s2
	s_cvt_u32_f32 s35, s22
	s_wait_alu 0xfffe
	s_cvt_u32_f32 s34, s2
	s_wait_alu 0xfffe
	s_delay_alu instid0(SALU_CYCLE_2)
	s_mul_u64 s[38:39], s[36:37], s[34:35]
	s_wait_alu 0xfffe
	s_mul_hi_u32 s41, s34, s39
	s_mul_i32 s40, s34, s39
	s_mul_hi_u32 s22, s34, s38
	s_mul_i32 s29, s35, s38
	s_wait_alu 0xfffe
	s_add_nc_u64 s[40:41], s[22:23], s[40:41]
	s_mul_hi_u32 s2, s35, s38
	s_mul_hi_u32 s42, s35, s39
	s_wait_alu 0xfffe
	s_add_co_u32 s22, s40, s29
	s_add_co_ci_u32 s22, s41, s2
	s_mul_i32 s38, s35, s39
	s_add_co_ci_u32 s39, s42, 0
	s_wait_alu 0xfffe
	s_add_nc_u64 s[38:39], s[22:23], s[38:39]
	s_wait_alu 0xfffe
	s_add_co_u32 s34, s34, s38
	s_cselect_b32 s2, -1, 0
	s_wait_alu 0xfffe
	s_cmp_lg_u32 s2, 0
	s_add_co_ci_u32 s35, s35, s39
	s_wait_alu 0xfffe
	s_mul_u64 s[36:37], s[36:37], s[34:35]
	s_wait_alu 0xfffe
	s_mul_hi_u32 s39, s34, s37
	s_mul_i32 s38, s34, s37
	s_mul_hi_u32 s22, s34, s36
	s_mul_i32 s29, s35, s36
	s_wait_alu 0xfffe
	s_add_nc_u64 s[38:39], s[22:23], s[38:39]
	s_mul_hi_u32 s2, s35, s36
	s_mul_hi_u32 s40, s35, s37
	s_wait_alu 0xfffe
	s_add_co_u32 s22, s38, s29
	s_add_co_ci_u32 s22, s39, s2
	s_mul_i32 s36, s35, s37
	s_add_co_ci_u32 s37, s40, 0
	s_wait_alu 0xfffe
	s_add_nc_u64 s[36:37], s[22:23], s[36:37]
	s_wait_alu 0xfffe
	s_add_co_u32 s2, s34, s36
	s_cselect_b32 s22, -1, 0
	s_wait_alu 0xfffe
	v_mul_hi_u32 v12, v10, s2
	s_cmp_lg_u32 s22, 0
	v_mad_co_u64_u32 v[5:6], null, v11, s2, 0
	s_add_co_ci_u32 s22, s35, s37
	s_wait_alu 0xfffe
	v_mad_co_u64_u32 v[3:4], null, v10, s22, 0
	v_mad_co_u64_u32 v[7:8], null, v11, s22, 0
	s_delay_alu instid0(VALU_DEP_2) | instskip(SKIP_1) | instid1(VALU_DEP_3)
	v_add_co_u32 v3, vcc_lo, v12, v3
	s_wait_alu 0xfffd
	v_add_co_ci_u32_e64 v4, null, 0, v4, vcc_lo
	s_delay_alu instid0(VALU_DEP_2) | instskip(SKIP_1) | instid1(VALU_DEP_2)
	v_add_co_u32 v3, vcc_lo, v3, v5
	s_wait_alu 0xfffd
	v_add_co_ci_u32_e32 v3, vcc_lo, v4, v6, vcc_lo
	s_wait_alu 0xfffd
	v_add_co_ci_u32_e32 v4, vcc_lo, 0, v8, vcc_lo
	s_delay_alu instid0(VALU_DEP_2) | instskip(SKIP_1) | instid1(VALU_DEP_2)
	v_add_co_u32 v5, vcc_lo, v3, v7
	s_wait_alu 0xfffd
	v_add_co_ci_u32_e64 v6, null, 0, v4, vcc_lo
	s_delay_alu instid0(VALU_DEP_2) | instskip(SKIP_1) | instid1(VALU_DEP_3)
	v_mul_lo_u32 v7, s31, v5
	v_mad_co_u64_u32 v[3:4], null, s30, v5, 0
	v_mul_lo_u32 v8, s30, v6
	s_delay_alu instid0(VALU_DEP_2) | instskip(NEXT) | instid1(VALU_DEP_2)
	v_sub_co_u32 v3, vcc_lo, v10, v3
	v_add3_u32 v4, v4, v8, v7
	v_add_co_u32 v8, s2, v5, 2
	s_wait_alu 0xf1ff
	v_add_co_ci_u32_e64 v10, null, 0, v6, s2
	s_delay_alu instid0(VALU_DEP_3) | instskip(SKIP_3) | instid1(VALU_DEP_3)
	v_sub_nc_u32_e32 v7, v11, v4
	v_sub_co_u32 v12, s2, v3, s30
	s_wait_alu 0xfffd
	v_sub_co_ci_u32_e64 v4, null, v11, v4, vcc_lo
	v_subrev_co_ci_u32_e64 v7, null, s31, v7, vcc_lo
	s_delay_alu instid0(VALU_DEP_3) | instskip(SKIP_1) | instid1(VALU_DEP_2)
	v_cmp_le_u32_e32 vcc_lo, s30, v12
	s_wait_alu 0xf1ff
	v_subrev_co_ci_u32_e64 v7, null, 0, v7, s2
	s_wait_alu 0xfffd
	v_cndmask_b32_e64 v11, 0, -1, vcc_lo
	s_delay_alu instid0(VALU_DEP_2)
	v_cmp_le_u32_e32 vcc_lo, s31, v7
	s_wait_alu 0xfffd
	v_cndmask_b32_e64 v12, 0, -1, vcc_lo
	v_cmp_le_u32_e32 vcc_lo, s30, v3
	s_wait_alu 0xfffd
	v_cndmask_b32_e64 v3, 0, -1, vcc_lo
	;; [unrolled: 3-line block ×3, first 2 shown]
	v_cmp_eq_u32_e32 vcc_lo, s31, v7
	s_wait_alu 0xfffd
	v_cndmask_b32_e32 v7, v12, v11, vcc_lo
	v_add_co_u32 v11, vcc_lo, v5, 1
	s_wait_alu 0xfffd
	v_add_co_ci_u32_e64 v12, null, 0, v6, vcc_lo
	v_cmp_eq_u32_e32 vcc_lo, s31, v4
	s_wait_alu 0xfffd
	v_cndmask_b32_e32 v3, v13, v3, vcc_lo
	v_cmp_ne_u32_e32 vcc_lo, 0, v7
	v_xor_b32_e32 v7, s28, v9
	s_wait_alu 0xfffd
	v_cndmask_b32_e32 v4, v12, v10, vcc_lo
	v_cmp_ne_u32_e64 s2, 0, v3
	v_cndmask_b32_e32 v3, v11, v8, vcc_lo
	s_wait_alu 0xf1ff
	s_delay_alu instid0(VALU_DEP_2) | instskip(NEXT) | instid1(VALU_DEP_2)
	v_cndmask_b32_e64 v4, v6, v4, s2
	v_cndmask_b32_e64 v3, v5, v3, s2
	s_delay_alu instid0(VALU_DEP_2) | instskip(NEXT) | instid1(VALU_DEP_2)
	v_xor_b32_e32 v5, v4, v7
	v_xor_b32_e32 v3, v3, v7
	s_delay_alu instid0(VALU_DEP_1) | instskip(SKIP_1) | instid1(VALU_DEP_3)
	v_sub_co_u32 v4, vcc_lo, v3, v7
	s_wait_alu 0xfffd
	v_sub_co_ci_u32_e64 v5, null, v5, v7, vcc_lo
.LBB9_5:                                ;   in Loop: Header=BB9_3 Depth=1
	s_wait_alu 0xfffe
	s_and_not1_saveexec_b32 s2, s19
	s_cbranch_execz .LBB9_7
; %bb.6:                                ;   in Loop: Header=BB9_3 Depth=1
	s_sub_co_i32 s19, 0, s8
	s_wait_alu 0xfffe
	v_mul_lo_u32 v3, s19, v18
	s_delay_alu instid0(VALU_DEP_1) | instskip(NEXT) | instid1(VALU_DEP_1)
	v_mul_hi_u32 v3, v18, v3
	v_add_nc_u32_e32 v3, v18, v3
	s_delay_alu instid0(VALU_DEP_1) | instskip(NEXT) | instid1(VALU_DEP_1)
	v_mul_hi_u32 v3, v0, v3
	v_mul_lo_u32 v4, v3, s8
	v_add_nc_u32_e32 v5, 1, v3
	s_delay_alu instid0(VALU_DEP_2) | instskip(NEXT) | instid1(VALU_DEP_1)
	v_sub_nc_u32_e32 v4, v0, v4
	v_subrev_nc_u32_e32 v6, s8, v4
	v_cmp_le_u32_e32 vcc_lo, s8, v4
	s_wait_alu 0xfffd
	s_delay_alu instid0(VALU_DEP_2) | instskip(NEXT) | instid1(VALU_DEP_1)
	v_dual_cndmask_b32 v4, v4, v6 :: v_dual_cndmask_b32 v3, v3, v5
	v_cmp_le_u32_e32 vcc_lo, s8, v4
	s_delay_alu instid0(VALU_DEP_2) | instskip(SKIP_1) | instid1(VALU_DEP_1)
	v_add_nc_u32_e32 v5, 1, v3
	s_wait_alu 0xfffd
	v_dual_cndmask_b32 v4, v3, v5 :: v_dual_mov_b32 v5, v2
.LBB9_7:                                ;   in Loop: Header=BB9_3 Depth=1
	s_wait_alu 0xfffe
	s_or_b32 exec_lo, exec_lo, s2
	s_delay_alu instid0(VALU_DEP_1) | instskip(SKIP_1) | instid1(VALU_DEP_1)
	v_or_b32_e32 v3, s21, v5
                                        ; implicit-def: $vgpr8_vgpr9
	s_mov_b32 s2, exec_lo
	v_cmpx_ne_u64_e32 0, v[2:3]
	s_wait_alu 0xfffe
	s_xor_b32 s19, exec_lo, s2
	s_cbranch_execz .LBB9_9
; %bb.8:                                ;   in Loop: Header=BB9_3 Depth=1
	s_ashr_i32 s30, s21, 31
	v_ashrrev_i32_e32 v3, 31, v5
	s_wait_alu 0xfffe
	s_mov_b32 s31, s30
	s_wait_alu 0xfffe
	s_add_nc_u64 s[34:35], s[20:21], s[30:31]
	v_add_co_u32 v6, vcc_lo, v4, v3
	s_wait_alu 0xfffe
	s_xor_b64 s[34:35], s[34:35], s[30:31]
	s_wait_alu 0xfffd
	v_add_co_ci_u32_e64 v5, null, v5, v3, vcc_lo
	s_wait_alu 0xfffe
	s_cvt_f32_u32 s2, s34
	s_cvt_f32_u32 s22, s35
	s_sub_nc_u64 s[38:39], 0, s[34:35]
	v_xor_b32_e32 v11, v6, v3
	v_xor_b32_e32 v12, v5, v3
	s_wait_alu 0xfffe
	s_fmamk_f32 s2, s22, 0x4f800000, s2
	v_xor_b32_e32 v3, s30, v3
	s_wait_alu 0xfffe
	s_delay_alu instid0(SALU_CYCLE_1) | instskip(NEXT) | instid1(TRANS32_DEP_1)
	v_s_rcp_f32 s2, s2
	s_mul_f32 s2, s2, 0x5f7ffffc
	s_wait_alu 0xfffe
	s_delay_alu instid0(SALU_CYCLE_2) | instskip(SKIP_1) | instid1(SALU_CYCLE_2)
	s_mul_f32 s22, s2, 0x2f800000
	s_wait_alu 0xfffe
	s_trunc_f32 s22, s22
	s_wait_alu 0xfffe
	s_delay_alu instid0(SALU_CYCLE_2) | instskip(SKIP_2) | instid1(SALU_CYCLE_1)
	s_fmamk_f32 s2, s22, 0xcf800000, s2
	s_cvt_u32_f32 s37, s22
	s_wait_alu 0xfffe
	s_cvt_u32_f32 s36, s2
	s_wait_alu 0xfffe
	s_delay_alu instid0(SALU_CYCLE_2)
	s_mul_u64 s[40:41], s[38:39], s[36:37]
	s_wait_alu 0xfffe
	s_mul_hi_u32 s43, s36, s41
	s_mul_i32 s42, s36, s41
	s_mul_hi_u32 s22, s36, s40
	s_mul_i32 s29, s37, s40
	s_wait_alu 0xfffe
	s_add_nc_u64 s[42:43], s[22:23], s[42:43]
	s_mul_hi_u32 s2, s37, s40
	s_mul_hi_u32 s31, s37, s41
	s_wait_alu 0xfffe
	s_add_co_u32 s22, s42, s29
	s_add_co_ci_u32 s22, s43, s2
	s_mul_i32 s40, s37, s41
	s_add_co_ci_u32 s41, s31, 0
	s_wait_alu 0xfffe
	s_add_nc_u64 s[40:41], s[22:23], s[40:41]
	s_wait_alu 0xfffe
	s_add_co_u32 s36, s36, s40
	s_cselect_b32 s2, -1, 0
	s_wait_alu 0xfffe
	s_cmp_lg_u32 s2, 0
	s_add_co_ci_u32 s37, s37, s41
	s_wait_alu 0xfffe
	s_mul_u64 s[38:39], s[38:39], s[36:37]
	s_wait_alu 0xfffe
	s_mul_hi_u32 s41, s36, s39
	s_mul_i32 s40, s36, s39
	s_mul_hi_u32 s22, s36, s38
	s_mul_i32 s29, s37, s38
	s_wait_alu 0xfffe
	s_add_nc_u64 s[40:41], s[22:23], s[40:41]
	s_mul_hi_u32 s2, s37, s38
	s_mul_hi_u32 s31, s37, s39
	s_wait_alu 0xfffe
	s_add_co_u32 s22, s40, s29
	s_add_co_ci_u32 s22, s41, s2
	s_mul_i32 s38, s37, s39
	s_add_co_ci_u32 s39, s31, 0
	s_wait_alu 0xfffe
	s_add_nc_u64 s[38:39], s[22:23], s[38:39]
	s_wait_alu 0xfffe
	s_add_co_u32 s2, s36, s38
	s_cselect_b32 s22, -1, 0
	s_wait_alu 0xfffe
	v_mul_hi_u32 v13, v11, s2
	s_cmp_lg_u32 s22, 0
	v_mad_co_u64_u32 v[7:8], null, v12, s2, 0
	s_add_co_ci_u32 s22, s37, s39
	s_wait_alu 0xfffe
	v_mad_co_u64_u32 v[5:6], null, v11, s22, 0
	v_mad_co_u64_u32 v[9:10], null, v12, s22, 0
	s_delay_alu instid0(VALU_DEP_2) | instskip(SKIP_1) | instid1(VALU_DEP_3)
	v_add_co_u32 v5, vcc_lo, v13, v5
	s_wait_alu 0xfffd
	v_add_co_ci_u32_e64 v6, null, 0, v6, vcc_lo
	s_delay_alu instid0(VALU_DEP_2) | instskip(SKIP_1) | instid1(VALU_DEP_2)
	v_add_co_u32 v5, vcc_lo, v5, v7
	s_wait_alu 0xfffd
	v_add_co_ci_u32_e32 v5, vcc_lo, v6, v8, vcc_lo
	s_wait_alu 0xfffd
	v_add_co_ci_u32_e32 v6, vcc_lo, 0, v10, vcc_lo
	s_delay_alu instid0(VALU_DEP_2) | instskip(SKIP_1) | instid1(VALU_DEP_2)
	v_add_co_u32 v7, vcc_lo, v5, v9
	s_wait_alu 0xfffd
	v_add_co_ci_u32_e64 v8, null, 0, v6, vcc_lo
	s_delay_alu instid0(VALU_DEP_2) | instskip(SKIP_1) | instid1(VALU_DEP_3)
	v_mul_lo_u32 v9, s35, v7
	v_mad_co_u64_u32 v[5:6], null, s34, v7, 0
	v_mul_lo_u32 v10, s34, v8
	s_delay_alu instid0(VALU_DEP_2) | instskip(NEXT) | instid1(VALU_DEP_2)
	v_sub_co_u32 v5, vcc_lo, v11, v5
	v_add3_u32 v6, v6, v10, v9
	v_add_co_u32 v10, s2, v7, 2
	s_wait_alu 0xf1ff
	v_add_co_ci_u32_e64 v11, null, 0, v8, s2
	s_delay_alu instid0(VALU_DEP_3) | instskip(SKIP_3) | instid1(VALU_DEP_3)
	v_sub_nc_u32_e32 v9, v12, v6
	v_sub_co_u32 v13, s2, v5, s34
	s_wait_alu 0xfffd
	v_sub_co_ci_u32_e64 v6, null, v12, v6, vcc_lo
	v_subrev_co_ci_u32_e64 v9, null, s35, v9, vcc_lo
	s_delay_alu instid0(VALU_DEP_3) | instskip(SKIP_1) | instid1(VALU_DEP_2)
	v_cmp_le_u32_e32 vcc_lo, s34, v13
	s_wait_alu 0xf1ff
	v_subrev_co_ci_u32_e64 v9, null, 0, v9, s2
	s_wait_alu 0xfffd
	v_cndmask_b32_e64 v12, 0, -1, vcc_lo
	s_delay_alu instid0(VALU_DEP_2)
	v_cmp_le_u32_e32 vcc_lo, s35, v9
	s_wait_alu 0xfffd
	v_cndmask_b32_e64 v13, 0, -1, vcc_lo
	v_cmp_le_u32_e32 vcc_lo, s34, v5
	s_wait_alu 0xfffd
	v_cndmask_b32_e64 v5, 0, -1, vcc_lo
	;; [unrolled: 3-line block ×3, first 2 shown]
	v_cmp_eq_u32_e32 vcc_lo, s35, v9
	s_wait_alu 0xfffd
	v_cndmask_b32_e32 v9, v13, v12, vcc_lo
	v_add_co_u32 v12, vcc_lo, v7, 1
	s_wait_alu 0xfffd
	v_add_co_ci_u32_e64 v13, null, 0, v8, vcc_lo
	v_cmp_eq_u32_e32 vcc_lo, s35, v6
	s_wait_alu 0xfffd
	v_cndmask_b32_e32 v5, v14, v5, vcc_lo
	v_cmp_ne_u32_e32 vcc_lo, 0, v9
	s_wait_alu 0xfffd
	v_cndmask_b32_e32 v6, v13, v11, vcc_lo
	s_delay_alu instid0(VALU_DEP_3) | instskip(SKIP_2) | instid1(VALU_DEP_2)
	v_cmp_ne_u32_e64 s2, 0, v5
	v_cndmask_b32_e32 v5, v12, v10, vcc_lo
	s_wait_alu 0xf1ff
	v_cndmask_b32_e64 v6, v8, v6, s2
	s_delay_alu instid0(VALU_DEP_2) | instskip(NEXT) | instid1(VALU_DEP_2)
	v_cndmask_b32_e64 v5, v7, v5, s2
	v_xor_b32_e32 v6, v6, v3
	s_delay_alu instid0(VALU_DEP_2) | instskip(NEXT) | instid1(VALU_DEP_1)
	v_xor_b32_e32 v5, v5, v3
	v_sub_co_u32 v8, vcc_lo, v5, v3
	s_wait_alu 0xfffd
	s_delay_alu instid0(VALU_DEP_3)
	v_sub_co_ci_u32_e64 v9, null, v6, v3, vcc_lo
.LBB9_9:                                ;   in Loop: Header=BB9_3 Depth=1
	s_wait_alu 0xfffe
	s_and_not1_saveexec_b32 s2, s19
	s_cbranch_execz .LBB9_11
; %bb.10:                               ;   in Loop: Header=BB9_3 Depth=1
	s_sub_co_i32 s19, 0, s20
	v_mov_b32_e32 v9, v2
	s_wait_alu 0xfffe
	v_mul_lo_u32 v3, s19, v19
	s_delay_alu instid0(VALU_DEP_1) | instskip(NEXT) | instid1(VALU_DEP_1)
	v_mul_hi_u32 v3, v19, v3
	v_add_nc_u32_e32 v3, v19, v3
	s_delay_alu instid0(VALU_DEP_1) | instskip(NEXT) | instid1(VALU_DEP_1)
	v_mul_hi_u32 v3, v4, v3
	v_mul_lo_u32 v5, v3, s20
	v_add_nc_u32_e32 v6, 1, v3
	s_delay_alu instid0(VALU_DEP_2) | instskip(NEXT) | instid1(VALU_DEP_1)
	v_sub_nc_u32_e32 v5, v4, v5
	v_cmp_le_u32_e32 vcc_lo, s20, v5
	v_subrev_nc_u32_e32 v7, s20, v5
	s_wait_alu 0xfffd
	v_cndmask_b32_e32 v3, v3, v6, vcc_lo
	s_delay_alu instid0(VALU_DEP_1) | instskip(NEXT) | instid1(VALU_DEP_3)
	v_add_nc_u32_e32 v6, 1, v3
	v_cndmask_b32_e32 v5, v5, v7, vcc_lo
	s_delay_alu instid0(VALU_DEP_1) | instskip(SKIP_1) | instid1(VALU_DEP_3)
	v_cmp_le_u32_e32 vcc_lo, s20, v5
	s_wait_alu 0xfffd
	v_cndmask_b32_e32 v8, v3, v6, vcc_lo
.LBB9_11:                               ;   in Loop: Header=BB9_3 Depth=1
	s_wait_alu 0xfffe
	s_or_b32 exec_lo, exec_lo, s2
	v_mad_co_u64_u32 v[5:6], null, v4, s8, 0
	s_delay_alu instid0(VALU_DEP_2) | instskip(SKIP_3) | instid1(VALU_DEP_2)
	v_mad_co_u64_u32 v[6:7], null, v8, s20, 0
	s_and_not1_b32 vcc_lo, exec_lo, s49
	v_sub_co_u32 v20, null, v0, v5
	v_sub_co_u32 v21, null, v4, v6
	v_mul_lo_u32 v3, s24, v20
	v_mul_lo_u32 v5, s26, v20
	s_delay_alu instid0(VALU_DEP_2) | instskip(NEXT) | instid1(VALU_DEP_1)
	v_mad_co_u64_u32 v[6:7], null, s16, v21, v[3:4]
	v_mad_co_u64_u32 v[4:5], null, s18, v21, v[5:6]
	s_wait_alu 0xfffe
	s_cbranch_vccnz .LBB9_38
; %bb.12:                               ;   in Loop: Header=BB9_3 Depth=1
	s_mov_b32 s19, 1
	s_and_not1_b32 vcc_lo, exec_lo, s51
	s_mov_b32 s22, s33
	s_mov_b32 s2, s33
	s_wait_alu 0xfffe
	s_cbranch_vccz .LBB9_15
; %bb.13:                               ;   in Loop: Header=BB9_3 Depth=1
	s_and_b32 vcc_lo, exec_lo, s52
	s_mov_b32 s22, s2
	s_wait_alu 0xfffe
	s_cbranch_vccnz .LBB9_20
	s_branch .LBB9_38
.LBB9_14:                               ;   in Loop: Header=BB9_15 Depth=2
	s_wait_alu 0xfffe
	s_or_b32 exec_lo, exec_lo, s2
	s_add_nc_u64 s[36:37], s[0:1], s[36:37]
	s_clause 0x1
	s_load_b32 s2, s[34:35], 0x6c
	s_load_b32 s29, s[36:37], 0x6c
	v_mul_lo_u32 v3, v10, s30
	s_add_co_i32 s22, s22, -1
	s_delay_alu instid0(VALU_DEP_1) | instskip(SKIP_2) | instid1(VALU_DEP_2)
	v_sub_nc_u32_e32 v3, v8, v3
	v_dual_mov_b32 v8, v10 :: v_dual_mov_b32 v9, v11
	s_wait_kmcnt 0x0
	v_mad_co_u64_u32 v[6:7], null, s2, v3, v[6:7]
	v_mad_co_u64_u32 v[4:5], null, s29, v3, v[4:5]
	s_xor_b32 s2, s48, s19
	s_add_co_i32 s19, s19, 1
	s_wait_alu 0xfffe
	s_cmp_lg_u32 s2, 2
	s_cbranch_scc0 .LBB9_19
.LBB9_15:                               ;   Parent Loop BB9_3 Depth=1
                                        ; =>  This Inner Loop Header: Depth=2
	s_lshl_b64 s[36:37], s[22:23], 2
                                        ; implicit-def: $vgpr10_vgpr11
	s_mov_b32 s2, exec_lo
	s_wait_alu 0xfffe
	s_add_nc_u64 s[34:35], s[12:13], s[36:37]
	s_load_b32 s30, s[34:35], 0x8
	s_wait_kmcnt 0x0
	s_ashr_i32 s31, s30, 31
	s_wait_alu 0xfffe
	v_or_b32_e32 v3, s31, v9
	s_delay_alu instid0(VALU_DEP_1)
	v_cmpx_ne_u64_e32 0, v[2:3]
	s_xor_b32 s29, exec_lo, s2
	s_cbranch_execz .LBB9_17
; %bb.16:                               ;   in Loop: Header=BB9_15 Depth=2
	s_ashr_i32 s38, s31, 31
	s_mov_b32 s47, s23
	s_wait_alu 0xfffe
	s_mov_b32 s39, s38
	s_mov_b32 s57, s23
	s_wait_alu 0xfffe
	s_add_nc_u64 s[40:41], s[30:31], s[38:39]
	v_ashrrev_i32_e32 v3, 31, v9
	s_wait_alu 0xfffe
	s_xor_b64 s[40:41], s[40:41], s[38:39]
	s_wait_alu 0xfffe
	s_cvt_f32_u32 s2, s40
	s_cvt_f32_u32 s31, s41
	s_sub_nc_u64 s[44:45], 0, s[40:41]
	v_add_co_u32 v5, vcc_lo, v8, v3
	s_wait_alu 0xfffe
	s_fmamk_f32 s2, s31, 0x4f800000, s2
	s_wait_alu 0xfffd
	v_add_co_ci_u32_e64 v7, null, v9, v3, vcc_lo
	v_xor_b32_e32 v5, v5, v3
	s_wait_alu 0xfffe
	v_s_rcp_f32 s2, s2
	s_delay_alu instid0(VALU_DEP_2) | instskip(SKIP_1) | instid1(TRANS32_DEP_1)
	v_xor_b32_e32 v7, v7, v3
	v_xor_b32_e32 v3, s38, v3
	s_mul_f32 s2, s2, 0x5f7ffffc
	s_wait_alu 0xfffe
	s_delay_alu instid0(SALU_CYCLE_2) | instskip(SKIP_1) | instid1(SALU_CYCLE_2)
	s_mul_f32 s31, s2, 0x2f800000
	s_wait_alu 0xfffe
	s_trunc_f32 s31, s31
	s_wait_alu 0xfffe
	s_delay_alu instid0(SALU_CYCLE_2) | instskip(SKIP_2) | instid1(SALU_CYCLE_1)
	s_fmamk_f32 s2, s31, 0xcf800000, s2
	s_cvt_u32_f32 s43, s31
	s_wait_alu 0xfffe
	s_cvt_u32_f32 s42, s2
	s_wait_alu 0xfffe
	s_delay_alu instid0(SALU_CYCLE_2) | instskip(NEXT) | instid1(SALU_CYCLE_1)
	s_mul_u64 s[54:55], s[44:45], s[42:43]
	s_mul_hi_u32 s59, s42, s55
	s_mul_i32 s58, s42, s55
	s_mul_hi_u32 s46, s42, s54
	s_mul_i32 s31, s43, s54
	s_wait_alu 0xfffe
	s_add_nc_u64 s[46:47], s[46:47], s[58:59]
	s_mul_hi_u32 s2, s43, s54
	s_mul_hi_u32 s39, s43, s55
	s_wait_alu 0xfffe
	s_add_co_u32 s31, s46, s31
	s_add_co_ci_u32 s56, s47, s2
	s_mul_i32 s54, s43, s55
	s_add_co_ci_u32 s55, s39, 0
	s_delay_alu instid0(SALU_CYCLE_1)
	s_add_nc_u64 s[46:47], s[56:57], s[54:55]
	s_mov_b32 s55, s23
	s_wait_alu 0xfffe
	s_add_co_u32 s42, s42, s46
	s_cselect_b32 s2, -1, 0
	s_wait_alu 0xfffe
	s_cmp_lg_u32 s2, 0
	s_add_co_ci_u32 s43, s43, s47
	s_mov_b32 s47, s23
	s_wait_alu 0xfffe
	s_mul_u64 s[44:45], s[44:45], s[42:43]
	s_wait_alu 0xfffe
	s_mul_hi_u32 s57, s42, s45
	s_mul_i32 s56, s42, s45
	s_mul_hi_u32 s54, s42, s44
	s_mul_i32 s31, s43, s44
	s_add_nc_u64 s[54:55], s[54:55], s[56:57]
	s_mul_hi_u32 s2, s43, s44
	s_mul_hi_u32 s39, s43, s45
	s_wait_alu 0xfffe
	s_add_co_u32 s31, s54, s31
	s_add_co_ci_u32 s46, s55, s2
	s_mul_i32 s44, s43, s45
	s_add_co_ci_u32 s45, s39, 0
	s_wait_alu 0xfffe
	s_add_nc_u64 s[44:45], s[46:47], s[44:45]
	s_wait_alu 0xfffe
	s_add_co_u32 s2, s42, s44
	s_cselect_b32 s31, -1, 0
	s_wait_alu 0xfffe
	v_mul_hi_u32 v15, v5, s2
	s_cmp_lg_u32 s31, 0
	v_mad_co_u64_u32 v[11:12], null, v7, s2, 0
	s_add_co_ci_u32 s31, s43, s45
	s_wait_alu 0xfffe
	v_mad_co_u64_u32 v[9:10], null, v5, s31, 0
	v_mad_co_u64_u32 v[13:14], null, v7, s31, 0
	s_delay_alu instid0(VALU_DEP_2) | instskip(SKIP_1) | instid1(VALU_DEP_3)
	v_add_co_u32 v9, vcc_lo, v15, v9
	s_wait_alu 0xfffd
	v_add_co_ci_u32_e64 v10, null, 0, v10, vcc_lo
	s_delay_alu instid0(VALU_DEP_2) | instskip(SKIP_1) | instid1(VALU_DEP_2)
	v_add_co_u32 v9, vcc_lo, v9, v11
	s_wait_alu 0xfffd
	v_add_co_ci_u32_e32 v9, vcc_lo, v10, v12, vcc_lo
	s_wait_alu 0xfffd
	v_add_co_ci_u32_e32 v10, vcc_lo, 0, v14, vcc_lo
	s_delay_alu instid0(VALU_DEP_2) | instskip(SKIP_1) | instid1(VALU_DEP_2)
	v_add_co_u32 v11, vcc_lo, v9, v13
	s_wait_alu 0xfffd
	v_add_co_ci_u32_e64 v12, null, 0, v10, vcc_lo
	s_delay_alu instid0(VALU_DEP_2) | instskip(SKIP_1) | instid1(VALU_DEP_3)
	v_mul_lo_u32 v13, s41, v11
	v_mad_co_u64_u32 v[9:10], null, s40, v11, 0
	v_mul_lo_u32 v14, s40, v12
	s_delay_alu instid0(VALU_DEP_2) | instskip(NEXT) | instid1(VALU_DEP_2)
	v_sub_co_u32 v5, vcc_lo, v5, v9
	v_add3_u32 v10, v10, v14, v13
	s_delay_alu instid0(VALU_DEP_1) | instskip(SKIP_2) | instid1(VALU_DEP_2)
	v_sub_nc_u32_e32 v13, v7, v10
	s_wait_alu 0xfffd
	v_sub_co_ci_u32_e64 v7, null, v7, v10, vcc_lo
	v_subrev_co_ci_u32_e64 v9, null, s41, v13, vcc_lo
	v_add_co_u32 v13, s2, v11, 2
	s_wait_alu 0xf1ff
	v_add_co_ci_u32_e64 v14, null, 0, v12, s2
	v_sub_co_u32 v15, s2, v5, s40
	s_wait_alu 0xf1ff
	v_subrev_co_ci_u32_e64 v9, null, 0, v9, s2
	s_delay_alu instid0(VALU_DEP_2) | instskip(SKIP_2) | instid1(VALU_DEP_3)
	v_cmp_le_u32_e32 vcc_lo, s40, v15
	s_wait_alu 0xfffd
	v_cndmask_b32_e64 v10, 0, -1, vcc_lo
	v_cmp_le_u32_e32 vcc_lo, s41, v9
	s_wait_alu 0xfffd
	v_cndmask_b32_e64 v15, 0, -1, vcc_lo
	;; [unrolled: 3-line block ×4, first 2 shown]
	v_cmp_eq_u32_e32 vcc_lo, s41, v9
	s_wait_alu 0xfffd
	v_cndmask_b32_e32 v9, v15, v10, vcc_lo
	v_add_co_u32 v10, vcc_lo, v11, 1
	s_wait_alu 0xfffd
	v_add_co_ci_u32_e64 v15, null, 0, v12, vcc_lo
	v_cmp_eq_u32_e32 vcc_lo, s41, v7
	s_wait_alu 0xfffd
	v_cndmask_b32_e32 v5, v16, v5, vcc_lo
	v_cmp_ne_u32_e32 vcc_lo, 0, v9
	s_delay_alu instid0(VALU_DEP_2) | instskip(SKIP_4) | instid1(VALU_DEP_2)
	v_cmp_ne_u32_e64 s2, 0, v5
	s_wait_alu 0xfffd
	v_cndmask_b32_e32 v5, v10, v13, vcc_lo
	v_cndmask_b32_e32 v7, v15, v14, vcc_lo
	s_wait_alu 0xf1ff
	v_cndmask_b32_e64 v5, v11, v5, s2
	s_delay_alu instid0(VALU_DEP_2) | instskip(NEXT) | instid1(VALU_DEP_2)
	v_cndmask_b32_e64 v7, v12, v7, s2
	v_xor_b32_e32 v5, v5, v3
	s_delay_alu instid0(VALU_DEP_2) | instskip(NEXT) | instid1(VALU_DEP_2)
	v_xor_b32_e32 v7, v7, v3
	v_sub_co_u32 v10, vcc_lo, v5, v3
	s_wait_alu 0xfffd
	s_delay_alu instid0(VALU_DEP_2)
	v_sub_co_ci_u32_e64 v11, null, v7, v3, vcc_lo
.LBB9_17:                               ;   in Loop: Header=BB9_15 Depth=2
	s_wait_alu 0xfffe
	s_and_not1_saveexec_b32 s2, s29
	s_cbranch_execz .LBB9_14
; %bb.18:                               ;   in Loop: Header=BB9_15 Depth=2
	v_cvt_f32_u32_e32 v3, s30
	s_sub_co_i32 s29, 0, s30
	v_mov_b32_e32 v11, v2
	s_delay_alu instid0(VALU_DEP_2) | instskip(NEXT) | instid1(TRANS32_DEP_1)
	v_rcp_iflag_f32_e32 v3, v3
	v_mul_f32_e32 v3, 0x4f7ffffe, v3
	s_delay_alu instid0(VALU_DEP_1) | instskip(SKIP_1) | instid1(VALU_DEP_1)
	v_cvt_u32_f32_e32 v3, v3
	s_wait_alu 0xfffe
	v_mul_lo_u32 v5, s29, v3
	s_delay_alu instid0(VALU_DEP_1) | instskip(NEXT) | instid1(VALU_DEP_1)
	v_mul_hi_u32 v5, v3, v5
	v_add_nc_u32_e32 v3, v3, v5
	s_delay_alu instid0(VALU_DEP_1) | instskip(NEXT) | instid1(VALU_DEP_1)
	v_mul_hi_u32 v3, v8, v3
	v_mul_lo_u32 v5, v3, s30
	v_add_nc_u32_e32 v7, 1, v3
	s_delay_alu instid0(VALU_DEP_2) | instskip(NEXT) | instid1(VALU_DEP_1)
	v_sub_nc_u32_e32 v5, v8, v5
	v_cmp_le_u32_e32 vcc_lo, s30, v5
	v_subrev_nc_u32_e32 v9, s30, v5
	s_wait_alu 0xfffd
	v_cndmask_b32_e32 v3, v3, v7, vcc_lo
	s_delay_alu instid0(VALU_DEP_1) | instskip(NEXT) | instid1(VALU_DEP_3)
	v_add_nc_u32_e32 v7, 1, v3
	v_cndmask_b32_e32 v5, v5, v9, vcc_lo
	s_delay_alu instid0(VALU_DEP_1) | instskip(SKIP_1) | instid1(VALU_DEP_3)
	v_cmp_le_u32_e32 vcc_lo, s30, v5
	s_wait_alu 0xfffd
	v_cndmask_b32_e32 v10, v3, v7, vcc_lo
	s_branch .LBB9_14
.LBB9_19:                               ;   in Loop: Header=BB9_3 Depth=1
	s_mov_b32 s2, s22
	s_and_b32 vcc_lo, exec_lo, s52
	s_wait_alu 0xfffe
	s_mov_b32 s22, s2
	s_cbranch_vccz .LBB9_38
.LBB9_20:                               ;   Parent Loop BB9_3 Depth=1
                                        ; =>  This Inner Loop Header: Depth=2
	s_wait_alu 0xfffe
	s_lshl_b64 s[42:43], s[22:23], 2
                                        ; implicit-def: $vgpr10_vgpr11
	s_mov_b32 s2, exec_lo
	s_wait_alu 0xfffe
	s_add_nc_u64 s[36:37], s[12:13], s[42:43]
	s_load_b32 s30, s[36:37], 0x8
	s_wait_kmcnt 0x0
	s_ashr_i32 s31, s30, 31
	s_wait_alu 0xfffe
	v_or_b32_e32 v3, s31, v9
	s_delay_alu instid0(VALU_DEP_1)
	v_cmpx_ne_u64_e32 0, v[2:3]
	s_xor_b32 s19, exec_lo, s2
	s_cbranch_execz .LBB9_22
; %bb.21:                               ;   in Loop: Header=BB9_20 Depth=2
	s_ashr_i32 s34, s31, 31
	s_mov_b32 s47, s23
	s_wait_alu 0xfffe
	s_mov_b32 s35, s34
	s_mov_b32 s57, s23
	s_wait_alu 0xfffe
	s_add_nc_u64 s[38:39], s[30:31], s[34:35]
	v_ashrrev_i32_e32 v3, 31, v9
	s_wait_alu 0xfffe
	s_xor_b64 s[38:39], s[38:39], s[34:35]
	s_wait_alu 0xfffe
	s_cvt_f32_u32 s2, s38
	s_cvt_f32_u32 s29, s39
	s_sub_nc_u64 s[44:45], 0, s[38:39]
	v_add_co_u32 v5, vcc_lo, v8, v3
	s_wait_alu 0xfffe
	s_fmamk_f32 s2, s29, 0x4f800000, s2
	s_wait_alu 0xfffd
	v_add_co_ci_u32_e64 v7, null, v9, v3, vcc_lo
	v_xor_b32_e32 v5, v5, v3
	s_wait_alu 0xfffe
	v_s_rcp_f32 s2, s2
	s_delay_alu instid0(VALU_DEP_2) | instskip(SKIP_1) | instid1(TRANS32_DEP_1)
	v_xor_b32_e32 v7, v7, v3
	v_xor_b32_e32 v3, s34, v3
	s_mul_f32 s2, s2, 0x5f7ffffc
	s_wait_alu 0xfffe
	s_delay_alu instid0(SALU_CYCLE_2) | instskip(SKIP_1) | instid1(SALU_CYCLE_2)
	s_mul_f32 s29, s2, 0x2f800000
	s_wait_alu 0xfffe
	s_trunc_f32 s29, s29
	s_wait_alu 0xfffe
	s_delay_alu instid0(SALU_CYCLE_2) | instskip(SKIP_2) | instid1(SALU_CYCLE_1)
	s_fmamk_f32 s2, s29, 0xcf800000, s2
	s_cvt_u32_f32 s41, s29
	s_wait_alu 0xfffe
	s_cvt_u32_f32 s40, s2
	s_wait_alu 0xfffe
	s_delay_alu instid0(SALU_CYCLE_2) | instskip(NEXT) | instid1(SALU_CYCLE_1)
	s_mul_u64 s[54:55], s[44:45], s[40:41]
	s_mul_hi_u32 s59, s40, s55
	s_mul_i32 s58, s40, s55
	s_mul_hi_u32 s46, s40, s54
	s_mul_i32 s29, s41, s54
	s_wait_alu 0xfffe
	s_add_nc_u64 s[46:47], s[46:47], s[58:59]
	s_mul_hi_u32 s2, s41, s54
	s_mul_hi_u32 s31, s41, s55
	s_wait_alu 0xfffe
	s_add_co_u32 s29, s46, s29
	s_add_co_ci_u32 s56, s47, s2
	s_mul_i32 s54, s41, s55
	s_add_co_ci_u32 s55, s31, 0
	s_delay_alu instid0(SALU_CYCLE_1)
	s_add_nc_u64 s[46:47], s[56:57], s[54:55]
	s_mov_b32 s55, s23
	s_wait_alu 0xfffe
	s_add_co_u32 s40, s40, s46
	s_cselect_b32 s2, -1, 0
	s_wait_alu 0xfffe
	s_cmp_lg_u32 s2, 0
	s_add_co_ci_u32 s41, s41, s47
	s_mov_b32 s47, s23
	s_wait_alu 0xfffe
	s_mul_u64 s[44:45], s[44:45], s[40:41]
	s_wait_alu 0xfffe
	s_mul_hi_u32 s57, s40, s45
	s_mul_i32 s56, s40, s45
	s_mul_hi_u32 s54, s40, s44
	s_mul_i32 s29, s41, s44
	s_add_nc_u64 s[54:55], s[54:55], s[56:57]
	s_mul_hi_u32 s2, s41, s44
	s_mul_hi_u32 s31, s41, s45
	s_wait_alu 0xfffe
	s_add_co_u32 s29, s54, s29
	s_add_co_ci_u32 s46, s55, s2
	s_mul_i32 s44, s41, s45
	s_add_co_ci_u32 s45, s31, 0
	s_wait_alu 0xfffe
	s_add_nc_u64 s[44:45], s[46:47], s[44:45]
	s_wait_alu 0xfffe
	s_add_co_u32 s2, s40, s44
	s_cselect_b32 s29, -1, 0
	s_wait_alu 0xfffe
	v_mul_hi_u32 v15, v5, s2
	s_cmp_lg_u32 s29, 0
	v_mad_co_u64_u32 v[11:12], null, v7, s2, 0
	s_add_co_ci_u32 s29, s41, s45
	s_wait_alu 0xfffe
	v_mad_co_u64_u32 v[9:10], null, v5, s29, 0
	v_mad_co_u64_u32 v[13:14], null, v7, s29, 0
	s_delay_alu instid0(VALU_DEP_2) | instskip(SKIP_1) | instid1(VALU_DEP_3)
	v_add_co_u32 v9, vcc_lo, v15, v9
	s_wait_alu 0xfffd
	v_add_co_ci_u32_e64 v10, null, 0, v10, vcc_lo
	s_delay_alu instid0(VALU_DEP_2) | instskip(SKIP_1) | instid1(VALU_DEP_2)
	v_add_co_u32 v9, vcc_lo, v9, v11
	s_wait_alu 0xfffd
	v_add_co_ci_u32_e32 v9, vcc_lo, v10, v12, vcc_lo
	s_wait_alu 0xfffd
	v_add_co_ci_u32_e32 v10, vcc_lo, 0, v14, vcc_lo
	s_delay_alu instid0(VALU_DEP_2) | instskip(SKIP_1) | instid1(VALU_DEP_2)
	v_add_co_u32 v11, vcc_lo, v9, v13
	s_wait_alu 0xfffd
	v_add_co_ci_u32_e64 v12, null, 0, v10, vcc_lo
	s_delay_alu instid0(VALU_DEP_2) | instskip(SKIP_1) | instid1(VALU_DEP_3)
	v_mul_lo_u32 v13, s39, v11
	v_mad_co_u64_u32 v[9:10], null, s38, v11, 0
	v_mul_lo_u32 v14, s38, v12
	s_delay_alu instid0(VALU_DEP_2) | instskip(NEXT) | instid1(VALU_DEP_2)
	v_sub_co_u32 v5, vcc_lo, v5, v9
	v_add3_u32 v10, v10, v14, v13
	s_delay_alu instid0(VALU_DEP_1) | instskip(SKIP_2) | instid1(VALU_DEP_2)
	v_sub_nc_u32_e32 v13, v7, v10
	s_wait_alu 0xfffd
	v_sub_co_ci_u32_e64 v7, null, v7, v10, vcc_lo
	v_subrev_co_ci_u32_e64 v9, null, s39, v13, vcc_lo
	v_add_co_u32 v13, s2, v11, 2
	s_wait_alu 0xf1ff
	v_add_co_ci_u32_e64 v14, null, 0, v12, s2
	v_sub_co_u32 v15, s2, v5, s38
	s_wait_alu 0xf1ff
	v_subrev_co_ci_u32_e64 v9, null, 0, v9, s2
	s_delay_alu instid0(VALU_DEP_2) | instskip(SKIP_2) | instid1(VALU_DEP_3)
	v_cmp_le_u32_e32 vcc_lo, s38, v15
	s_wait_alu 0xfffd
	v_cndmask_b32_e64 v10, 0, -1, vcc_lo
	v_cmp_le_u32_e32 vcc_lo, s39, v9
	s_wait_alu 0xfffd
	v_cndmask_b32_e64 v15, 0, -1, vcc_lo
	;; [unrolled: 3-line block ×4, first 2 shown]
	v_cmp_eq_u32_e32 vcc_lo, s39, v9
	s_wait_alu 0xfffd
	v_cndmask_b32_e32 v9, v15, v10, vcc_lo
	v_add_co_u32 v10, vcc_lo, v11, 1
	s_wait_alu 0xfffd
	v_add_co_ci_u32_e64 v15, null, 0, v12, vcc_lo
	v_cmp_eq_u32_e32 vcc_lo, s39, v7
	s_wait_alu 0xfffd
	v_cndmask_b32_e32 v5, v16, v5, vcc_lo
	v_cmp_ne_u32_e32 vcc_lo, 0, v9
	s_delay_alu instid0(VALU_DEP_2) | instskip(SKIP_4) | instid1(VALU_DEP_2)
	v_cmp_ne_u32_e64 s2, 0, v5
	s_wait_alu 0xfffd
	v_cndmask_b32_e32 v5, v10, v13, vcc_lo
	v_cndmask_b32_e32 v7, v15, v14, vcc_lo
	s_wait_alu 0xf1ff
	v_cndmask_b32_e64 v5, v11, v5, s2
	s_delay_alu instid0(VALU_DEP_2) | instskip(NEXT) | instid1(VALU_DEP_2)
	v_cndmask_b32_e64 v7, v12, v7, s2
	v_xor_b32_e32 v5, v5, v3
	s_delay_alu instid0(VALU_DEP_2) | instskip(NEXT) | instid1(VALU_DEP_2)
	v_xor_b32_e32 v7, v7, v3
	v_sub_co_u32 v10, vcc_lo, v5, v3
	s_wait_alu 0xfffd
	s_delay_alu instid0(VALU_DEP_2)
	v_sub_co_ci_u32_e64 v11, null, v7, v3, vcc_lo
.LBB9_22:                               ;   in Loop: Header=BB9_20 Depth=2
	s_wait_alu 0xfffe
	s_and_not1_saveexec_b32 s2, s19
	s_cbranch_execz .LBB9_24
; %bb.23:                               ;   in Loop: Header=BB9_20 Depth=2
	v_cvt_f32_u32_e32 v3, s30
	s_sub_co_i32 s19, 0, s30
	v_mov_b32_e32 v11, v2
	s_delay_alu instid0(VALU_DEP_2) | instskip(NEXT) | instid1(TRANS32_DEP_1)
	v_rcp_iflag_f32_e32 v3, v3
	v_mul_f32_e32 v3, 0x4f7ffffe, v3
	s_delay_alu instid0(VALU_DEP_1) | instskip(SKIP_1) | instid1(VALU_DEP_1)
	v_cvt_u32_f32_e32 v3, v3
	s_wait_alu 0xfffe
	v_mul_lo_u32 v5, s19, v3
	s_delay_alu instid0(VALU_DEP_1) | instskip(NEXT) | instid1(VALU_DEP_1)
	v_mul_hi_u32 v5, v3, v5
	v_add_nc_u32_e32 v3, v3, v5
	s_delay_alu instid0(VALU_DEP_1) | instskip(NEXT) | instid1(VALU_DEP_1)
	v_mul_hi_u32 v3, v8, v3
	v_mul_lo_u32 v5, v3, s30
	v_add_nc_u32_e32 v7, 1, v3
	s_delay_alu instid0(VALU_DEP_2) | instskip(NEXT) | instid1(VALU_DEP_1)
	v_sub_nc_u32_e32 v5, v8, v5
	v_cmp_le_u32_e32 vcc_lo, s30, v5
	v_subrev_nc_u32_e32 v9, s30, v5
	s_wait_alu 0xfffd
	v_cndmask_b32_e32 v3, v3, v7, vcc_lo
	s_delay_alu instid0(VALU_DEP_1) | instskip(NEXT) | instid1(VALU_DEP_3)
	v_add_nc_u32_e32 v7, 1, v3
	v_cndmask_b32_e32 v5, v5, v9, vcc_lo
	s_delay_alu instid0(VALU_DEP_1) | instskip(SKIP_1) | instid1(VALU_DEP_3)
	v_cmp_le_u32_e32 vcc_lo, s30, v5
	s_wait_alu 0xfffd
	v_cndmask_b32_e32 v10, v3, v7, vcc_lo
.LBB9_24:                               ;   in Loop: Header=BB9_20 Depth=2
	s_wait_alu 0xfffe
	s_or_b32 exec_lo, exec_lo, s2
	s_add_co_i32 s34, s22, -1
	s_mov_b32 s35, s23
	s_add_nc_u64 s[42:43], s[0:1], s[42:43]
	s_wait_alu 0xfffe
	s_lshl_b64 s[40:41], s[34:35], 2
                                        ; implicit-def: $vgpr12_vgpr13
	s_mov_b32 s2, exec_lo
	s_wait_alu 0xfffe
	s_add_nc_u64 s[38:39], s[12:13], s[40:41]
	s_clause 0x2
	s_load_b32 s34, s[38:39], 0x8
	s_load_b32 s19, s[36:37], 0x6c
	;; [unrolled: 1-line block ×3, first 2 shown]
	s_wait_kmcnt 0x0
	s_ashr_i32 s35, s34, 31
	s_wait_alu 0xfffe
	v_or_b32_e32 v3, s35, v11
	s_delay_alu instid0(VALU_DEP_1)
	v_cmpx_ne_u64_e32 0, v[2:3]
	s_xor_b32 s31, exec_lo, s2
	s_cbranch_execz .LBB9_26
; %bb.25:                               ;   in Loop: Header=BB9_20 Depth=2
	s_ashr_i32 s36, s35, 31
	s_mov_b32 s55, s23
	s_wait_alu 0xfffe
	s_mov_b32 s37, s36
	s_mov_b32 s59, s23
	s_wait_alu 0xfffe
	s_add_nc_u64 s[42:43], s[34:35], s[36:37]
	v_ashrrev_i32_e32 v3, 31, v11
	s_wait_alu 0xfffe
	s_xor_b64 s[42:43], s[42:43], s[36:37]
	s_wait_alu 0xfffe
	s_cvt_f32_u32 s2, s42
	s_cvt_f32_u32 s35, s43
	s_sub_nc_u64 s[46:47], 0, s[42:43]
	v_add_co_u32 v5, vcc_lo, v10, v3
	s_wait_alu 0xfffe
	s_fmamk_f32 s2, s35, 0x4f800000, s2
	s_wait_alu 0xfffd
	v_add_co_ci_u32_e64 v7, null, v11, v3, vcc_lo
	v_xor_b32_e32 v5, v5, v3
	s_wait_alu 0xfffe
	v_s_rcp_f32 s2, s2
	s_delay_alu instid0(VALU_DEP_2) | instskip(SKIP_1) | instid1(TRANS32_DEP_1)
	v_xor_b32_e32 v7, v7, v3
	v_xor_b32_e32 v3, s36, v3
	s_mul_f32 s2, s2, 0x5f7ffffc
	s_wait_alu 0xfffe
	s_delay_alu instid0(SALU_CYCLE_2) | instskip(SKIP_1) | instid1(SALU_CYCLE_2)
	s_mul_f32 s35, s2, 0x2f800000
	s_wait_alu 0xfffe
	s_trunc_f32 s35, s35
	s_wait_alu 0xfffe
	s_delay_alu instid0(SALU_CYCLE_2) | instskip(SKIP_2) | instid1(SALU_CYCLE_1)
	s_fmamk_f32 s2, s35, 0xcf800000, s2
	s_cvt_u32_f32 s45, s35
	s_wait_alu 0xfffe
	s_cvt_u32_f32 s44, s2
	s_wait_alu 0xfffe
	s_delay_alu instid0(SALU_CYCLE_2) | instskip(NEXT) | instid1(SALU_CYCLE_1)
	s_mul_u64 s[56:57], s[46:47], s[44:45]
	s_mul_hi_u32 s61, s44, s57
	s_mul_i32 s60, s44, s57
	s_mul_hi_u32 s54, s44, s56
	s_mul_i32 s35, s45, s56
	s_add_nc_u64 s[54:55], s[54:55], s[60:61]
	s_mul_hi_u32 s2, s45, s56
	s_mul_hi_u32 s37, s45, s57
	s_wait_alu 0xfffe
	s_add_co_u32 s35, s54, s35
	s_add_co_ci_u32 s58, s55, s2
	s_mul_i32 s56, s45, s57
	s_add_co_ci_u32 s57, s37, 0
	s_delay_alu instid0(SALU_CYCLE_1)
	s_add_nc_u64 s[54:55], s[58:59], s[56:57]
	s_mov_b32 s57, s23
	s_add_co_u32 s44, s44, s54
	s_cselect_b32 s2, -1, 0
	s_wait_alu 0xfffe
	s_cmp_lg_u32 s2, 0
	s_add_co_ci_u32 s45, s45, s55
	s_mov_b32 s55, s23
	s_wait_alu 0xfffe
	s_mul_u64 s[46:47], s[46:47], s[44:45]
	s_wait_alu 0xfffe
	s_mul_hi_u32 s59, s44, s47
	s_mul_i32 s58, s44, s47
	s_mul_hi_u32 s56, s44, s46
	s_mul_i32 s35, s45, s46
	s_add_nc_u64 s[56:57], s[56:57], s[58:59]
	s_mul_hi_u32 s2, s45, s46
	s_mul_hi_u32 s37, s45, s47
	s_wait_alu 0xfffe
	s_add_co_u32 s35, s56, s35
	s_add_co_ci_u32 s54, s57, s2
	s_mul_i32 s46, s45, s47
	s_add_co_ci_u32 s47, s37, 0
	s_wait_alu 0xfffe
	s_add_nc_u64 s[46:47], s[54:55], s[46:47]
	s_wait_alu 0xfffe
	s_add_co_u32 s2, s44, s46
	s_cselect_b32 s35, -1, 0
	s_wait_alu 0xfffe
	v_mul_hi_u32 v9, v5, s2
	s_cmp_lg_u32 s35, 0
	v_mad_co_u64_u32 v[13:14], null, v7, s2, 0
	s_add_co_ci_u32 s35, s45, s47
	s_wait_alu 0xfffe
	v_mad_co_u64_u32 v[11:12], null, v5, s35, 0
	v_mad_co_u64_u32 v[15:16], null, v7, s35, 0
	s_delay_alu instid0(VALU_DEP_2) | instskip(SKIP_1) | instid1(VALU_DEP_3)
	v_add_co_u32 v9, vcc_lo, v9, v11
	s_wait_alu 0xfffd
	v_add_co_ci_u32_e64 v11, null, 0, v12, vcc_lo
	s_delay_alu instid0(VALU_DEP_2) | instskip(SKIP_1) | instid1(VALU_DEP_2)
	v_add_co_u32 v9, vcc_lo, v9, v13
	s_wait_alu 0xfffd
	v_add_co_ci_u32_e32 v9, vcc_lo, v11, v14, vcc_lo
	s_wait_alu 0xfffd
	v_add_co_ci_u32_e32 v11, vcc_lo, 0, v16, vcc_lo
	s_delay_alu instid0(VALU_DEP_2) | instskip(SKIP_1) | instid1(VALU_DEP_2)
	v_add_co_u32 v9, vcc_lo, v9, v15
	s_wait_alu 0xfffd
	v_add_co_ci_u32_e64 v13, null, 0, v11, vcc_lo
	s_delay_alu instid0(VALU_DEP_2) | instskip(SKIP_1) | instid1(VALU_DEP_3)
	v_mul_lo_u32 v14, s43, v9
	v_mad_co_u64_u32 v[11:12], null, s42, v9, 0
	v_mul_lo_u32 v15, s42, v13
	s_delay_alu instid0(VALU_DEP_2) | instskip(NEXT) | instid1(VALU_DEP_2)
	v_sub_co_u32 v5, vcc_lo, v5, v11
	v_add3_u32 v12, v12, v15, v14
	s_delay_alu instid0(VALU_DEP_1) | instskip(SKIP_2) | instid1(VALU_DEP_2)
	v_sub_nc_u32_e32 v14, v7, v12
	s_wait_alu 0xfffd
	v_sub_co_ci_u32_e64 v7, null, v7, v12, vcc_lo
	v_subrev_co_ci_u32_e64 v11, null, s43, v14, vcc_lo
	v_add_co_u32 v14, s2, v9, 2
	s_wait_alu 0xf1ff
	v_add_co_ci_u32_e64 v15, null, 0, v13, s2
	v_sub_co_u32 v16, s2, v5, s42
	s_wait_alu 0xf1ff
	v_subrev_co_ci_u32_e64 v11, null, 0, v11, s2
	s_delay_alu instid0(VALU_DEP_2) | instskip(SKIP_2) | instid1(VALU_DEP_3)
	v_cmp_le_u32_e32 vcc_lo, s42, v16
	s_wait_alu 0xfffd
	v_cndmask_b32_e64 v12, 0, -1, vcc_lo
	v_cmp_le_u32_e32 vcc_lo, s43, v11
	s_wait_alu 0xfffd
	v_cndmask_b32_e64 v16, 0, -1, vcc_lo
	;; [unrolled: 3-line block ×4, first 2 shown]
	v_cmp_eq_u32_e32 vcc_lo, s43, v11
	s_wait_alu 0xfffd
	v_cndmask_b32_e32 v11, v16, v12, vcc_lo
	v_add_co_u32 v12, vcc_lo, v9, 1
	s_wait_alu 0xfffd
	v_add_co_ci_u32_e64 v16, null, 0, v13, vcc_lo
	v_cmp_eq_u32_e32 vcc_lo, s43, v7
	s_wait_alu 0xfffd
	v_cndmask_b32_e32 v5, v17, v5, vcc_lo
	v_cmp_ne_u32_e32 vcc_lo, 0, v11
	s_delay_alu instid0(VALU_DEP_2) | instskip(SKIP_4) | instid1(VALU_DEP_2)
	v_cmp_ne_u32_e64 s2, 0, v5
	s_wait_alu 0xfffd
	v_cndmask_b32_e32 v5, v12, v14, vcc_lo
	v_cndmask_b32_e32 v7, v16, v15, vcc_lo
	s_wait_alu 0xf1ff
	v_cndmask_b32_e64 v5, v9, v5, s2
	s_delay_alu instid0(VALU_DEP_2) | instskip(NEXT) | instid1(VALU_DEP_2)
	v_cndmask_b32_e64 v7, v13, v7, s2
	v_xor_b32_e32 v5, v5, v3
	s_delay_alu instid0(VALU_DEP_2) | instskip(NEXT) | instid1(VALU_DEP_2)
	v_xor_b32_e32 v7, v7, v3
	v_sub_co_u32 v12, vcc_lo, v5, v3
	s_wait_alu 0xfffd
	s_delay_alu instid0(VALU_DEP_2)
	v_sub_co_ci_u32_e64 v13, null, v7, v3, vcc_lo
.LBB9_26:                               ;   in Loop: Header=BB9_20 Depth=2
	s_wait_alu 0xfffe
	s_and_not1_saveexec_b32 s2, s31
	s_cbranch_execz .LBB9_28
; %bb.27:                               ;   in Loop: Header=BB9_20 Depth=2
	v_cvt_f32_u32_e32 v3, s34
	s_sub_co_i32 s31, 0, s34
	v_mov_b32_e32 v13, v2
	s_delay_alu instid0(VALU_DEP_2) | instskip(NEXT) | instid1(TRANS32_DEP_1)
	v_rcp_iflag_f32_e32 v3, v3
	v_mul_f32_e32 v3, 0x4f7ffffe, v3
	s_delay_alu instid0(VALU_DEP_1) | instskip(SKIP_1) | instid1(VALU_DEP_1)
	v_cvt_u32_f32_e32 v3, v3
	s_wait_alu 0xfffe
	v_mul_lo_u32 v5, s31, v3
	s_delay_alu instid0(VALU_DEP_1) | instskip(NEXT) | instid1(VALU_DEP_1)
	v_mul_hi_u32 v5, v3, v5
	v_add_nc_u32_e32 v3, v3, v5
	s_delay_alu instid0(VALU_DEP_1) | instskip(NEXT) | instid1(VALU_DEP_1)
	v_mul_hi_u32 v3, v10, v3
	v_mul_lo_u32 v5, v3, s34
	v_add_nc_u32_e32 v7, 1, v3
	s_delay_alu instid0(VALU_DEP_2) | instskip(NEXT) | instid1(VALU_DEP_1)
	v_sub_nc_u32_e32 v5, v10, v5
	v_cmp_le_u32_e32 vcc_lo, s34, v5
	v_subrev_nc_u32_e32 v9, s34, v5
	s_wait_alu 0xfffd
	v_cndmask_b32_e32 v3, v3, v7, vcc_lo
	s_delay_alu instid0(VALU_DEP_1) | instskip(NEXT) | instid1(VALU_DEP_3)
	v_add_nc_u32_e32 v7, 1, v3
	v_cndmask_b32_e32 v5, v5, v9, vcc_lo
	s_delay_alu instid0(VALU_DEP_1) | instskip(SKIP_1) | instid1(VALU_DEP_3)
	v_cmp_le_u32_e32 vcc_lo, s34, v5
	s_wait_alu 0xfffd
	v_cndmask_b32_e32 v12, v3, v7, vcc_lo
.LBB9_28:                               ;   in Loop: Header=BB9_20 Depth=2
	s_wait_alu 0xfffe
	s_or_b32 exec_lo, exec_lo, s2
	s_add_co_i32 s36, s22, -2
	s_mov_b32 s37, s23
	s_add_nc_u64 s[40:41], s[0:1], s[40:41]
	s_wait_alu 0xfffe
	s_lshl_b64 s[46:47], s[36:37], 2
                                        ; implicit-def: $vgpr14_vgpr15
	s_mov_b32 s2, exec_lo
	s_wait_alu 0xfffe
	s_add_nc_u64 s[44:45], s[12:13], s[46:47]
	s_clause 0x2
	s_load_b32 s36, s[44:45], 0x8
	s_load_b32 s31, s[38:39], 0x6c
	;; [unrolled: 1-line block ×3, first 2 shown]
	s_wait_kmcnt 0x0
	s_ashr_i32 s37, s36, 31
	s_wait_alu 0xfffe
	v_or_b32_e32 v3, s37, v13
	s_delay_alu instid0(VALU_DEP_1)
	v_cmpx_ne_u64_e32 0, v[2:3]
	s_xor_b32 s42, exec_lo, s2
	s_cbranch_execz .LBB9_30
; %bb.29:                               ;   in Loop: Header=BB9_20 Depth=2
	s_ashr_i32 s38, s37, 31
	s_mov_b32 s59, s23
	s_wait_alu 0xfffe
	s_mov_b32 s39, s38
	s_mov_b32 s63, s23
	s_wait_alu 0xfffe
	s_add_nc_u64 s[40:41], s[36:37], s[38:39]
	v_ashrrev_i32_e32 v3, 31, v13
	s_wait_alu 0xfffe
	s_xor_b64 s[40:41], s[40:41], s[38:39]
	s_wait_alu 0xfffe
	s_cvt_f32_u32 s2, s40
	s_cvt_f32_u32 s37, s41
	s_sub_nc_u64 s[56:57], 0, s[40:41]
	v_add_co_u32 v5, vcc_lo, v12, v3
	s_wait_alu 0xfffe
	s_fmamk_f32 s2, s37, 0x4f800000, s2
	s_wait_alu 0xfffd
	v_add_co_ci_u32_e64 v7, null, v13, v3, vcc_lo
	v_xor_b32_e32 v5, v5, v3
	s_wait_alu 0xfffe
	v_s_rcp_f32 s2, s2
	s_delay_alu instid0(VALU_DEP_2) | instskip(SKIP_1) | instid1(TRANS32_DEP_1)
	v_xor_b32_e32 v7, v7, v3
	v_xor_b32_e32 v3, s38, v3
	s_mul_f32 s2, s2, 0x5f7ffffc
	s_wait_alu 0xfffe
	s_delay_alu instid0(SALU_CYCLE_2) | instskip(SKIP_1) | instid1(SALU_CYCLE_2)
	s_mul_f32 s37, s2, 0x2f800000
	s_wait_alu 0xfffe
	s_trunc_f32 s37, s37
	s_wait_alu 0xfffe
	s_delay_alu instid0(SALU_CYCLE_2) | instskip(SKIP_2) | instid1(SALU_CYCLE_1)
	s_fmamk_f32 s2, s37, 0xcf800000, s2
	s_cvt_u32_f32 s55, s37
	s_wait_alu 0xfffe
	s_cvt_u32_f32 s54, s2
	s_delay_alu instid0(SALU_CYCLE_3) | instskip(NEXT) | instid1(SALU_CYCLE_1)
	s_mul_u64 s[60:61], s[56:57], s[54:55]
	s_mul_hi_u32 s65, s54, s61
	s_mul_i32 s64, s54, s61
	s_mul_hi_u32 s58, s54, s60
	s_mul_i32 s37, s55, s60
	s_add_nc_u64 s[58:59], s[58:59], s[64:65]
	s_mul_hi_u32 s2, s55, s60
	s_mul_hi_u32 s39, s55, s61
	s_wait_alu 0xfffe
	s_add_co_u32 s37, s58, s37
	s_add_co_ci_u32 s62, s59, s2
	s_mul_i32 s60, s55, s61
	s_add_co_ci_u32 s61, s39, 0
	s_delay_alu instid0(SALU_CYCLE_1)
	s_add_nc_u64 s[58:59], s[62:63], s[60:61]
	s_mov_b32 s61, s23
	s_add_co_u32 s54, s54, s58
	s_cselect_b32 s2, -1, 0
	s_wait_alu 0xfffe
	s_cmp_lg_u32 s2, 0
	s_add_co_ci_u32 s55, s55, s59
	s_mov_b32 s59, s23
	s_mul_u64 s[56:57], s[56:57], s[54:55]
	s_delay_alu instid0(SALU_CYCLE_1)
	s_mul_hi_u32 s63, s54, s57
	s_mul_i32 s62, s54, s57
	s_mul_hi_u32 s60, s54, s56
	s_mul_i32 s37, s55, s56
	s_add_nc_u64 s[60:61], s[60:61], s[62:63]
	s_mul_hi_u32 s2, s55, s56
	s_mul_hi_u32 s39, s55, s57
	s_wait_alu 0xfffe
	s_add_co_u32 s37, s60, s37
	s_add_co_ci_u32 s58, s61, s2
	s_mul_i32 s56, s55, s57
	s_add_co_ci_u32 s57, s39, 0
	s_delay_alu instid0(SALU_CYCLE_1) | instskip(NEXT) | instid1(SALU_CYCLE_1)
	s_add_nc_u64 s[56:57], s[58:59], s[56:57]
	s_add_co_u32 s2, s54, s56
	s_cselect_b32 s37, -1, 0
	s_wait_alu 0xfffe
	v_mul_hi_u32 v9, v5, s2
	s_cmp_lg_u32 s37, 0
	v_mad_co_u64_u32 v[15:16], null, v7, s2, 0
	s_add_co_ci_u32 s37, s55, s57
	s_wait_alu 0xfffe
	v_mad_co_u64_u32 v[13:14], null, v5, s37, 0
	v_mad_co_u64_u32 v[22:23], null, v7, s37, 0
	s_delay_alu instid0(VALU_DEP_2) | instskip(SKIP_1) | instid1(VALU_DEP_3)
	v_add_co_u32 v9, vcc_lo, v9, v13
	s_wait_alu 0xfffd
	v_add_co_ci_u32_e64 v11, null, 0, v14, vcc_lo
	s_delay_alu instid0(VALU_DEP_2) | instskip(SKIP_1) | instid1(VALU_DEP_2)
	v_add_co_u32 v9, vcc_lo, v9, v15
	s_wait_alu 0xfffd
	v_add_co_ci_u32_e32 v9, vcc_lo, v11, v16, vcc_lo
	s_wait_alu 0xfffd
	v_add_co_ci_u32_e32 v11, vcc_lo, 0, v23, vcc_lo
	s_delay_alu instid0(VALU_DEP_2) | instskip(SKIP_1) | instid1(VALU_DEP_2)
	v_add_co_u32 v9, vcc_lo, v9, v22
	s_wait_alu 0xfffd
	v_add_co_ci_u32_e64 v11, null, 0, v11, vcc_lo
	s_delay_alu instid0(VALU_DEP_2) | instskip(SKIP_1) | instid1(VALU_DEP_3)
	v_mul_lo_u32 v15, s41, v9
	v_mad_co_u64_u32 v[13:14], null, s40, v9, 0
	v_mul_lo_u32 v16, s40, v11
	s_delay_alu instid0(VALU_DEP_2) | instskip(NEXT) | instid1(VALU_DEP_2)
	v_sub_co_u32 v5, vcc_lo, v5, v13
	v_add3_u32 v14, v14, v16, v15
	s_delay_alu instid0(VALU_DEP_1) | instskip(SKIP_2) | instid1(VALU_DEP_2)
	v_sub_nc_u32_e32 v15, v7, v14
	s_wait_alu 0xfffd
	v_sub_co_ci_u32_e64 v7, null, v7, v14, vcc_lo
	v_subrev_co_ci_u32_e64 v13, null, s41, v15, vcc_lo
	v_add_co_u32 v15, s2, v9, 2
	s_wait_alu 0xf1ff
	v_add_co_ci_u32_e64 v16, null, 0, v11, s2
	v_sub_co_u32 v17, s2, v5, s40
	s_wait_alu 0xf1ff
	v_subrev_co_ci_u32_e64 v13, null, 0, v13, s2
	s_delay_alu instid0(VALU_DEP_2) | instskip(SKIP_2) | instid1(VALU_DEP_3)
	v_cmp_le_u32_e32 vcc_lo, s40, v17
	s_wait_alu 0xfffd
	v_cndmask_b32_e64 v14, 0, -1, vcc_lo
	v_cmp_le_u32_e32 vcc_lo, s41, v13
	s_wait_alu 0xfffd
	v_cndmask_b32_e64 v17, 0, -1, vcc_lo
	v_cmp_le_u32_e32 vcc_lo, s40, v5
	s_wait_alu 0xfffd
	v_cndmask_b32_e64 v5, 0, -1, vcc_lo
	v_cmp_le_u32_e32 vcc_lo, s41, v7
	s_wait_alu 0xfffd
	v_cndmask_b32_e64 v22, 0, -1, vcc_lo
	v_cmp_eq_u32_e32 vcc_lo, s41, v13
	s_wait_alu 0xfffd
	v_cndmask_b32_e32 v13, v17, v14, vcc_lo
	v_add_co_u32 v14, vcc_lo, v9, 1
	s_wait_alu 0xfffd
	v_add_co_ci_u32_e64 v17, null, 0, v11, vcc_lo
	v_cmp_eq_u32_e32 vcc_lo, s41, v7
	s_wait_alu 0xfffd
	v_cndmask_b32_e32 v5, v22, v5, vcc_lo
	v_cmp_ne_u32_e32 vcc_lo, 0, v13
	s_delay_alu instid0(VALU_DEP_2) | instskip(SKIP_4) | instid1(VALU_DEP_2)
	v_cmp_ne_u32_e64 s2, 0, v5
	s_wait_alu 0xfffd
	v_cndmask_b32_e32 v5, v14, v15, vcc_lo
	v_cndmask_b32_e32 v7, v17, v16, vcc_lo
	s_wait_alu 0xf1ff
	v_cndmask_b32_e64 v5, v9, v5, s2
	s_delay_alu instid0(VALU_DEP_2) | instskip(NEXT) | instid1(VALU_DEP_2)
	v_cndmask_b32_e64 v7, v11, v7, s2
	v_xor_b32_e32 v5, v5, v3
	s_delay_alu instid0(VALU_DEP_2) | instskip(NEXT) | instid1(VALU_DEP_2)
	v_xor_b32_e32 v7, v7, v3
	v_sub_co_u32 v14, vcc_lo, v5, v3
	s_wait_alu 0xfffd
	s_delay_alu instid0(VALU_DEP_2)
	v_sub_co_ci_u32_e64 v15, null, v7, v3, vcc_lo
.LBB9_30:                               ;   in Loop: Header=BB9_20 Depth=2
	s_wait_alu 0xfffe
	s_and_not1_saveexec_b32 s2, s42
	s_cbranch_execz .LBB9_32
; %bb.31:                               ;   in Loop: Header=BB9_20 Depth=2
	v_cvt_f32_u32_e32 v3, s36
	s_sub_co_i32 s37, 0, s36
	v_mov_b32_e32 v15, v2
	s_delay_alu instid0(VALU_DEP_2) | instskip(NEXT) | instid1(TRANS32_DEP_1)
	v_rcp_iflag_f32_e32 v3, v3
	v_mul_f32_e32 v3, 0x4f7ffffe, v3
	s_delay_alu instid0(VALU_DEP_1) | instskip(SKIP_1) | instid1(VALU_DEP_1)
	v_cvt_u32_f32_e32 v3, v3
	s_wait_alu 0xfffe
	v_mul_lo_u32 v5, s37, v3
	s_delay_alu instid0(VALU_DEP_1) | instskip(NEXT) | instid1(VALU_DEP_1)
	v_mul_hi_u32 v5, v3, v5
	v_add_nc_u32_e32 v3, v3, v5
	s_delay_alu instid0(VALU_DEP_1) | instskip(NEXT) | instid1(VALU_DEP_1)
	v_mul_hi_u32 v3, v12, v3
	v_mul_lo_u32 v5, v3, s36
	v_add_nc_u32_e32 v7, 1, v3
	s_delay_alu instid0(VALU_DEP_2) | instskip(NEXT) | instid1(VALU_DEP_1)
	v_sub_nc_u32_e32 v5, v12, v5
	v_cmp_le_u32_e32 vcc_lo, s36, v5
	v_subrev_nc_u32_e32 v9, s36, v5
	s_wait_alu 0xfffd
	v_cndmask_b32_e32 v3, v3, v7, vcc_lo
	s_delay_alu instid0(VALU_DEP_1) | instskip(NEXT) | instid1(VALU_DEP_3)
	v_add_nc_u32_e32 v7, 1, v3
	v_cndmask_b32_e32 v5, v5, v9, vcc_lo
	s_delay_alu instid0(VALU_DEP_1) | instskip(SKIP_1) | instid1(VALU_DEP_3)
	v_cmp_le_u32_e32 vcc_lo, s36, v5
	s_wait_alu 0xfffd
	v_cndmask_b32_e32 v14, v3, v7, vcc_lo
.LBB9_32:                               ;   in Loop: Header=BB9_20 Depth=2
	s_wait_alu 0xfffe
	s_or_b32 exec_lo, exec_lo, s2
	s_add_co_i32 s38, s22, -3
	s_mov_b32 s39, s23
	s_add_nc_u64 s[46:47], s[0:1], s[46:47]
	s_wait_alu 0xfffe
	s_lshl_b64 s[42:43], s[38:39], 2
                                        ; implicit-def: $vgpr16_vgpr17
	s_mov_b32 s2, exec_lo
	s_wait_alu 0xfffe
	s_add_nc_u64 s[40:41], s[12:13], s[42:43]
	s_clause 0x2
	s_load_b32 s38, s[40:41], 0x8
	s_load_b32 s37, s[44:45], 0x6c
	;; [unrolled: 1-line block ×3, first 2 shown]
	s_wait_kmcnt 0x0
	s_ashr_i32 s39, s38, 31
	s_wait_alu 0xfffe
	v_or_b32_e32 v3, s39, v15
	s_delay_alu instid0(VALU_DEP_1)
	v_cmpx_ne_u64_e32 0, v[2:3]
	s_xor_b32 s54, exec_lo, s2
	s_cbranch_execz .LBB9_34
; %bb.33:                               ;   in Loop: Header=BB9_20 Depth=2
	s_ashr_i32 s44, s39, 31
	s_mov_b32 s61, s23
	s_wait_alu 0xfffe
	s_mov_b32 s45, s44
	s_mov_b32 s65, s23
	s_wait_alu 0xfffe
	s_add_nc_u64 s[46:47], s[38:39], s[44:45]
	v_ashrrev_i32_e32 v3, 31, v15
	s_wait_alu 0xfffe
	s_xor_b64 s[46:47], s[46:47], s[44:45]
	s_wait_alu 0xfffe
	s_cvt_f32_u32 s2, s46
	s_cvt_f32_u32 s39, s47
	s_sub_nc_u64 s[58:59], 0, s[46:47]
	v_add_co_u32 v5, vcc_lo, v14, v3
	s_wait_alu 0xfffe
	s_fmamk_f32 s2, s39, 0x4f800000, s2
	s_wait_alu 0xfffd
	v_add_co_ci_u32_e64 v7, null, v15, v3, vcc_lo
	v_xor_b32_e32 v5, v5, v3
	s_wait_alu 0xfffe
	v_s_rcp_f32 s2, s2
	s_delay_alu instid0(VALU_DEP_2) | instskip(SKIP_1) | instid1(TRANS32_DEP_1)
	v_xor_b32_e32 v7, v7, v3
	v_xor_b32_e32 v3, s44, v3
	s_mul_f32 s2, s2, 0x5f7ffffc
	s_wait_alu 0xfffe
	s_delay_alu instid0(SALU_CYCLE_2) | instskip(SKIP_1) | instid1(SALU_CYCLE_2)
	s_mul_f32 s39, s2, 0x2f800000
	s_wait_alu 0xfffe
	s_trunc_f32 s39, s39
	s_wait_alu 0xfffe
	s_delay_alu instid0(SALU_CYCLE_2) | instskip(SKIP_2) | instid1(SALU_CYCLE_1)
	s_fmamk_f32 s2, s39, 0xcf800000, s2
	s_cvt_u32_f32 s57, s39
	s_wait_alu 0xfffe
	s_cvt_u32_f32 s56, s2
	s_delay_alu instid0(SALU_CYCLE_3) | instskip(NEXT) | instid1(SALU_CYCLE_1)
	s_mul_u64 s[62:63], s[58:59], s[56:57]
	s_mul_hi_u32 s67, s56, s63
	s_mul_i32 s66, s56, s63
	s_mul_hi_u32 s60, s56, s62
	s_mul_i32 s39, s57, s62
	s_add_nc_u64 s[60:61], s[60:61], s[66:67]
	s_mul_hi_u32 s2, s57, s62
	s_mul_hi_u32 s45, s57, s63
	s_wait_alu 0xfffe
	s_add_co_u32 s39, s60, s39
	s_add_co_ci_u32 s64, s61, s2
	s_mul_i32 s62, s57, s63
	s_add_co_ci_u32 s63, s45, 0
	s_delay_alu instid0(SALU_CYCLE_1)
	s_add_nc_u64 s[60:61], s[64:65], s[62:63]
	s_mov_b32 s63, s23
	s_add_co_u32 s56, s56, s60
	s_cselect_b32 s2, -1, 0
	s_wait_alu 0xfffe
	s_cmp_lg_u32 s2, 0
	s_add_co_ci_u32 s57, s57, s61
	s_mov_b32 s61, s23
	s_mul_u64 s[58:59], s[58:59], s[56:57]
	s_delay_alu instid0(SALU_CYCLE_1)
	s_mul_hi_u32 s65, s56, s59
	s_mul_i32 s64, s56, s59
	s_mul_hi_u32 s62, s56, s58
	s_mul_i32 s39, s57, s58
	s_add_nc_u64 s[62:63], s[62:63], s[64:65]
	s_mul_hi_u32 s2, s57, s58
	s_mul_hi_u32 s45, s57, s59
	s_wait_alu 0xfffe
	s_add_co_u32 s39, s62, s39
	s_add_co_ci_u32 s60, s63, s2
	s_mul_i32 s58, s57, s59
	s_add_co_ci_u32 s59, s45, 0
	s_delay_alu instid0(SALU_CYCLE_1) | instskip(NEXT) | instid1(SALU_CYCLE_1)
	s_add_nc_u64 s[58:59], s[60:61], s[58:59]
	s_add_co_u32 s2, s56, s58
	s_cselect_b32 s39, -1, 0
	s_wait_alu 0xfffe
	v_mul_hi_u32 v9, v5, s2
	s_cmp_lg_u32 s39, 0
	v_mad_co_u64_u32 v[22:23], null, v7, s2, 0
	s_add_co_ci_u32 s39, s57, s59
	s_wait_alu 0xfffe
	v_mad_co_u64_u32 v[15:16], null, v5, s39, 0
	v_mad_co_u64_u32 v[24:25], null, v7, s39, 0
	s_delay_alu instid0(VALU_DEP_2) | instskip(SKIP_1) | instid1(VALU_DEP_3)
	v_add_co_u32 v9, vcc_lo, v9, v15
	s_wait_alu 0xfffd
	v_add_co_ci_u32_e64 v11, null, 0, v16, vcc_lo
	s_delay_alu instid0(VALU_DEP_2) | instskip(SKIP_1) | instid1(VALU_DEP_2)
	v_add_co_u32 v9, vcc_lo, v9, v22
	s_wait_alu 0xfffd
	v_add_co_ci_u32_e32 v9, vcc_lo, v11, v23, vcc_lo
	s_wait_alu 0xfffd
	v_add_co_ci_u32_e32 v11, vcc_lo, 0, v25, vcc_lo
	s_delay_alu instid0(VALU_DEP_2) | instskip(SKIP_1) | instid1(VALU_DEP_2)
	v_add_co_u32 v9, vcc_lo, v9, v24
	s_wait_alu 0xfffd
	v_add_co_ci_u32_e64 v11, null, 0, v11, vcc_lo
	s_delay_alu instid0(VALU_DEP_2) | instskip(SKIP_1) | instid1(VALU_DEP_3)
	v_mul_lo_u32 v13, s47, v9
	v_mad_co_u64_u32 v[15:16], null, s46, v9, 0
	v_mul_lo_u32 v17, s46, v11
	s_delay_alu instid0(VALU_DEP_2) | instskip(NEXT) | instid1(VALU_DEP_2)
	v_sub_co_u32 v5, vcc_lo, v5, v15
	v_add3_u32 v13, v16, v17, v13
	s_delay_alu instid0(VALU_DEP_1) | instskip(SKIP_2) | instid1(VALU_DEP_2)
	v_sub_nc_u32_e32 v16, v7, v13
	s_wait_alu 0xfffd
	v_sub_co_ci_u32_e64 v7, null, v7, v13, vcc_lo
	v_subrev_co_ci_u32_e64 v15, null, s47, v16, vcc_lo
	v_add_co_u32 v16, s2, v9, 2
	s_wait_alu 0xf1ff
	v_add_co_ci_u32_e64 v17, null, 0, v11, s2
	v_sub_co_u32 v22, s2, v5, s46
	s_wait_alu 0xf1ff
	v_subrev_co_ci_u32_e64 v15, null, 0, v15, s2
	s_delay_alu instid0(VALU_DEP_2) | instskip(SKIP_2) | instid1(VALU_DEP_3)
	v_cmp_le_u32_e32 vcc_lo, s46, v22
	s_wait_alu 0xfffd
	v_cndmask_b32_e64 v13, 0, -1, vcc_lo
	v_cmp_le_u32_e32 vcc_lo, s47, v15
	s_wait_alu 0xfffd
	v_cndmask_b32_e64 v22, 0, -1, vcc_lo
	v_cmp_le_u32_e32 vcc_lo, s46, v5
	s_wait_alu 0xfffd
	v_cndmask_b32_e64 v5, 0, -1, vcc_lo
	v_cmp_le_u32_e32 vcc_lo, s47, v7
	s_wait_alu 0xfffd
	v_cndmask_b32_e64 v23, 0, -1, vcc_lo
	v_cmp_eq_u32_e32 vcc_lo, s47, v15
	s_wait_alu 0xfffd
	v_cndmask_b32_e32 v13, v22, v13, vcc_lo
	v_add_co_u32 v15, vcc_lo, v9, 1
	s_wait_alu 0xfffd
	v_add_co_ci_u32_e64 v22, null, 0, v11, vcc_lo
	v_cmp_eq_u32_e32 vcc_lo, s47, v7
	s_wait_alu 0xfffd
	v_cndmask_b32_e32 v5, v23, v5, vcc_lo
	v_cmp_ne_u32_e32 vcc_lo, 0, v13
	s_delay_alu instid0(VALU_DEP_2) | instskip(SKIP_4) | instid1(VALU_DEP_2)
	v_cmp_ne_u32_e64 s2, 0, v5
	s_wait_alu 0xfffd
	v_cndmask_b32_e32 v5, v15, v16, vcc_lo
	v_cndmask_b32_e32 v7, v22, v17, vcc_lo
	s_wait_alu 0xf1ff
	v_cndmask_b32_e64 v5, v9, v5, s2
	s_delay_alu instid0(VALU_DEP_2) | instskip(NEXT) | instid1(VALU_DEP_2)
	v_cndmask_b32_e64 v7, v11, v7, s2
	v_xor_b32_e32 v5, v5, v3
	s_delay_alu instid0(VALU_DEP_2) | instskip(NEXT) | instid1(VALU_DEP_2)
	v_xor_b32_e32 v7, v7, v3
	v_sub_co_u32 v16, vcc_lo, v5, v3
	s_wait_alu 0xfffd
	s_delay_alu instid0(VALU_DEP_2)
	v_sub_co_ci_u32_e64 v17, null, v7, v3, vcc_lo
.LBB9_34:                               ;   in Loop: Header=BB9_20 Depth=2
	s_and_not1_saveexec_b32 s2, s54
	s_cbranch_execz .LBB9_36
; %bb.35:                               ;   in Loop: Header=BB9_20 Depth=2
	v_cvt_f32_u32_e32 v3, s38
	s_sub_co_i32 s39, 0, s38
	v_mov_b32_e32 v17, v2
	s_delay_alu instid0(VALU_DEP_2) | instskip(NEXT) | instid1(TRANS32_DEP_1)
	v_rcp_iflag_f32_e32 v3, v3
	v_mul_f32_e32 v3, 0x4f7ffffe, v3
	s_delay_alu instid0(VALU_DEP_1) | instskip(SKIP_1) | instid1(VALU_DEP_1)
	v_cvt_u32_f32_e32 v3, v3
	s_wait_alu 0xfffe
	v_mul_lo_u32 v5, s39, v3
	s_delay_alu instid0(VALU_DEP_1) | instskip(NEXT) | instid1(VALU_DEP_1)
	v_mul_hi_u32 v5, v3, v5
	v_add_nc_u32_e32 v3, v3, v5
	s_delay_alu instid0(VALU_DEP_1) | instskip(NEXT) | instid1(VALU_DEP_1)
	v_mul_hi_u32 v3, v14, v3
	v_mul_lo_u32 v5, v3, s38
	v_add_nc_u32_e32 v7, 1, v3
	s_delay_alu instid0(VALU_DEP_2) | instskip(NEXT) | instid1(VALU_DEP_1)
	v_sub_nc_u32_e32 v5, v14, v5
	v_cmp_le_u32_e32 vcc_lo, s38, v5
	v_subrev_nc_u32_e32 v9, s38, v5
	s_wait_alu 0xfffd
	v_cndmask_b32_e32 v3, v3, v7, vcc_lo
	s_delay_alu instid0(VALU_DEP_1) | instskip(NEXT) | instid1(VALU_DEP_3)
	v_add_nc_u32_e32 v7, 1, v3
	v_cndmask_b32_e32 v5, v5, v9, vcc_lo
	s_delay_alu instid0(VALU_DEP_1) | instskip(SKIP_1) | instid1(VALU_DEP_3)
	v_cmp_le_u32_e32 vcc_lo, s38, v5
	s_wait_alu 0xfffd
	v_cndmask_b32_e32 v16, v3, v7, vcc_lo
.LBB9_36:                               ;   in Loop: Header=BB9_20 Depth=2
	s_wait_alu 0xfffe
	s_or_b32 exec_lo, exec_lo, s2
	s_add_nc_u64 s[42:43], s[0:1], s[42:43]
	v_mul_lo_u32 v3, v10, s30
	s_clause 0x1
	s_load_b32 s2, s[40:41], 0x6c
	s_load_b32 s30, s[42:43], 0x6c
	v_mul_lo_u32 v5, v12, s34
	v_mul_lo_u32 v7, v14, s36
	;; [unrolled: 1-line block ×3, first 2 shown]
	s_add_co_i32 s22, s22, -4
	s_wait_alu 0xfffe
	s_cmp_eq_u32 s22, -1
	v_sub_nc_u32_e32 v3, v8, v3
	s_delay_alu instid0(VALU_DEP_4) | instskip(NEXT) | instid1(VALU_DEP_4)
	v_sub_nc_u32_e32 v5, v10, v5
	v_sub_nc_u32_e32 v7, v12, v7
	s_delay_alu instid0(VALU_DEP_4) | instskip(NEXT) | instid1(VALU_DEP_4)
	v_sub_nc_u32_e32 v8, v14, v9
	v_mul_lo_u32 v9, s19, v3
	v_mul_lo_u32 v3, s29, v3
	;; [unrolled: 1-line block ×6, first 2 shown]
	s_wait_kmcnt 0x0
	v_mul_lo_u32 v12, s2, v8
	v_mul_lo_u32 v8, s30, v8
	v_add3_u32 v6, v9, v6, v10
	v_add3_u32 v3, v3, v4, v5
	s_delay_alu instid0(VALU_DEP_2) | instskip(NEXT) | instid1(VALU_DEP_2)
	v_add3_u32 v6, v11, v6, v12
	v_add3_u32 v4, v7, v3, v8
	s_cbranch_scc1 .LBB9_38
; %bb.37:                               ;   in Loop: Header=BB9_20 Depth=2
	v_dual_mov_b32 v8, v16 :: v_dual_mov_b32 v9, v17
	s_branch .LBB9_20
.LBB9_38:                               ;   in Loop: Header=BB9_3 Depth=1
	v_sub_nc_u32_e32 v8, v20, v21
	v_dual_mov_b32 v7, 0 :: v_dual_mov_b32 v10, 0
	s_mov_b32 s2, exec_lo
	s_delay_alu instid0(VALU_DEP_2) | instskip(NEXT) | instid1(VALU_DEP_1)
	v_ashrrev_i32_e32 v9, 31, v8
	v_cmpx_ge_i64_e64 s[4:5], v[8:9]
	s_cbranch_execz .LBB9_44
; %bb.39:                               ;   in Loop: Header=BB9_3 Depth=1
	v_mov_b32_e32 v3, 0
	v_mov_b32_e32 v7, 0
	s_mov_b32 s19, exec_lo
	v_cmpx_gt_i32_e64 s3, v20
	s_cbranch_execz .LBB9_43
; %bb.40:                               ;   in Loop: Header=BB9_3 Depth=1
	v_ashrrev_i32_e32 v7, 31, v6
	s_delay_alu instid0(VALU_DEP_1) | instskip(SKIP_1) | instid1(VALU_DEP_2)
	v_lshlrev_b64_e32 v[5:6], 2, v[6:7]
	v_add_nc_u32_e32 v7, 1, v20
	v_add_co_u32 v5, vcc_lo, s10, v5
	s_wait_alu 0xfffd
	s_delay_alu instid0(VALU_DEP_3) | instskip(NEXT) | instid1(VALU_DEP_3)
	v_add_co_ci_u32_e64 v6, null, s11, v6, vcc_lo
	v_cmp_gt_i32_e32 vcc_lo, s3, v7
	v_mov_b32_e32 v7, 0
	global_load_b32 v3, v[5:6], off
	s_and_saveexec_b32 s22, vcc_lo
	s_wait_alu 0xfffe
	s_xor_b32 s22, exec_lo, s22
	s_cbranch_execz .LBB9_42
; %bb.41:                               ;   in Loop: Header=BB9_3 Depth=1
	s_lshl_b64 s[30:31], s[24:25], 2
	s_wait_alu 0xfffe
	v_add_co_u32 v5, vcc_lo, v5, s30
	s_wait_alu 0xfffd
	v_add_co_ci_u32_e64 v6, null, s31, v6, vcc_lo
	global_load_b32 v7, v[5:6], off
.LBB9_42:                               ;   in Loop: Header=BB9_3 Depth=1
	s_wait_alu 0xfffe
	s_or_b32 exec_lo, exec_lo, s22
.LBB9_43:                               ;   in Loop: Header=BB9_3 Depth=1
	s_wait_alu 0xfffe
	s_or_b32 exec_lo, exec_lo, s19
	v_cmp_ge_i64_e32 vcc_lo, s[4:5], v[8:9]
	s_wait_loadcnt 0x0
	s_wait_alu 0xfffd
	v_dual_cndmask_b32 v10, 0, v3 :: v_dual_add_nc_u32 v5, 1, v8
	s_delay_alu instid0(VALU_DEP_1) | instskip(NEXT) | instid1(VALU_DEP_1)
	v_ashrrev_i32_e32 v6, 31, v5
	v_cmp_ge_i64_e32 vcc_lo, s[4:5], v[5:6]
	s_wait_alu 0xfffd
	v_cndmask_b32_e32 v7, 0, v7, vcc_lo
.LBB9_44:                               ;   in Loop: Header=BB9_3 Depth=1
	s_wait_alu 0xfffe
	s_or_b32 exec_lo, exec_lo, s2
	s_delay_alu instid0(SALU_CYCLE_1)
	s_mov_b32 s2, exec_lo
	v_cmpx_gt_i32_e64 s3, v20
	s_cbranch_execz .LBB9_2
; %bb.45:                               ;   in Loop: Header=BB9_3 Depth=1
	v_ashrrev_i32_e32 v5, 31, v4
	s_mov_b32 s19, exec_lo
	s_delay_alu instid0(VALU_DEP_1) | instskip(SKIP_1) | instid1(VALU_DEP_2)
	v_lshlrev_b64_e32 v[3:4], 2, v[4:5]
	v_add_nc_u32_e32 v5, 1, v20
	v_add_co_u32 v3, vcc_lo, s14, v3
	s_wait_alu 0xfffd
	s_delay_alu instid0(VALU_DEP_3)
	v_add_co_ci_u32_e64 v4, null, s15, v4, vcc_lo
	global_store_b32 v[3:4], v10, off
	v_cmpx_gt_i32_e64 s3, v5
	s_wait_alu 0xfffe
	s_xor_b32 s19, exec_lo, s19
	s_cbranch_execz .LBB9_2
; %bb.46:                               ;   in Loop: Header=BB9_3 Depth=1
	s_lshl_b64 s[30:31], s[26:27], 2
	s_wait_alu 0xfffe
	v_add_co_u32 v3, vcc_lo, v3, s30
	s_wait_alu 0xfffd
	v_add_co_ci_u32_e64 v4, null, s31, v4, vcc_lo
	global_store_b32 v[3:4], v7, off
	s_branch .LBB9_2
.LBB9_47:
	s_endpgm
	.section	.rodata,"a",@progbits
	.p2align	6, 0x0
	.amdhsa_kernel _ZN2at6native16triu_tril_kernelIiiLb0ELi2ELb0EEEvNS_4cuda6detail10TensorInfoIT_T0_EENS4_IKS5_S6_EEllS6_
		.amdhsa_group_segment_fixed_size 0
		.amdhsa_private_segment_fixed_size 0
		.amdhsa_kernarg_size 712
		.amdhsa_user_sgpr_count 2
		.amdhsa_user_sgpr_dispatch_ptr 0
		.amdhsa_user_sgpr_queue_ptr 0
		.amdhsa_user_sgpr_kernarg_segment_ptr 1
		.amdhsa_user_sgpr_dispatch_id 0
		.amdhsa_user_sgpr_private_segment_size 0
		.amdhsa_wavefront_size32 1
		.amdhsa_uses_dynamic_stack 0
		.amdhsa_enable_private_segment 0
		.amdhsa_system_sgpr_workgroup_id_x 1
		.amdhsa_system_sgpr_workgroup_id_y 0
		.amdhsa_system_sgpr_workgroup_id_z 0
		.amdhsa_system_sgpr_workgroup_info 0
		.amdhsa_system_vgpr_workitem_id 0
		.amdhsa_next_free_vgpr 26
		.amdhsa_next_free_sgpr 68
		.amdhsa_reserve_vcc 1
		.amdhsa_float_round_mode_32 0
		.amdhsa_float_round_mode_16_64 0
		.amdhsa_float_denorm_mode_32 3
		.amdhsa_float_denorm_mode_16_64 3
		.amdhsa_fp16_overflow 0
		.amdhsa_workgroup_processor_mode 1
		.amdhsa_memory_ordered 1
		.amdhsa_forward_progress 1
		.amdhsa_inst_pref_size 65
		.amdhsa_round_robin_scheduling 0
		.amdhsa_exception_fp_ieee_invalid_op 0
		.amdhsa_exception_fp_denorm_src 0
		.amdhsa_exception_fp_ieee_div_zero 0
		.amdhsa_exception_fp_ieee_overflow 0
		.amdhsa_exception_fp_ieee_underflow 0
		.amdhsa_exception_fp_ieee_inexact 0
		.amdhsa_exception_int_div_zero 0
	.end_amdhsa_kernel
	.section	.text._ZN2at6native16triu_tril_kernelIiiLb0ELi2ELb0EEEvNS_4cuda6detail10TensorInfoIT_T0_EENS4_IKS5_S6_EEllS6_,"axG",@progbits,_ZN2at6native16triu_tril_kernelIiiLb0ELi2ELb0EEEvNS_4cuda6detail10TensorInfoIT_T0_EENS4_IKS5_S6_EEllS6_,comdat
.Lfunc_end9:
	.size	_ZN2at6native16triu_tril_kernelIiiLb0ELi2ELb0EEEvNS_4cuda6detail10TensorInfoIT_T0_EENS4_IKS5_S6_EEllS6_, .Lfunc_end9-_ZN2at6native16triu_tril_kernelIiiLb0ELi2ELb0EEEvNS_4cuda6detail10TensorInfoIT_T0_EENS4_IKS5_S6_EEllS6_
                                        ; -- End function
	.set _ZN2at6native16triu_tril_kernelIiiLb0ELi2ELb0EEEvNS_4cuda6detail10TensorInfoIT_T0_EENS4_IKS5_S6_EEllS6_.num_vgpr, 26
	.set _ZN2at6native16triu_tril_kernelIiiLb0ELi2ELb0EEEvNS_4cuda6detail10TensorInfoIT_T0_EENS4_IKS5_S6_EEllS6_.num_agpr, 0
	.set _ZN2at6native16triu_tril_kernelIiiLb0ELi2ELb0EEEvNS_4cuda6detail10TensorInfoIT_T0_EENS4_IKS5_S6_EEllS6_.numbered_sgpr, 68
	.set _ZN2at6native16triu_tril_kernelIiiLb0ELi2ELb0EEEvNS_4cuda6detail10TensorInfoIT_T0_EENS4_IKS5_S6_EEllS6_.num_named_barrier, 0
	.set _ZN2at6native16triu_tril_kernelIiiLb0ELi2ELb0EEEvNS_4cuda6detail10TensorInfoIT_T0_EENS4_IKS5_S6_EEllS6_.private_seg_size, 0
	.set _ZN2at6native16triu_tril_kernelIiiLb0ELi2ELb0EEEvNS_4cuda6detail10TensorInfoIT_T0_EENS4_IKS5_S6_EEllS6_.uses_vcc, 1
	.set _ZN2at6native16triu_tril_kernelIiiLb0ELi2ELb0EEEvNS_4cuda6detail10TensorInfoIT_T0_EENS4_IKS5_S6_EEllS6_.uses_flat_scratch, 0
	.set _ZN2at6native16triu_tril_kernelIiiLb0ELi2ELb0EEEvNS_4cuda6detail10TensorInfoIT_T0_EENS4_IKS5_S6_EEllS6_.has_dyn_sized_stack, 0
	.set _ZN2at6native16triu_tril_kernelIiiLb0ELi2ELb0EEEvNS_4cuda6detail10TensorInfoIT_T0_EENS4_IKS5_S6_EEllS6_.has_recursion, 0
	.set _ZN2at6native16triu_tril_kernelIiiLb0ELi2ELb0EEEvNS_4cuda6detail10TensorInfoIT_T0_EENS4_IKS5_S6_EEllS6_.has_indirect_call, 0
	.section	.AMDGPU.csdata,"",@progbits
; Kernel info:
; codeLenInByte = 8256
; TotalNumSgprs: 70
; NumVgprs: 26
; ScratchSize: 0
; MemoryBound: 0
; FloatMode: 240
; IeeeMode: 1
; LDSByteSize: 0 bytes/workgroup (compile time only)
; SGPRBlocks: 0
; VGPRBlocks: 3
; NumSGPRsForWavesPerEU: 70
; NumVGPRsForWavesPerEU: 26
; Occupancy: 16
; WaveLimiterHint : 1
; COMPUTE_PGM_RSRC2:SCRATCH_EN: 0
; COMPUTE_PGM_RSRC2:USER_SGPR: 2
; COMPUTE_PGM_RSRC2:TRAP_HANDLER: 0
; COMPUTE_PGM_RSRC2:TGID_X_EN: 1
; COMPUTE_PGM_RSRC2:TGID_Y_EN: 0
; COMPUTE_PGM_RSRC2:TGID_Z_EN: 0
; COMPUTE_PGM_RSRC2:TIDIG_COMP_CNT: 0
	.section	.text._ZN2at6native16triu_tril_kernelIilLb0ELi2ELb1EEEvNS_4cuda6detail10TensorInfoIT_T0_EENS4_IKS5_S6_EEllS6_,"axG",@progbits,_ZN2at6native16triu_tril_kernelIilLb0ELi2ELb1EEEvNS_4cuda6detail10TensorInfoIT_T0_EENS4_IKS5_S6_EEllS6_,comdat
	.protected	_ZN2at6native16triu_tril_kernelIilLb0ELi2ELb1EEEvNS_4cuda6detail10TensorInfoIT_T0_EENS4_IKS5_S6_EEllS6_ ; -- Begin function _ZN2at6native16triu_tril_kernelIilLb0ELi2ELb1EEEvNS_4cuda6detail10TensorInfoIT_T0_EENS4_IKS5_S6_EEllS6_
	.globl	_ZN2at6native16triu_tril_kernelIilLb0ELi2ELb1EEEvNS_4cuda6detail10TensorInfoIT_T0_EENS4_IKS5_S6_EEllS6_
	.p2align	8
	.type	_ZN2at6native16triu_tril_kernelIilLb0ELi2ELb1EEEvNS_4cuda6detail10TensorInfoIT_T0_EENS4_IKS5_S6_EEllS6_,@function
_ZN2at6native16triu_tril_kernelIilLb0ELi2ELb1EEEvNS_4cuda6detail10TensorInfoIT_T0_EENS4_IKS5_S6_EEllS6_: ; @_ZN2at6native16triu_tril_kernelIilLb0ELi2ELb1EEEvNS_4cuda6detail10TensorInfoIT_T0_EENS4_IKS5_S6_EEllS6_
; %bb.0:
	s_clause 0x1
	s_load_b32 s2, s[0:1], 0x364
	s_load_b128 s[4:7], s[0:1], 0x340
	v_mov_b32_e32 v2, 0
	s_mov_b32 s3, exec_lo
	s_delay_alu instid0(VALU_DEP_1)
	v_mov_b32_e32 v1, v2
	s_wait_kmcnt 0x0
	s_and_b32 s2, s2, 0xffff
	s_delay_alu instid0(VALU_DEP_1) | instid1(SALU_CYCLE_1)
	v_mad_co_u64_u32 v[0:1], null, s2, ttmp9, v[0:1]
	s_delay_alu instid0(VALU_DEP_1) | instskip(NEXT) | instid1(VALU_DEP_1)
	v_lshlrev_b64_e32 v[0:1], 1, v[0:1]
	v_cmpx_gt_i64_e64 s[6:7], v[0:1]
	s_cbranch_execz .LBB10_43
; %bb.1:
	s_load_b32 s22, s[0:1], 0x338
	s_add_nc_u64 s[12:13], s[0:1], 0x358
	s_clause 0x1
	s_load_b64 s[8:9], s[0:1], 0x350
	s_load_b64 s[10:11], s[0:1], 0x0
	s_add_nc_u64 s[28:29], s[0:1], 0x1a0
	s_load_b32 s3, s[12:13], 0x0
	s_movk_i32 s18, 0xffe0
	s_add_nc_u64 s[16:17], s[0:1], 0xb8
	s_mov_b32 s19, -1
	s_add_nc_u64 s[34:35], s[0:1], 0x190
	s_mov_b32 s65, 0
	s_wait_kmcnt 0x0
	s_add_co_i32 s14, s22, -2
	v_cvt_f32_u32_e32 v3, s8
	s_ashr_i32 s15, s14, 31
	s_add_co_i32 s20, s22, -3
	s_lshl_b64 s[12:13], s[14:15], 3
	s_ashr_i32 s23, s22, 31
	s_add_nc_u64 s[12:13], s[28:29], s[12:13]
	v_rcp_iflag_f32_e32 v3, v3
	s_load_b64 s[12:13], s[12:13], 0x8
	s_mul_i32 s24, s3, s2
	s_and_b32 s25, s20, 3
	s_lshl_b64 s[2:3], s[22:23], 3
	s_ashr_i32 s21, s20, 31
	s_and_b32 s14, s14, 3
	s_lshl_b32 s62, s24, 1
	s_cmp_lg_u32 s25, 3
	v_cmp_gt_i64_e64 s33, s[22:23], 2
	s_cselect_b32 s63, -1, 0
	s_cmp_gt_u32 s20, 2
	s_wait_alu 0xfffe
	s_add_nc_u64 s[22:23], s[0:1], s[2:3]
	s_add_nc_u64 s[24:25], s[28:29], s[2:3]
	s_cselect_b32 s64, -1, 0
	s_lshl_b64 s[2:3], s[20:21], 3
	s_mov_b32 s15, 0
	s_wait_alu 0xfffe
	s_add_nc_u64 s[30:31], s[0:1], s[2:3]
	s_add_nc_u64 s[2:3], s[28:29], s[2:3]
	s_mov_b64 s[26:27], s[14:15]
	s_add_nc_u64 s[28:29], s[30:31], 0xd0
	s_wait_kmcnt 0x0
	v_cvt_f32_u32_e32 v4, s12
	s_wait_alu 0xfffe
	s_add_nc_u64 s[30:31], s[2:3], 8
	s_ashr_i32 s36, s9, 31
	s_delay_alu instid0(VALU_DEP_1) | instskip(NEXT) | instid1(TRANS32_DEP_1)
	v_rcp_iflag_f32_e32 v4, v4
	v_dual_mul_f32 v3, 0x4f7ffffe, v3 :: v_dual_mul_f32 v4, 0x4f7ffffe, v4
	s_delay_alu instid0(VALU_DEP_1) | instskip(NEXT) | instid1(VALU_DEP_2)
	v_cvt_u32_f32_e32 v20, v3
	v_cvt_u32_f32_e32 v21, v4
	s_branch .LBB10_3
.LBB10_2:                               ;   in Loop: Header=BB10_3 Depth=1
	s_wait_alu 0xfffe
	s_or_b32 exec_lo, exec_lo, s37
	v_add_co_u32 v0, vcc_lo, v0, s62
	s_wait_alu 0xfffd
	v_add_co_ci_u32_e64 v1, null, 0, v1, vcc_lo
	s_delay_alu instid0(VALU_DEP_1) | instskip(SKIP_1) | instid1(SALU_CYCLE_1)
	v_cmp_le_i64_e32 vcc_lo, s[6:7], v[0:1]
	s_or_b32 s65, vcc_lo, s65
	s_and_not1_b32 exec_lo, exec_lo, s65
	s_cbranch_execz .LBB10_43
.LBB10_3:                               ; =>This Loop Header: Depth=1
                                        ;     Child Loop BB10_17 Depth 2
                                        ;     Child Loop BB10_22 Depth 2
	v_or_b32_e32 v3, s9, v1
                                        ; implicit-def: $vgpr6_vgpr7
	s_mov_b32 s0, exec_lo
	s_delay_alu instid0(VALU_DEP_1)
	v_cmpx_ne_u64_e32 0, v[2:3]
	s_wait_alu 0xfffe
	s_xor_b32 s1, exec_lo, s0
	s_cbranch_execz .LBB10_5
; %bb.4:                                ;   in Loop: Header=BB10_3 Depth=1
	s_mov_b32 s37, s36
	v_ashrrev_i32_e32 v9, 31, v1
	s_wait_alu 0xfffe
	s_add_nc_u64 s[2:3], s[8:9], s[36:37]
	s_wait_alu 0xfffe
	s_xor_b64 s[2:3], s[2:3], s[36:37]
	v_add_co_u32 v3, vcc_lo, v0, v9
	s_wait_alu 0xfffe
	s_cvt_f32_u32 s0, s2
	s_cvt_f32_u32 s14, s3
	s_sub_nc_u64 s[40:41], 0, s[2:3]
	s_wait_alu 0xfffd
	v_add_co_ci_u32_e64 v4, null, v1, v9, vcc_lo
	s_wait_alu 0xfffe
	s_fmamk_f32 s0, s14, 0x4f800000, s0
	v_xor_b32_e32 v10, v3, v9
	s_delay_alu instid0(VALU_DEP_2) | instskip(SKIP_2) | instid1(TRANS32_DEP_1)
	v_xor_b32_e32 v11, v4, v9
	s_wait_alu 0xfffe
	v_s_rcp_f32 s0, s0
	s_mul_f32 s0, s0, 0x5f7ffffc
	s_wait_alu 0xfffe
	s_delay_alu instid0(SALU_CYCLE_2) | instskip(SKIP_1) | instid1(SALU_CYCLE_2)
	s_mul_f32 s14, s0, 0x2f800000
	s_wait_alu 0xfffe
	s_trunc_f32 s14, s14
	s_wait_alu 0xfffe
	s_delay_alu instid0(SALU_CYCLE_2) | instskip(SKIP_2) | instid1(SALU_CYCLE_1)
	s_fmamk_f32 s0, s14, 0xcf800000, s0
	s_cvt_u32_f32 s39, s14
	s_wait_alu 0xfffe
	s_cvt_u32_f32 s38, s0
	s_wait_alu 0xfffe
	s_delay_alu instid0(SALU_CYCLE_2) | instskip(NEXT) | instid1(SALU_CYCLE_1)
	s_mul_u64 s[42:43], s[40:41], s[38:39]
	s_mul_hi_u32 s45, s38, s43
	s_mul_i32 s44, s38, s43
	s_mul_hi_u32 s14, s38, s42
	s_mul_i32 s37, s39, s42
	s_wait_alu 0xfffe
	s_add_nc_u64 s[44:45], s[14:15], s[44:45]
	s_mul_hi_u32 s0, s39, s42
	s_mul_hi_u32 s46, s39, s43
	s_wait_alu 0xfffe
	s_add_co_u32 s14, s44, s37
	s_add_co_ci_u32 s14, s45, s0
	s_mul_i32 s42, s39, s43
	s_add_co_ci_u32 s43, s46, 0
	s_wait_alu 0xfffe
	s_add_nc_u64 s[42:43], s[14:15], s[42:43]
	s_delay_alu instid0(SALU_CYCLE_1)
	s_add_co_u32 s38, s38, s42
	s_cselect_b32 s0, -1, 0
	s_wait_alu 0xfffe
	s_cmp_lg_u32 s0, 0
	s_add_co_ci_u32 s39, s39, s43
	s_wait_alu 0xfffe
	s_mul_u64 s[40:41], s[40:41], s[38:39]
	s_delay_alu instid0(SALU_CYCLE_1)
	s_mul_hi_u32 s43, s38, s41
	s_mul_i32 s42, s38, s41
	s_mul_hi_u32 s14, s38, s40
	s_mul_i32 s37, s39, s40
	s_wait_alu 0xfffe
	s_add_nc_u64 s[42:43], s[14:15], s[42:43]
	s_mul_hi_u32 s0, s39, s40
	s_mul_hi_u32 s44, s39, s41
	s_add_co_u32 s14, s42, s37
	s_wait_alu 0xfffe
	s_add_co_ci_u32 s14, s43, s0
	s_mul_i32 s40, s39, s41
	s_add_co_ci_u32 s41, s44, 0
	s_wait_alu 0xfffe
	s_add_nc_u64 s[40:41], s[14:15], s[40:41]
	s_delay_alu instid0(SALU_CYCLE_1)
	s_add_co_u32 s0, s38, s40
	s_cselect_b32 s14, -1, 0
	s_wait_alu 0xfffe
	v_mul_hi_u32 v12, v10, s0
	s_cmp_lg_u32 s14, 0
	v_mad_co_u64_u32 v[5:6], null, v11, s0, 0
	s_add_co_ci_u32 s14, s39, s41
	s_wait_alu 0xfffe
	v_mad_co_u64_u32 v[3:4], null, v10, s14, 0
	v_mad_co_u64_u32 v[7:8], null, v11, s14, 0
	s_delay_alu instid0(VALU_DEP_2) | instskip(SKIP_1) | instid1(VALU_DEP_3)
	v_add_co_u32 v3, vcc_lo, v12, v3
	s_wait_alu 0xfffd
	v_add_co_ci_u32_e64 v4, null, 0, v4, vcc_lo
	s_delay_alu instid0(VALU_DEP_2) | instskip(SKIP_1) | instid1(VALU_DEP_2)
	v_add_co_u32 v3, vcc_lo, v3, v5
	s_wait_alu 0xfffd
	v_add_co_ci_u32_e32 v3, vcc_lo, v4, v6, vcc_lo
	s_wait_alu 0xfffd
	v_add_co_ci_u32_e32 v4, vcc_lo, 0, v8, vcc_lo
	s_delay_alu instid0(VALU_DEP_2) | instskip(SKIP_1) | instid1(VALU_DEP_2)
	v_add_co_u32 v5, vcc_lo, v3, v7
	s_wait_alu 0xfffd
	v_add_co_ci_u32_e64 v6, null, 0, v4, vcc_lo
	s_delay_alu instid0(VALU_DEP_2) | instskip(SKIP_1) | instid1(VALU_DEP_3)
	v_mul_lo_u32 v7, s3, v5
	v_mad_co_u64_u32 v[3:4], null, s2, v5, 0
	v_mul_lo_u32 v8, s2, v6
	s_delay_alu instid0(VALU_DEP_2) | instskip(NEXT) | instid1(VALU_DEP_2)
	v_sub_co_u32 v3, vcc_lo, v10, v3
	v_add3_u32 v4, v4, v8, v7
	v_add_co_u32 v8, s0, v5, 2
	s_wait_alu 0xf1ff
	v_add_co_ci_u32_e64 v10, null, 0, v6, s0
	s_delay_alu instid0(VALU_DEP_3) | instskip(SKIP_3) | instid1(VALU_DEP_3)
	v_sub_nc_u32_e32 v7, v11, v4
	v_sub_co_u32 v12, s0, v3, s2
	s_wait_alu 0xfffd
	v_sub_co_ci_u32_e64 v4, null, v11, v4, vcc_lo
	v_subrev_co_ci_u32_e64 v7, null, s3, v7, vcc_lo
	s_delay_alu instid0(VALU_DEP_3) | instskip(SKIP_1) | instid1(VALU_DEP_2)
	v_cmp_le_u32_e32 vcc_lo, s2, v12
	s_wait_alu 0xf1ff
	v_subrev_co_ci_u32_e64 v7, null, 0, v7, s0
	s_wait_alu 0xfffd
	v_cndmask_b32_e64 v11, 0, -1, vcc_lo
	s_delay_alu instid0(VALU_DEP_2)
	v_cmp_le_u32_e32 vcc_lo, s3, v7
	s_wait_alu 0xfffd
	v_cndmask_b32_e64 v12, 0, -1, vcc_lo
	v_cmp_le_u32_e32 vcc_lo, s2, v3
	s_wait_alu 0xfffd
	v_cndmask_b32_e64 v3, 0, -1, vcc_lo
	;; [unrolled: 3-line block ×3, first 2 shown]
	v_cmp_eq_u32_e32 vcc_lo, s3, v7
	s_wait_alu 0xfffd
	v_cndmask_b32_e32 v7, v12, v11, vcc_lo
	v_add_co_u32 v11, vcc_lo, v5, 1
	s_wait_alu 0xfffd
	v_add_co_ci_u32_e64 v12, null, 0, v6, vcc_lo
	v_cmp_eq_u32_e32 vcc_lo, s3, v4
	s_wait_alu 0xfffd
	v_cndmask_b32_e32 v3, v13, v3, vcc_lo
	v_cmp_ne_u32_e32 vcc_lo, 0, v7
	v_xor_b32_e32 v7, s36, v9
	s_wait_alu 0xfffd
	v_cndmask_b32_e32 v4, v12, v10, vcc_lo
	v_cmp_ne_u32_e64 s0, 0, v3
	v_cndmask_b32_e32 v3, v11, v8, vcc_lo
	s_wait_alu 0xf1ff
	s_delay_alu instid0(VALU_DEP_2) | instskip(NEXT) | instid1(VALU_DEP_2)
	v_cndmask_b32_e64 v4, v6, v4, s0
	v_cndmask_b32_e64 v3, v5, v3, s0
	s_delay_alu instid0(VALU_DEP_2) | instskip(NEXT) | instid1(VALU_DEP_2)
	v_xor_b32_e32 v4, v4, v7
	v_xor_b32_e32 v3, v3, v7
	s_delay_alu instid0(VALU_DEP_1) | instskip(SKIP_1) | instid1(VALU_DEP_3)
	v_sub_co_u32 v6, vcc_lo, v3, v7
	s_wait_alu 0xfffd
	v_sub_co_ci_u32_e64 v7, null, v4, v7, vcc_lo
.LBB10_5:                               ;   in Loop: Header=BB10_3 Depth=1
	s_wait_alu 0xfffe
	s_and_not1_saveexec_b32 s0, s1
	s_cbranch_execz .LBB10_7
; %bb.6:                                ;   in Loop: Header=BB10_3 Depth=1
	s_sub_co_i32 s1, 0, s8
	v_mov_b32_e32 v7, v2
	s_wait_alu 0xfffe
	v_mul_lo_u32 v3, s1, v20
	s_delay_alu instid0(VALU_DEP_1) | instskip(NEXT) | instid1(VALU_DEP_1)
	v_mul_hi_u32 v3, v20, v3
	v_add_nc_u32_e32 v3, v20, v3
	s_delay_alu instid0(VALU_DEP_1) | instskip(NEXT) | instid1(VALU_DEP_1)
	v_mul_hi_u32 v3, v0, v3
	v_mul_lo_u32 v4, v3, s8
	s_delay_alu instid0(VALU_DEP_1) | instskip(NEXT) | instid1(VALU_DEP_1)
	v_sub_nc_u32_e32 v4, v0, v4
	v_subrev_nc_u32_e32 v6, s8, v4
	v_cmp_le_u32_e32 vcc_lo, s8, v4
	s_wait_alu 0xfffd
	s_delay_alu instid0(VALU_DEP_2) | instskip(NEXT) | instid1(VALU_DEP_1)
	v_dual_cndmask_b32 v4, v4, v6 :: v_dual_add_nc_u32 v5, 1, v3
	v_cndmask_b32_e32 v3, v3, v5, vcc_lo
	s_delay_alu instid0(VALU_DEP_2) | instskip(NEXT) | instid1(VALU_DEP_2)
	v_cmp_le_u32_e32 vcc_lo, s8, v4
	v_add_nc_u32_e32 v5, 1, v3
	s_wait_alu 0xfffd
	s_delay_alu instid0(VALU_DEP_1)
	v_cndmask_b32_e32 v6, v3, v5, vcc_lo
.LBB10_7:                               ;   in Loop: Header=BB10_3 Depth=1
	s_wait_alu 0xfffe
	s_or_b32 exec_lo, exec_lo, s0
	v_or_b32_e32 v3, s13, v7
                                        ; implicit-def: $vgpr8_vgpr9
	s_mov_b32 s0, exec_lo
	s_delay_alu instid0(VALU_DEP_1)
	v_cmpx_ne_u64_e32 0, v[2:3]
	s_wait_alu 0xfffe
	s_xor_b32 s1, exec_lo, s0
	s_cbranch_execz .LBB10_9
; %bb.8:                                ;   in Loop: Header=BB10_3 Depth=1
	s_ashr_i32 s2, s13, 31
	v_ashrrev_i32_e32 v5, 31, v7
	s_wait_alu 0xfffe
	s_mov_b32 s3, s2
	s_wait_alu 0xfffe
	s_add_nc_u64 s[38:39], s[12:13], s[2:3]
	v_add_co_u32 v3, vcc_lo, v6, v5
	s_wait_alu 0xfffe
	s_xor_b64 s[38:39], s[38:39], s[2:3]
	s_wait_alu 0xfffd
	v_add_co_ci_u32_e64 v4, null, v7, v5, vcc_lo
	s_wait_alu 0xfffe
	s_cvt_f32_u32 s0, s38
	s_cvt_f32_u32 s3, s39
	s_sub_nc_u64 s[42:43], 0, s[38:39]
	v_xor_b32_e32 v12, v3, v5
	v_xor_b32_e32 v13, v4, v5
	s_wait_alu 0xfffe
	s_fmamk_f32 s0, s3, 0x4f800000, s0
	v_xor_b32_e32 v5, s2, v5
	s_wait_alu 0xfffe
	s_delay_alu instid0(SALU_CYCLE_1) | instskip(NEXT) | instid1(TRANS32_DEP_1)
	v_s_rcp_f32 s0, s0
	s_mul_f32 s0, s0, 0x5f7ffffc
	s_wait_alu 0xfffe
	s_delay_alu instid0(SALU_CYCLE_2) | instskip(SKIP_1) | instid1(SALU_CYCLE_2)
	s_mul_f32 s3, s0, 0x2f800000
	s_wait_alu 0xfffe
	s_trunc_f32 s3, s3
	s_wait_alu 0xfffe
	s_delay_alu instid0(SALU_CYCLE_2) | instskip(SKIP_2) | instid1(SALU_CYCLE_1)
	s_fmamk_f32 s0, s3, 0xcf800000, s0
	s_cvt_u32_f32 s41, s3
	s_wait_alu 0xfffe
	s_cvt_u32_f32 s40, s0
	s_delay_alu instid0(SALU_CYCLE_3)
	s_mul_u64 s[44:45], s[42:43], s[40:41]
	s_wait_alu 0xfffe
	s_mul_hi_u32 s47, s40, s45
	s_mul_i32 s46, s40, s45
	s_mul_hi_u32 s14, s40, s44
	s_mul_i32 s3, s41, s44
	s_wait_alu 0xfffe
	s_add_nc_u64 s[46:47], s[14:15], s[46:47]
	s_mul_hi_u32 s0, s41, s44
	s_mul_hi_u32 s37, s41, s45
	s_wait_alu 0xfffe
	s_add_co_u32 s3, s46, s3
	s_add_co_ci_u32 s14, s47, s0
	s_mul_i32 s44, s41, s45
	s_add_co_ci_u32 s45, s37, 0
	s_wait_alu 0xfffe
	s_add_nc_u64 s[44:45], s[14:15], s[44:45]
	s_wait_alu 0xfffe
	s_add_co_u32 s40, s40, s44
	s_cselect_b32 s0, -1, 0
	s_wait_alu 0xfffe
	s_cmp_lg_u32 s0, 0
	s_add_co_ci_u32 s41, s41, s45
	s_delay_alu instid0(SALU_CYCLE_1) | instskip(NEXT) | instid1(SALU_CYCLE_1)
	s_mul_u64 s[42:43], s[42:43], s[40:41]
	s_mul_hi_u32 s45, s40, s43
	s_mul_i32 s44, s40, s43
	s_mul_hi_u32 s14, s40, s42
	s_mul_i32 s3, s41, s42
	s_wait_alu 0xfffe
	s_add_nc_u64 s[44:45], s[14:15], s[44:45]
	s_mul_hi_u32 s0, s41, s42
	s_mul_hi_u32 s37, s41, s43
	s_wait_alu 0xfffe
	s_add_co_u32 s3, s44, s3
	s_add_co_ci_u32 s14, s45, s0
	s_mul_i32 s42, s41, s43
	s_add_co_ci_u32 s43, s37, 0
	s_wait_alu 0xfffe
	s_add_nc_u64 s[42:43], s[14:15], s[42:43]
	s_delay_alu instid0(SALU_CYCLE_1)
	s_add_co_u32 s0, s40, s42
	s_cselect_b32 s3, -1, 0
	s_wait_alu 0xfffe
	v_mul_hi_u32 v14, v12, s0
	s_cmp_lg_u32 s3, 0
	v_mad_co_u64_u32 v[8:9], null, v13, s0, 0
	s_add_co_ci_u32 s3, s41, s43
	s_wait_alu 0xfffe
	v_mad_co_u64_u32 v[3:4], null, v12, s3, 0
	v_mad_co_u64_u32 v[10:11], null, v13, s3, 0
	s_delay_alu instid0(VALU_DEP_2) | instskip(SKIP_1) | instid1(VALU_DEP_3)
	v_add_co_u32 v3, vcc_lo, v14, v3
	s_wait_alu 0xfffd
	v_add_co_ci_u32_e64 v4, null, 0, v4, vcc_lo
	s_delay_alu instid0(VALU_DEP_2) | instskip(SKIP_1) | instid1(VALU_DEP_2)
	v_add_co_u32 v3, vcc_lo, v3, v8
	s_wait_alu 0xfffd
	v_add_co_ci_u32_e32 v3, vcc_lo, v4, v9, vcc_lo
	s_wait_alu 0xfffd
	v_add_co_ci_u32_e32 v4, vcc_lo, 0, v11, vcc_lo
	s_delay_alu instid0(VALU_DEP_2) | instskip(SKIP_1) | instid1(VALU_DEP_2)
	v_add_co_u32 v8, vcc_lo, v3, v10
	s_wait_alu 0xfffd
	v_add_co_ci_u32_e64 v9, null, 0, v4, vcc_lo
	s_delay_alu instid0(VALU_DEP_2) | instskip(SKIP_1) | instid1(VALU_DEP_3)
	v_mul_lo_u32 v10, s39, v8
	v_mad_co_u64_u32 v[3:4], null, s38, v8, 0
	v_mul_lo_u32 v11, s38, v9
	s_delay_alu instid0(VALU_DEP_2) | instskip(NEXT) | instid1(VALU_DEP_2)
	v_sub_co_u32 v3, vcc_lo, v12, v3
	v_add3_u32 v4, v4, v11, v10
	v_add_co_u32 v11, s0, v8, 2
	s_wait_alu 0xf1ff
	v_add_co_ci_u32_e64 v12, null, 0, v9, s0
	s_delay_alu instid0(VALU_DEP_3) | instskip(SKIP_3) | instid1(VALU_DEP_3)
	v_sub_nc_u32_e32 v10, v13, v4
	v_sub_co_u32 v14, s0, v3, s38
	s_wait_alu 0xfffd
	v_sub_co_ci_u32_e64 v4, null, v13, v4, vcc_lo
	v_subrev_co_ci_u32_e64 v10, null, s39, v10, vcc_lo
	s_delay_alu instid0(VALU_DEP_3) | instskip(SKIP_1) | instid1(VALU_DEP_2)
	v_cmp_le_u32_e32 vcc_lo, s38, v14
	s_wait_alu 0xf1ff
	v_subrev_co_ci_u32_e64 v10, null, 0, v10, s0
	s_wait_alu 0xfffd
	v_cndmask_b32_e64 v13, 0, -1, vcc_lo
	s_delay_alu instid0(VALU_DEP_2)
	v_cmp_le_u32_e32 vcc_lo, s39, v10
	s_wait_alu 0xfffd
	v_cndmask_b32_e64 v14, 0, -1, vcc_lo
	v_cmp_le_u32_e32 vcc_lo, s38, v3
	s_wait_alu 0xfffd
	v_cndmask_b32_e64 v3, 0, -1, vcc_lo
	;; [unrolled: 3-line block ×3, first 2 shown]
	v_cmp_eq_u32_e32 vcc_lo, s39, v10
	s_wait_alu 0xfffd
	v_cndmask_b32_e32 v10, v14, v13, vcc_lo
	v_add_co_u32 v13, vcc_lo, v8, 1
	s_wait_alu 0xfffd
	v_add_co_ci_u32_e64 v14, null, 0, v9, vcc_lo
	v_cmp_eq_u32_e32 vcc_lo, s39, v4
	s_wait_alu 0xfffd
	v_cndmask_b32_e32 v3, v15, v3, vcc_lo
	v_cmp_ne_u32_e32 vcc_lo, 0, v10
	s_delay_alu instid0(VALU_DEP_2) | instskip(SKIP_3) | instid1(VALU_DEP_1)
	v_cmp_ne_u32_e64 s0, 0, v3
	s_wait_alu 0xfffd
	v_dual_cndmask_b32 v4, v14, v12 :: v_dual_cndmask_b32 v3, v13, v11
	s_wait_alu 0xf1ff
	v_cndmask_b32_e64 v4, v9, v4, s0
	s_delay_alu instid0(VALU_DEP_2) | instskip(NEXT) | instid1(VALU_DEP_2)
	v_cndmask_b32_e64 v3, v8, v3, s0
	v_xor_b32_e32 v4, v4, v5
	s_delay_alu instid0(VALU_DEP_2) | instskip(NEXT) | instid1(VALU_DEP_1)
	v_xor_b32_e32 v3, v3, v5
	v_sub_co_u32 v8, vcc_lo, v3, v5
	s_wait_alu 0xfffd
	s_delay_alu instid0(VALU_DEP_3)
	v_sub_co_ci_u32_e64 v9, null, v4, v5, vcc_lo
.LBB10_9:                               ;   in Loop: Header=BB10_3 Depth=1
	s_wait_alu 0xfffe
	s_and_not1_saveexec_b32 s0, s1
	s_cbranch_execz .LBB10_11
; %bb.10:                               ;   in Loop: Header=BB10_3 Depth=1
	s_sub_co_i32 s1, 0, s12
	v_mov_b32_e32 v9, v2
	s_wait_alu 0xfffe
	v_mul_lo_u32 v3, s1, v21
	s_delay_alu instid0(VALU_DEP_1) | instskip(NEXT) | instid1(VALU_DEP_1)
	v_mul_hi_u32 v3, v21, v3
	v_add_nc_u32_e32 v3, v21, v3
	s_delay_alu instid0(VALU_DEP_1) | instskip(NEXT) | instid1(VALU_DEP_1)
	v_mul_hi_u32 v3, v6, v3
	v_mul_lo_u32 v4, v3, s12
	v_add_nc_u32_e32 v5, 1, v3
	s_delay_alu instid0(VALU_DEP_2) | instskip(NEXT) | instid1(VALU_DEP_1)
	v_sub_nc_u32_e32 v4, v6, v4
	v_subrev_nc_u32_e32 v8, s12, v4
	v_cmp_le_u32_e32 vcc_lo, s12, v4
	s_wait_alu 0xfffd
	s_delay_alu instid0(VALU_DEP_2) | instskip(NEXT) | instid1(VALU_DEP_1)
	v_dual_cndmask_b32 v4, v4, v8 :: v_dual_cndmask_b32 v3, v3, v5
	v_cmp_le_u32_e32 vcc_lo, s12, v4
	s_delay_alu instid0(VALU_DEP_2) | instskip(SKIP_1) | instid1(VALU_DEP_1)
	v_add_nc_u32_e32 v5, 1, v3
	s_wait_alu 0xfffd
	v_cndmask_b32_e32 v8, v3, v5, vcc_lo
.LBB10_11:                              ;   in Loop: Header=BB10_3 Depth=1
	s_wait_alu 0xfffe
	s_or_b32 exec_lo, exec_lo, s0
	v_mul_lo_u32 v5, v7, s8
	v_mul_lo_u32 v12, v6, s9
	v_mad_co_u64_u32 v[3:4], null, v6, s8, 0
	v_mul_lo_u32 v13, v9, s12
	v_mul_lo_u32 v14, v8, s13
	v_mad_co_u64_u32 v[10:11], null, v8, s12, 0
	s_mov_b32 s37, exec_lo
	v_add3_u32 v5, v4, v12, v5
	v_sub_co_u32 v4, vcc_lo, v0, v3
	v_add3_u32 v11, v11, v14, v13
	s_wait_alu 0xfffd
	s_delay_alu instid0(VALU_DEP_3) | instskip(SKIP_3) | instid1(VALU_DEP_2)
	v_sub_co_ci_u32_e64 v5, null, v1, v5, vcc_lo
	v_sub_co_u32 v22, vcc_lo, v6, v10
	s_wait_alu 0xfffd
	v_sub_co_ci_u32_e64 v23, null, v7, v11, vcc_lo
	v_sub_co_u32 v6, vcc_lo, v4, v22
	s_wait_alu 0xfffd
	s_delay_alu instid0(VALU_DEP_2) | instskip(NEXT) | instid1(VALU_DEP_2)
	v_sub_co_ci_u32_e64 v7, null, v5, v23, vcc_lo
	v_add_co_u32 v10, vcc_lo, v6, 2
	s_wait_alu 0xfffd
	s_delay_alu instid0(VALU_DEP_2) | instskip(NEXT) | instid1(VALU_DEP_1)
	v_add_co_ci_u32_e64 v11, null, 0, v7, vcc_lo
	v_cmpx_lt_i64_e64 s[4:5], v[10:11]
	s_cbranch_execz .LBB10_2
; %bb.12:                               ;   in Loop: Header=BB10_3 Depth=1
	s_load_b128 s[0:3], s[22:23], 0xc0
	s_and_not1_b32 vcc_lo, exec_lo, s33
	s_wait_kmcnt 0x0
	v_mul_lo_u32 v3, s3, v4
	v_mul_lo_u32 v12, s2, v5
	v_mad_co_u64_u32 v[10:11], null, s2, v4, 0
	s_delay_alu instid0(VALU_DEP_1) | instskip(SKIP_2) | instid1(VALU_DEP_3)
	v_add3_u32 v11, v11, v12, v3
	v_mul_lo_u32 v3, s0, v23
	v_mul_lo_u32 v12, s1, v22
	v_mad_co_u64_u32 v[10:11], null, s0, v22, v[10:11]
	s_delay_alu instid0(VALU_DEP_1)
	v_add3_u32 v11, v12, v11, v3
	s_wait_alu 0xfffe
	s_cbranch_vccnz .LBB10_38
; %bb.13:                               ;   in Loop: Header=BB10_3 Depth=1
	s_mov_b64 s[38:39], s[26:27]
	s_mov_b64 s[40:41], s[30:31]
	s_and_not1_b32 vcc_lo, exec_lo, s63
	s_mov_b64 s[44:45], s[28:29]
	s_mov_b64 s[42:43], s[20:21]
	s_wait_alu 0xfffe
	s_cbranch_vccz .LBB10_17
.LBB10_14:                              ;   in Loop: Header=BB10_3 Depth=1
	s_and_not1_b32 vcc_lo, exec_lo, s64
	s_wait_alu 0xfffe
	s_cbranch_vccnz .LBB10_38
; %bb.15:                               ;   in Loop: Header=BB10_3 Depth=1
	s_lshl_b64 s[0:1], s[42:43], 3
	s_add_nc_u64 s[42:43], s[42:43], 1
	s_wait_alu 0xfffe
	s_add_nc_u64 s[38:39], s[16:17], s[0:1]
	s_add_nc_u64 s[40:41], s[34:35], s[0:1]
	s_branch .LBB10_22
.LBB10_16:                              ;   in Loop: Header=BB10_17 Depth=2
	s_wait_alu 0xfffe
	s_or_b32 exec_lo, exec_lo, s0
	s_load_b64 s[0:1], s[44:45], 0x0
	v_mul_lo_u32 v3, v13, s46
	v_mul_lo_u32 v16, v12, s47
	v_mad_co_u64_u32 v[14:15], null, v12, s46, 0
	s_add_nc_u64 s[38:39], s[38:39], -1
	s_add_nc_u64 s[42:43], s[42:43], -1
	;; [unrolled: 1-line block ×3, first 2 shown]
	s_wait_alu 0xfffe
	s_cmp_lg_u64 s[38:39], 0
	s_add_nc_u64 s[40:41], s[40:41], -8
	v_add3_u32 v3, v15, v16, v3
	v_sub_co_u32 v8, vcc_lo, v8, v14
	s_wait_alu 0xfffd
	s_delay_alu instid0(VALU_DEP_2) | instskip(SKIP_1) | instid1(VALU_DEP_2)
	v_sub_co_ci_u32_e64 v3, null, v9, v3, vcc_lo
	s_wait_kmcnt 0x0
	v_mul_lo_u32 v9, s1, v8
	s_delay_alu instid0(VALU_DEP_2) | instskip(SKIP_1) | instid1(VALU_DEP_1)
	v_mul_lo_u32 v3, s0, v3
	v_mad_co_u64_u32 v[10:11], null, s0, v8, v[10:11]
	v_add3_u32 v11, v9, v11, v3
	v_dual_mov_b32 v8, v12 :: v_dual_mov_b32 v9, v13
	s_cbranch_scc0 .LBB10_14
.LBB10_17:                              ;   Parent Loop BB10_3 Depth=1
                                        ; =>  This Inner Loop Header: Depth=2
	s_load_b64 s[46:47], s[40:41], 0x0
                                        ; implicit-def: $vgpr12_vgpr13
	s_mov_b32 s0, exec_lo
	s_wait_kmcnt 0x0
	v_or_b32_e32 v3, s47, v9
	s_delay_alu instid0(VALU_DEP_1)
	v_cmpx_ne_u64_e32 0, v[2:3]
	s_wait_alu 0xfffe
	s_xor_b32 s1, exec_lo, s0
	s_cbranch_execz .LBB10_19
; %bb.18:                               ;   in Loop: Header=BB10_17 Depth=2
	s_ashr_i32 s48, s47, 31
	v_ashrrev_i32_e32 v3, 31, v9
	s_wait_alu 0xfffe
	s_mov_b32 s49, s48
	s_wait_alu 0xfffe
	s_add_nc_u64 s[50:51], s[46:47], s[48:49]
	v_add_co_u32 v12, vcc_lo, v8, v3
	s_wait_alu 0xfffe
	s_xor_b64 s[50:51], s[50:51], s[48:49]
	s_wait_alu 0xfffd
	v_add_co_ci_u32_e64 v13, null, v9, v3, vcc_lo
	s_wait_alu 0xfffe
	s_cvt_f32_u32 s0, s50
	s_cvt_f32_u32 s14, s51
	s_sub_nc_u64 s[54:55], 0, s[50:51]
	v_xor_b32_e32 v18, v12, v3
	v_xor_b32_e32 v19, v13, v3
	s_wait_alu 0xfffe
	s_fmamk_f32 s0, s14, 0x4f800000, s0
	v_xor_b32_e32 v3, s48, v3
	s_wait_alu 0xfffe
	s_delay_alu instid0(SALU_CYCLE_1) | instskip(NEXT) | instid1(TRANS32_DEP_1)
	v_s_rcp_f32 s0, s0
	s_mul_f32 s0, s0, 0x5f7ffffc
	s_wait_alu 0xfffe
	s_delay_alu instid0(SALU_CYCLE_2) | instskip(SKIP_1) | instid1(SALU_CYCLE_2)
	s_mul_f32 s14, s0, 0x2f800000
	s_wait_alu 0xfffe
	s_trunc_f32 s14, s14
	s_wait_alu 0xfffe
	s_delay_alu instid0(SALU_CYCLE_2) | instskip(SKIP_2) | instid1(SALU_CYCLE_1)
	s_fmamk_f32 s0, s14, 0xcf800000, s0
	s_cvt_u32_f32 s53, s14
	s_wait_alu 0xfffe
	s_cvt_u32_f32 s52, s0
	s_wait_alu 0xfffe
	s_delay_alu instid0(SALU_CYCLE_2)
	s_mul_u64 s[56:57], s[54:55], s[52:53]
	s_wait_alu 0xfffe
	s_mul_hi_u32 s59, s52, s57
	s_mul_i32 s58, s52, s57
	s_mul_hi_u32 s14, s52, s56
	s_mul_i32 s49, s53, s56
	s_wait_alu 0xfffe
	s_add_nc_u64 s[58:59], s[14:15], s[58:59]
	s_mul_hi_u32 s0, s53, s56
	s_mul_hi_u32 s60, s53, s57
	s_wait_alu 0xfffe
	s_add_co_u32 s14, s58, s49
	s_add_co_ci_u32 s14, s59, s0
	s_mul_i32 s56, s53, s57
	s_add_co_ci_u32 s57, s60, 0
	s_wait_alu 0xfffe
	s_add_nc_u64 s[56:57], s[14:15], s[56:57]
	s_wait_alu 0xfffe
	s_add_co_u32 s52, s52, s56
	s_cselect_b32 s0, -1, 0
	s_wait_alu 0xfffe
	s_cmp_lg_u32 s0, 0
	s_add_co_ci_u32 s53, s53, s57
	s_wait_alu 0xfffe
	s_mul_u64 s[54:55], s[54:55], s[52:53]
	s_wait_alu 0xfffe
	s_mul_hi_u32 s57, s52, s55
	s_mul_i32 s56, s52, s55
	s_mul_hi_u32 s14, s52, s54
	s_mul_i32 s49, s53, s54
	s_wait_alu 0xfffe
	s_add_nc_u64 s[56:57], s[14:15], s[56:57]
	s_mul_hi_u32 s0, s53, s54
	s_mul_hi_u32 s58, s53, s55
	s_wait_alu 0xfffe
	s_add_co_u32 s14, s56, s49
	s_add_co_ci_u32 s14, s57, s0
	s_mul_i32 s54, s53, s55
	s_add_co_ci_u32 s55, s58, 0
	s_wait_alu 0xfffe
	s_add_nc_u64 s[54:55], s[14:15], s[54:55]
	s_wait_alu 0xfffe
	s_add_co_u32 s0, s52, s54
	s_cselect_b32 s14, -1, 0
	s_wait_alu 0xfffe
	v_mul_hi_u32 v24, v18, s0
	s_cmp_lg_u32 s14, 0
	v_mad_co_u64_u32 v[14:15], null, v19, s0, 0
	s_add_co_ci_u32 s14, s53, s55
	s_wait_alu 0xfffe
	v_mad_co_u64_u32 v[12:13], null, v18, s14, 0
	v_mad_co_u64_u32 v[16:17], null, v19, s14, 0
	s_delay_alu instid0(VALU_DEP_2) | instskip(SKIP_1) | instid1(VALU_DEP_3)
	v_add_co_u32 v12, vcc_lo, v24, v12
	s_wait_alu 0xfffd
	v_add_co_ci_u32_e64 v13, null, 0, v13, vcc_lo
	s_delay_alu instid0(VALU_DEP_2) | instskip(SKIP_1) | instid1(VALU_DEP_2)
	v_add_co_u32 v12, vcc_lo, v12, v14
	s_wait_alu 0xfffd
	v_add_co_ci_u32_e32 v12, vcc_lo, v13, v15, vcc_lo
	s_wait_alu 0xfffd
	v_add_co_ci_u32_e32 v13, vcc_lo, 0, v17, vcc_lo
	s_delay_alu instid0(VALU_DEP_2) | instskip(SKIP_1) | instid1(VALU_DEP_2)
	v_add_co_u32 v14, vcc_lo, v12, v16
	s_wait_alu 0xfffd
	v_add_co_ci_u32_e64 v15, null, 0, v13, vcc_lo
	s_delay_alu instid0(VALU_DEP_2) | instskip(SKIP_1) | instid1(VALU_DEP_3)
	v_mul_lo_u32 v16, s51, v14
	v_mad_co_u64_u32 v[12:13], null, s50, v14, 0
	v_mul_lo_u32 v17, s50, v15
	s_delay_alu instid0(VALU_DEP_2) | instskip(NEXT) | instid1(VALU_DEP_2)
	v_sub_co_u32 v12, vcc_lo, v18, v12
	v_add3_u32 v13, v13, v17, v16
	v_add_co_u32 v17, s0, v14, 2
	s_wait_alu 0xf1ff
	v_add_co_ci_u32_e64 v18, null, 0, v15, s0
	s_delay_alu instid0(VALU_DEP_3) | instskip(SKIP_3) | instid1(VALU_DEP_3)
	v_sub_nc_u32_e32 v16, v19, v13
	v_sub_co_u32 v24, s0, v12, s50
	s_wait_alu 0xfffd
	v_sub_co_ci_u32_e64 v13, null, v19, v13, vcc_lo
	v_subrev_co_ci_u32_e64 v16, null, s51, v16, vcc_lo
	s_delay_alu instid0(VALU_DEP_3) | instskip(SKIP_1) | instid1(VALU_DEP_2)
	v_cmp_le_u32_e32 vcc_lo, s50, v24
	s_wait_alu 0xf1ff
	v_subrev_co_ci_u32_e64 v16, null, 0, v16, s0
	s_wait_alu 0xfffd
	v_cndmask_b32_e64 v19, 0, -1, vcc_lo
	s_delay_alu instid0(VALU_DEP_2)
	v_cmp_le_u32_e32 vcc_lo, s51, v16
	s_wait_alu 0xfffd
	v_cndmask_b32_e64 v24, 0, -1, vcc_lo
	v_cmp_le_u32_e32 vcc_lo, s50, v12
	s_wait_alu 0xfffd
	v_cndmask_b32_e64 v12, 0, -1, vcc_lo
	;; [unrolled: 3-line block ×3, first 2 shown]
	v_cmp_eq_u32_e32 vcc_lo, s51, v16
	s_wait_alu 0xfffd
	v_cndmask_b32_e32 v16, v24, v19, vcc_lo
	v_add_co_u32 v19, vcc_lo, v14, 1
	s_wait_alu 0xfffd
	v_add_co_ci_u32_e64 v24, null, 0, v15, vcc_lo
	v_cmp_eq_u32_e32 vcc_lo, s51, v13
	s_wait_alu 0xfffd
	v_cndmask_b32_e32 v12, v25, v12, vcc_lo
	v_cmp_ne_u32_e32 vcc_lo, 0, v16
	s_wait_alu 0xfffd
	v_cndmask_b32_e32 v13, v24, v18, vcc_lo
	s_delay_alu instid0(VALU_DEP_3) | instskip(SKIP_2) | instid1(VALU_DEP_2)
	v_cmp_ne_u32_e64 s0, 0, v12
	v_cndmask_b32_e32 v12, v19, v17, vcc_lo
	s_wait_alu 0xf1ff
	v_cndmask_b32_e64 v13, v15, v13, s0
	s_delay_alu instid0(VALU_DEP_2) | instskip(NEXT) | instid1(VALU_DEP_2)
	v_cndmask_b32_e64 v12, v14, v12, s0
	v_xor_b32_e32 v13, v13, v3
	s_delay_alu instid0(VALU_DEP_2) | instskip(NEXT) | instid1(VALU_DEP_1)
	v_xor_b32_e32 v12, v12, v3
	v_sub_co_u32 v12, vcc_lo, v12, v3
	s_wait_alu 0xfffd
	s_delay_alu instid0(VALU_DEP_3)
	v_sub_co_ci_u32_e64 v13, null, v13, v3, vcc_lo
.LBB10_19:                              ;   in Loop: Header=BB10_17 Depth=2
	s_wait_alu 0xfffe
	s_and_not1_saveexec_b32 s0, s1
	s_cbranch_execz .LBB10_16
; %bb.20:                               ;   in Loop: Header=BB10_17 Depth=2
	v_cvt_f32_u32_e32 v3, s46
	s_sub_co_i32 s1, 0, s46
	s_delay_alu instid0(VALU_DEP_1) | instskip(NEXT) | instid1(TRANS32_DEP_1)
	v_rcp_iflag_f32_e32 v3, v3
	v_mul_f32_e32 v3, 0x4f7ffffe, v3
	s_delay_alu instid0(VALU_DEP_1) | instskip(SKIP_1) | instid1(VALU_DEP_1)
	v_cvt_u32_f32_e32 v3, v3
	s_wait_alu 0xfffe
	v_mul_lo_u32 v12, s1, v3
	s_delay_alu instid0(VALU_DEP_1) | instskip(NEXT) | instid1(VALU_DEP_1)
	v_mul_hi_u32 v12, v3, v12
	v_add_nc_u32_e32 v3, v3, v12
	s_delay_alu instid0(VALU_DEP_1) | instskip(NEXT) | instid1(VALU_DEP_1)
	v_mul_hi_u32 v3, v8, v3
	v_mul_lo_u32 v12, v3, s46
	v_add_nc_u32_e32 v13, 1, v3
	s_delay_alu instid0(VALU_DEP_2) | instskip(NEXT) | instid1(VALU_DEP_1)
	v_sub_nc_u32_e32 v12, v8, v12
	v_subrev_nc_u32_e32 v14, s46, v12
	v_cmp_le_u32_e32 vcc_lo, s46, v12
	s_wait_alu 0xfffd
	s_delay_alu instid0(VALU_DEP_2) | instskip(NEXT) | instid1(VALU_DEP_1)
	v_dual_cndmask_b32 v12, v12, v14 :: v_dual_cndmask_b32 v3, v3, v13
	v_cmp_le_u32_e32 vcc_lo, s46, v12
	s_delay_alu instid0(VALU_DEP_2) | instskip(SKIP_1) | instid1(VALU_DEP_1)
	v_add_nc_u32_e32 v13, 1, v3
	s_wait_alu 0xfffd
	v_dual_cndmask_b32 v12, v3, v13 :: v_dual_mov_b32 v13, v2
	s_branch .LBB10_16
.LBB10_21:                              ;   in Loop: Header=BB10_22 Depth=2
	s_wait_alu 0xfffe
	s_or_b32 exec_lo, exec_lo, s0
	v_mul_lo_u32 v3, v13, s44
	v_mul_lo_u32 v28, v12, s45
	v_mad_co_u64_u32 v[24:25], null, v12, s44, 0
	v_mul_lo_u32 v29, v15, s48
	v_mul_lo_u32 v30, v14, s49
	v_mad_co_u64_u32 v[26:27], null, v14, s48, 0
	s_load_b64 s[0:1], s[38:39], 0x0
	s_add_nc_u64 s[42:43], s[42:43], -4
	v_add3_u32 v3, v25, v28, v3
	v_sub_co_u32 v8, vcc_lo, v8, v24
	v_mul_lo_u32 v24, v17, s52
	v_add3_u32 v25, v27, v30, v29
	s_wait_alu 0xfffd
	v_sub_co_ci_u32_e64 v3, null, v9, v3, vcc_lo
	v_mul_lo_u32 v27, s47, v8
	v_mad_co_u64_u32 v[8:9], null, s46, v8, v[10:11]
	s_delay_alu instid0(VALU_DEP_3)
	v_mul_lo_u32 v3, s46, v3
	v_mul_lo_u32 v28, v16, s53
	v_mad_co_u64_u32 v[10:11], null, v16, s52, 0
	v_sub_co_u32 v12, vcc_lo, v12, v26
	s_wait_alu 0xfffd
	v_sub_co_ci_u32_e64 v13, null, v13, v25, vcc_lo
	v_add3_u32 v9, v27, v9, v3
	s_add_nc_u64 s[38:39], s[38:39], s[18:19]
	s_delay_alu instid0(VALU_DEP_4)
	v_add3_u32 v3, v11, v28, v24
	v_mul_lo_u32 v24, s51, v12
	v_mul_lo_u32 v13, s50, v13
	v_mad_co_u64_u32 v[8:9], null, s50, v12, v[8:9]
	v_sub_co_u32 v12, vcc_lo, v14, v10
	s_wait_alu 0xfffd
	v_sub_co_ci_u32_e64 v3, null, v15, v3, vcc_lo
	v_mul_lo_u32 v14, v19, s56
	v_mul_lo_u32 v15, v18, s57
	v_mad_co_u64_u32 v[10:11], null, v18, s56, 0
	v_add3_u32 v9, v24, v9, v13
	v_mul_lo_u32 v3, s54, v3
	s_cmp_eq_u64 s[42:43], 0
	s_add_nc_u64 s[40:41], s[40:41], s[18:19]
	s_delay_alu instid0(VALU_DEP_2) | instskip(SKIP_4) | instid1(VALU_DEP_2)
	v_mad_co_u64_u32 v[8:9], null, s54, v12, v[8:9]
	v_mul_lo_u32 v12, s55, v12
	v_add3_u32 v11, v11, v15, v14
	v_sub_co_u32 v10, vcc_lo, v16, v10
	s_wait_alu 0xfffd
	v_sub_co_ci_u32_e64 v11, null, v17, v11, vcc_lo
	s_delay_alu instid0(VALU_DEP_4) | instskip(SKIP_2) | instid1(VALU_DEP_3)
	v_add3_u32 v9, v12, v9, v3
	s_wait_kmcnt 0x0
	v_mul_lo_u32 v12, s1, v10
	v_mul_lo_u32 v3, s0, v11
	s_delay_alu instid0(VALU_DEP_3) | instskip(SKIP_1) | instid1(VALU_DEP_2)
	v_mad_co_u64_u32 v[10:11], null, s0, v10, v[8:9]
	v_dual_mov_b32 v8, v18 :: v_dual_mov_b32 v9, v19
	v_add3_u32 v11, v12, v11, v3
	s_cbranch_scc1 .LBB10_38
.LBB10_22:                              ;   Parent Loop BB10_3 Depth=1
                                        ; =>  This Inner Loop Header: Depth=2
	s_load_b64 s[44:45], s[40:41], 0x18
                                        ; implicit-def: $vgpr12_vgpr13
	s_mov_b32 s0, exec_lo
	s_wait_kmcnt 0x0
	v_or_b32_e32 v3, s45, v9
	s_delay_alu instid0(VALU_DEP_1)
	v_cmpx_ne_u64_e32 0, v[2:3]
	s_wait_alu 0xfffe
	s_xor_b32 s1, exec_lo, s0
	s_cbranch_execz .LBB10_24
; %bb.23:                               ;   in Loop: Header=BB10_22 Depth=2
	s_ashr_i32 s46, s45, 31
	v_ashrrev_i32_e32 v3, 31, v9
	s_wait_alu 0xfffe
	s_mov_b32 s47, s46
	s_wait_alu 0xfffe
	s_add_nc_u64 s[48:49], s[44:45], s[46:47]
	v_add_co_u32 v12, vcc_lo, v8, v3
	s_wait_alu 0xfffe
	s_xor_b64 s[48:49], s[48:49], s[46:47]
	s_wait_alu 0xfffd
	v_add_co_ci_u32_e64 v13, null, v9, v3, vcc_lo
	s_wait_alu 0xfffe
	s_cvt_f32_u32 s0, s48
	s_cvt_f32_u32 s14, s49
	s_sub_nc_u64 s[52:53], 0, s[48:49]
	v_xor_b32_e32 v18, v12, v3
	v_xor_b32_e32 v19, v13, v3
	s_wait_alu 0xfffe
	s_fmamk_f32 s0, s14, 0x4f800000, s0
	v_xor_b32_e32 v3, s46, v3
	s_wait_alu 0xfffe
	s_delay_alu instid0(SALU_CYCLE_1) | instskip(NEXT) | instid1(TRANS32_DEP_1)
	v_s_rcp_f32 s0, s0
	s_mul_f32 s0, s0, 0x5f7ffffc
	s_wait_alu 0xfffe
	s_delay_alu instid0(SALU_CYCLE_2) | instskip(SKIP_1) | instid1(SALU_CYCLE_2)
	s_mul_f32 s14, s0, 0x2f800000
	s_wait_alu 0xfffe
	s_trunc_f32 s14, s14
	s_wait_alu 0xfffe
	s_delay_alu instid0(SALU_CYCLE_2) | instskip(SKIP_2) | instid1(SALU_CYCLE_1)
	s_fmamk_f32 s0, s14, 0xcf800000, s0
	s_cvt_u32_f32 s51, s14
	s_wait_alu 0xfffe
	s_cvt_u32_f32 s50, s0
	s_wait_alu 0xfffe
	s_delay_alu instid0(SALU_CYCLE_2)
	s_mul_u64 s[54:55], s[52:53], s[50:51]
	s_wait_alu 0xfffe
	s_mul_hi_u32 s57, s50, s55
	s_mul_i32 s56, s50, s55
	s_mul_hi_u32 s14, s50, s54
	s_mul_i32 s47, s51, s54
	s_wait_alu 0xfffe
	s_add_nc_u64 s[56:57], s[14:15], s[56:57]
	s_mul_hi_u32 s0, s51, s54
	s_mul_hi_u32 s58, s51, s55
	s_wait_alu 0xfffe
	s_add_co_u32 s14, s56, s47
	s_add_co_ci_u32 s14, s57, s0
	s_mul_i32 s54, s51, s55
	s_add_co_ci_u32 s55, s58, 0
	s_wait_alu 0xfffe
	s_add_nc_u64 s[54:55], s[14:15], s[54:55]
	s_wait_alu 0xfffe
	s_add_co_u32 s50, s50, s54
	s_cselect_b32 s0, -1, 0
	s_wait_alu 0xfffe
	s_cmp_lg_u32 s0, 0
	s_add_co_ci_u32 s51, s51, s55
	s_wait_alu 0xfffe
	s_mul_u64 s[52:53], s[52:53], s[50:51]
	s_wait_alu 0xfffe
	s_mul_hi_u32 s55, s50, s53
	s_mul_i32 s54, s50, s53
	s_mul_hi_u32 s14, s50, s52
	s_mul_i32 s47, s51, s52
	s_wait_alu 0xfffe
	s_add_nc_u64 s[54:55], s[14:15], s[54:55]
	s_mul_hi_u32 s0, s51, s52
	s_mul_hi_u32 s56, s51, s53
	s_wait_alu 0xfffe
	s_add_co_u32 s14, s54, s47
	s_add_co_ci_u32 s14, s55, s0
	s_mul_i32 s52, s51, s53
	s_add_co_ci_u32 s53, s56, 0
	s_wait_alu 0xfffe
	s_add_nc_u64 s[52:53], s[14:15], s[52:53]
	s_wait_alu 0xfffe
	s_add_co_u32 s0, s50, s52
	s_cselect_b32 s14, -1, 0
	s_wait_alu 0xfffe
	v_mul_hi_u32 v24, v18, s0
	s_cmp_lg_u32 s14, 0
	v_mad_co_u64_u32 v[14:15], null, v19, s0, 0
	s_add_co_ci_u32 s14, s51, s53
	s_wait_alu 0xfffe
	v_mad_co_u64_u32 v[12:13], null, v18, s14, 0
	v_mad_co_u64_u32 v[16:17], null, v19, s14, 0
	s_delay_alu instid0(VALU_DEP_2) | instskip(SKIP_1) | instid1(VALU_DEP_3)
	v_add_co_u32 v12, vcc_lo, v24, v12
	s_wait_alu 0xfffd
	v_add_co_ci_u32_e64 v13, null, 0, v13, vcc_lo
	s_delay_alu instid0(VALU_DEP_2) | instskip(SKIP_1) | instid1(VALU_DEP_2)
	v_add_co_u32 v12, vcc_lo, v12, v14
	s_wait_alu 0xfffd
	v_add_co_ci_u32_e32 v12, vcc_lo, v13, v15, vcc_lo
	s_wait_alu 0xfffd
	v_add_co_ci_u32_e32 v13, vcc_lo, 0, v17, vcc_lo
	s_delay_alu instid0(VALU_DEP_2) | instskip(SKIP_1) | instid1(VALU_DEP_2)
	v_add_co_u32 v14, vcc_lo, v12, v16
	s_wait_alu 0xfffd
	v_add_co_ci_u32_e64 v15, null, 0, v13, vcc_lo
	s_delay_alu instid0(VALU_DEP_2) | instskip(SKIP_1) | instid1(VALU_DEP_3)
	v_mul_lo_u32 v16, s49, v14
	v_mad_co_u64_u32 v[12:13], null, s48, v14, 0
	v_mul_lo_u32 v17, s48, v15
	s_delay_alu instid0(VALU_DEP_2) | instskip(NEXT) | instid1(VALU_DEP_2)
	v_sub_co_u32 v12, vcc_lo, v18, v12
	v_add3_u32 v13, v13, v17, v16
	v_add_co_u32 v17, s0, v14, 2
	s_wait_alu 0xf1ff
	v_add_co_ci_u32_e64 v18, null, 0, v15, s0
	s_delay_alu instid0(VALU_DEP_3) | instskip(SKIP_3) | instid1(VALU_DEP_3)
	v_sub_nc_u32_e32 v16, v19, v13
	v_sub_co_u32 v24, s0, v12, s48
	s_wait_alu 0xfffd
	v_sub_co_ci_u32_e64 v13, null, v19, v13, vcc_lo
	v_subrev_co_ci_u32_e64 v16, null, s49, v16, vcc_lo
	s_delay_alu instid0(VALU_DEP_3) | instskip(SKIP_1) | instid1(VALU_DEP_2)
	v_cmp_le_u32_e32 vcc_lo, s48, v24
	s_wait_alu 0xf1ff
	v_subrev_co_ci_u32_e64 v16, null, 0, v16, s0
	s_wait_alu 0xfffd
	v_cndmask_b32_e64 v19, 0, -1, vcc_lo
	s_delay_alu instid0(VALU_DEP_2)
	v_cmp_le_u32_e32 vcc_lo, s49, v16
	s_wait_alu 0xfffd
	v_cndmask_b32_e64 v24, 0, -1, vcc_lo
	v_cmp_le_u32_e32 vcc_lo, s48, v12
	s_wait_alu 0xfffd
	v_cndmask_b32_e64 v12, 0, -1, vcc_lo
	;; [unrolled: 3-line block ×3, first 2 shown]
	v_cmp_eq_u32_e32 vcc_lo, s49, v16
	s_wait_alu 0xfffd
	v_cndmask_b32_e32 v16, v24, v19, vcc_lo
	v_add_co_u32 v19, vcc_lo, v14, 1
	s_wait_alu 0xfffd
	v_add_co_ci_u32_e64 v24, null, 0, v15, vcc_lo
	v_cmp_eq_u32_e32 vcc_lo, s49, v13
	s_wait_alu 0xfffd
	v_cndmask_b32_e32 v12, v25, v12, vcc_lo
	v_cmp_ne_u32_e32 vcc_lo, 0, v16
	s_wait_alu 0xfffd
	v_cndmask_b32_e32 v13, v24, v18, vcc_lo
	s_delay_alu instid0(VALU_DEP_3) | instskip(SKIP_2) | instid1(VALU_DEP_2)
	v_cmp_ne_u32_e64 s0, 0, v12
	v_cndmask_b32_e32 v12, v19, v17, vcc_lo
	s_wait_alu 0xf1ff
	v_cndmask_b32_e64 v13, v15, v13, s0
	s_delay_alu instid0(VALU_DEP_2) | instskip(NEXT) | instid1(VALU_DEP_2)
	v_cndmask_b32_e64 v12, v14, v12, s0
	v_xor_b32_e32 v13, v13, v3
	s_delay_alu instid0(VALU_DEP_2) | instskip(NEXT) | instid1(VALU_DEP_1)
	v_xor_b32_e32 v12, v12, v3
	v_sub_co_u32 v12, vcc_lo, v12, v3
	s_wait_alu 0xfffd
	s_delay_alu instid0(VALU_DEP_3)
	v_sub_co_ci_u32_e64 v13, null, v13, v3, vcc_lo
.LBB10_24:                              ;   in Loop: Header=BB10_22 Depth=2
	s_wait_alu 0xfffe
	s_and_not1_saveexec_b32 s0, s1
	s_cbranch_execz .LBB10_26
; %bb.25:                               ;   in Loop: Header=BB10_22 Depth=2
	v_cvt_f32_u32_e32 v3, s44
	s_sub_co_i32 s1, 0, s44
	s_delay_alu instid0(VALU_DEP_1) | instskip(NEXT) | instid1(TRANS32_DEP_1)
	v_rcp_iflag_f32_e32 v3, v3
	v_mul_f32_e32 v3, 0x4f7ffffe, v3
	s_delay_alu instid0(VALU_DEP_1) | instskip(SKIP_1) | instid1(VALU_DEP_1)
	v_cvt_u32_f32_e32 v3, v3
	s_wait_alu 0xfffe
	v_mul_lo_u32 v12, s1, v3
	s_delay_alu instid0(VALU_DEP_1) | instskip(NEXT) | instid1(VALU_DEP_1)
	v_mul_hi_u32 v12, v3, v12
	v_add_nc_u32_e32 v3, v3, v12
	s_delay_alu instid0(VALU_DEP_1) | instskip(NEXT) | instid1(VALU_DEP_1)
	v_mul_hi_u32 v3, v8, v3
	v_mul_lo_u32 v12, v3, s44
	v_add_nc_u32_e32 v13, 1, v3
	s_delay_alu instid0(VALU_DEP_2) | instskip(NEXT) | instid1(VALU_DEP_1)
	v_sub_nc_u32_e32 v12, v8, v12
	v_subrev_nc_u32_e32 v14, s44, v12
	v_cmp_le_u32_e32 vcc_lo, s44, v12
	s_wait_alu 0xfffd
	s_delay_alu instid0(VALU_DEP_2) | instskip(NEXT) | instid1(VALU_DEP_1)
	v_dual_cndmask_b32 v12, v12, v14 :: v_dual_cndmask_b32 v3, v3, v13
	v_cmp_le_u32_e32 vcc_lo, s44, v12
	s_delay_alu instid0(VALU_DEP_2) | instskip(SKIP_1) | instid1(VALU_DEP_1)
	v_add_nc_u32_e32 v13, 1, v3
	s_wait_alu 0xfffd
	v_dual_cndmask_b32 v12, v3, v13 :: v_dual_mov_b32 v13, v2
.LBB10_26:                              ;   in Loop: Header=BB10_22 Depth=2
	s_wait_alu 0xfffe
	s_or_b32 exec_lo, exec_lo, s0
	s_load_b64 s[48:49], s[40:41], 0x10
	s_load_b64 s[46:47], s[38:39], 0x18
                                        ; implicit-def: $vgpr14_vgpr15
	s_mov_b32 s0, exec_lo
	s_wait_kmcnt 0x0
	v_or_b32_e32 v3, s49, v13
	s_delay_alu instid0(VALU_DEP_1)
	v_cmpx_ne_u64_e32 0, v[2:3]
	s_wait_alu 0xfffe
	s_xor_b32 s1, exec_lo, s0
	s_cbranch_execz .LBB10_28
; %bb.27:                               ;   in Loop: Header=BB10_22 Depth=2
	s_ashr_i32 s50, s49, 31
	v_ashrrev_i32_e32 v3, 31, v13
	s_wait_alu 0xfffe
	s_mov_b32 s51, s50
	s_wait_alu 0xfffe
	s_add_nc_u64 s[52:53], s[48:49], s[50:51]
	v_add_co_u32 v14, vcc_lo, v12, v3
	s_wait_alu 0xfffe
	s_xor_b64 s[52:53], s[52:53], s[50:51]
	s_wait_alu 0xfffd
	v_add_co_ci_u32_e64 v15, null, v13, v3, vcc_lo
	s_wait_alu 0xfffe
	s_cvt_f32_u32 s0, s52
	s_cvt_f32_u32 s14, s53
	s_sub_nc_u64 s[56:57], 0, s[52:53]
	v_xor_b32_e32 v24, v14, v3
	v_xor_b32_e32 v25, v15, v3
	s_wait_alu 0xfffe
	s_fmamk_f32 s0, s14, 0x4f800000, s0
	v_xor_b32_e32 v3, s50, v3
	s_wait_alu 0xfffe
	s_delay_alu instid0(SALU_CYCLE_1) | instskip(NEXT) | instid1(TRANS32_DEP_1)
	v_s_rcp_f32 s0, s0
	s_mul_f32 s0, s0, 0x5f7ffffc
	s_wait_alu 0xfffe
	s_delay_alu instid0(SALU_CYCLE_2) | instskip(SKIP_1) | instid1(SALU_CYCLE_2)
	s_mul_f32 s14, s0, 0x2f800000
	s_wait_alu 0xfffe
	s_trunc_f32 s14, s14
	s_wait_alu 0xfffe
	s_delay_alu instid0(SALU_CYCLE_2) | instskip(SKIP_2) | instid1(SALU_CYCLE_1)
	s_fmamk_f32 s0, s14, 0xcf800000, s0
	s_cvt_u32_f32 s55, s14
	s_wait_alu 0xfffe
	s_cvt_u32_f32 s54, s0
	s_wait_alu 0xfffe
	s_delay_alu instid0(SALU_CYCLE_2)
	s_mul_u64 s[58:59], s[56:57], s[54:55]
	s_wait_alu 0xfffe
	s_mul_hi_u32 s61, s54, s59
	s_mul_i32 s60, s54, s59
	s_mul_hi_u32 s14, s54, s58
	s_mul_i32 s51, s55, s58
	s_wait_alu 0xfffe
	s_add_nc_u64 s[60:61], s[14:15], s[60:61]
	s_mul_hi_u32 s0, s55, s58
	s_mul_hi_u32 s66, s55, s59
	s_wait_alu 0xfffe
	s_add_co_u32 s14, s60, s51
	s_add_co_ci_u32 s14, s61, s0
	s_mul_i32 s58, s55, s59
	s_add_co_ci_u32 s59, s66, 0
	s_wait_alu 0xfffe
	s_add_nc_u64 s[58:59], s[14:15], s[58:59]
	s_wait_alu 0xfffe
	s_add_co_u32 s54, s54, s58
	s_cselect_b32 s0, -1, 0
	s_wait_alu 0xfffe
	s_cmp_lg_u32 s0, 0
	s_add_co_ci_u32 s55, s55, s59
	s_wait_alu 0xfffe
	s_mul_u64 s[56:57], s[56:57], s[54:55]
	s_wait_alu 0xfffe
	s_mul_hi_u32 s59, s54, s57
	s_mul_i32 s58, s54, s57
	s_mul_hi_u32 s14, s54, s56
	s_mul_i32 s51, s55, s56
	s_wait_alu 0xfffe
	s_add_nc_u64 s[58:59], s[14:15], s[58:59]
	s_mul_hi_u32 s0, s55, s56
	s_mul_hi_u32 s60, s55, s57
	s_wait_alu 0xfffe
	s_add_co_u32 s14, s58, s51
	s_add_co_ci_u32 s14, s59, s0
	s_mul_i32 s56, s55, s57
	s_add_co_ci_u32 s57, s60, 0
	s_wait_alu 0xfffe
	s_add_nc_u64 s[56:57], s[14:15], s[56:57]
	s_wait_alu 0xfffe
	s_add_co_u32 s0, s54, s56
	s_cselect_b32 s14, -1, 0
	s_wait_alu 0xfffe
	v_mul_hi_u32 v26, v24, s0
	s_cmp_lg_u32 s14, 0
	v_mad_co_u64_u32 v[16:17], null, v25, s0, 0
	s_add_co_ci_u32 s14, s55, s57
	s_wait_alu 0xfffe
	v_mad_co_u64_u32 v[14:15], null, v24, s14, 0
	v_mad_co_u64_u32 v[18:19], null, v25, s14, 0
	s_delay_alu instid0(VALU_DEP_2) | instskip(SKIP_1) | instid1(VALU_DEP_3)
	v_add_co_u32 v14, vcc_lo, v26, v14
	s_wait_alu 0xfffd
	v_add_co_ci_u32_e64 v15, null, 0, v15, vcc_lo
	s_delay_alu instid0(VALU_DEP_2) | instskip(SKIP_1) | instid1(VALU_DEP_2)
	v_add_co_u32 v14, vcc_lo, v14, v16
	s_wait_alu 0xfffd
	v_add_co_ci_u32_e32 v14, vcc_lo, v15, v17, vcc_lo
	s_wait_alu 0xfffd
	v_add_co_ci_u32_e32 v15, vcc_lo, 0, v19, vcc_lo
	s_delay_alu instid0(VALU_DEP_2) | instskip(SKIP_1) | instid1(VALU_DEP_2)
	v_add_co_u32 v16, vcc_lo, v14, v18
	s_wait_alu 0xfffd
	v_add_co_ci_u32_e64 v17, null, 0, v15, vcc_lo
	s_delay_alu instid0(VALU_DEP_2) | instskip(SKIP_1) | instid1(VALU_DEP_3)
	v_mul_lo_u32 v18, s53, v16
	v_mad_co_u64_u32 v[14:15], null, s52, v16, 0
	v_mul_lo_u32 v19, s52, v17
	s_delay_alu instid0(VALU_DEP_2) | instskip(NEXT) | instid1(VALU_DEP_2)
	v_sub_co_u32 v14, vcc_lo, v24, v14
	v_add3_u32 v15, v15, v19, v18
	v_add_co_u32 v19, s0, v16, 2
	s_wait_alu 0xf1ff
	v_add_co_ci_u32_e64 v24, null, 0, v17, s0
	s_delay_alu instid0(VALU_DEP_3) | instskip(SKIP_3) | instid1(VALU_DEP_3)
	v_sub_nc_u32_e32 v18, v25, v15
	v_sub_co_u32 v26, s0, v14, s52
	s_wait_alu 0xfffd
	v_sub_co_ci_u32_e64 v15, null, v25, v15, vcc_lo
	v_subrev_co_ci_u32_e64 v18, null, s53, v18, vcc_lo
	s_delay_alu instid0(VALU_DEP_3) | instskip(SKIP_1) | instid1(VALU_DEP_2)
	v_cmp_le_u32_e32 vcc_lo, s52, v26
	s_wait_alu 0xf1ff
	v_subrev_co_ci_u32_e64 v18, null, 0, v18, s0
	s_wait_alu 0xfffd
	v_cndmask_b32_e64 v25, 0, -1, vcc_lo
	s_delay_alu instid0(VALU_DEP_2)
	v_cmp_le_u32_e32 vcc_lo, s53, v18
	s_wait_alu 0xfffd
	v_cndmask_b32_e64 v26, 0, -1, vcc_lo
	v_cmp_le_u32_e32 vcc_lo, s52, v14
	s_wait_alu 0xfffd
	v_cndmask_b32_e64 v14, 0, -1, vcc_lo
	;; [unrolled: 3-line block ×3, first 2 shown]
	v_cmp_eq_u32_e32 vcc_lo, s53, v18
	s_wait_alu 0xfffd
	v_cndmask_b32_e32 v18, v26, v25, vcc_lo
	v_add_co_u32 v25, vcc_lo, v16, 1
	s_wait_alu 0xfffd
	v_add_co_ci_u32_e64 v26, null, 0, v17, vcc_lo
	v_cmp_eq_u32_e32 vcc_lo, s53, v15
	s_wait_alu 0xfffd
	v_cndmask_b32_e32 v14, v27, v14, vcc_lo
	v_cmp_ne_u32_e32 vcc_lo, 0, v18
	s_wait_alu 0xfffd
	v_cndmask_b32_e32 v15, v26, v24, vcc_lo
	s_delay_alu instid0(VALU_DEP_3) | instskip(SKIP_2) | instid1(VALU_DEP_2)
	v_cmp_ne_u32_e64 s0, 0, v14
	v_cndmask_b32_e32 v14, v25, v19, vcc_lo
	s_wait_alu 0xf1ff
	v_cndmask_b32_e64 v15, v17, v15, s0
	s_delay_alu instid0(VALU_DEP_2) | instskip(NEXT) | instid1(VALU_DEP_2)
	v_cndmask_b32_e64 v14, v16, v14, s0
	v_xor_b32_e32 v15, v15, v3
	s_delay_alu instid0(VALU_DEP_2) | instskip(NEXT) | instid1(VALU_DEP_1)
	v_xor_b32_e32 v14, v14, v3
	v_sub_co_u32 v14, vcc_lo, v14, v3
	s_wait_alu 0xfffd
	s_delay_alu instid0(VALU_DEP_3)
	v_sub_co_ci_u32_e64 v15, null, v15, v3, vcc_lo
.LBB10_28:                              ;   in Loop: Header=BB10_22 Depth=2
	s_wait_alu 0xfffe
	s_and_not1_saveexec_b32 s0, s1
	s_cbranch_execz .LBB10_30
; %bb.29:                               ;   in Loop: Header=BB10_22 Depth=2
	v_cvt_f32_u32_e32 v3, s48
	s_sub_co_i32 s1, 0, s48
	s_delay_alu instid0(VALU_DEP_1) | instskip(NEXT) | instid1(TRANS32_DEP_1)
	v_rcp_iflag_f32_e32 v3, v3
	v_mul_f32_e32 v3, 0x4f7ffffe, v3
	s_delay_alu instid0(VALU_DEP_1) | instskip(SKIP_1) | instid1(VALU_DEP_1)
	v_cvt_u32_f32_e32 v3, v3
	s_wait_alu 0xfffe
	v_mul_lo_u32 v14, s1, v3
	s_delay_alu instid0(VALU_DEP_1) | instskip(NEXT) | instid1(VALU_DEP_1)
	v_mul_hi_u32 v14, v3, v14
	v_add_nc_u32_e32 v3, v3, v14
	s_delay_alu instid0(VALU_DEP_1) | instskip(NEXT) | instid1(VALU_DEP_1)
	v_mul_hi_u32 v3, v12, v3
	v_mul_lo_u32 v14, v3, s48
	v_add_nc_u32_e32 v15, 1, v3
	s_delay_alu instid0(VALU_DEP_2) | instskip(NEXT) | instid1(VALU_DEP_1)
	v_sub_nc_u32_e32 v14, v12, v14
	v_subrev_nc_u32_e32 v16, s48, v14
	v_cmp_le_u32_e32 vcc_lo, s48, v14
	s_wait_alu 0xfffd
	s_delay_alu instid0(VALU_DEP_2) | instskip(NEXT) | instid1(VALU_DEP_1)
	v_dual_cndmask_b32 v14, v14, v16 :: v_dual_cndmask_b32 v3, v3, v15
	v_cmp_le_u32_e32 vcc_lo, s48, v14
	s_delay_alu instid0(VALU_DEP_2) | instskip(SKIP_1) | instid1(VALU_DEP_1)
	v_add_nc_u32_e32 v15, 1, v3
	s_wait_alu 0xfffd
	v_dual_cndmask_b32 v14, v3, v15 :: v_dual_mov_b32 v15, v2
.LBB10_30:                              ;   in Loop: Header=BB10_22 Depth=2
	s_wait_alu 0xfffe
	s_or_b32 exec_lo, exec_lo, s0
	s_load_b64 s[52:53], s[40:41], 0x8
	s_load_b64 s[50:51], s[38:39], 0x10
                                        ; implicit-def: $vgpr16_vgpr17
	s_mov_b32 s0, exec_lo
	s_wait_kmcnt 0x0
	v_or_b32_e32 v3, s53, v15
	s_delay_alu instid0(VALU_DEP_1)
	v_cmpx_ne_u64_e32 0, v[2:3]
	s_wait_alu 0xfffe
	s_xor_b32 s1, exec_lo, s0
	s_cbranch_execz .LBB10_32
; %bb.31:                               ;   in Loop: Header=BB10_22 Depth=2
	s_ashr_i32 s54, s53, 31
	v_ashrrev_i32_e32 v3, 31, v15
	s_wait_alu 0xfffe
	s_mov_b32 s55, s54
	s_wait_alu 0xfffe
	s_add_nc_u64 s[56:57], s[52:53], s[54:55]
	v_add_co_u32 v16, vcc_lo, v14, v3
	s_wait_alu 0xfffe
	s_xor_b64 s[56:57], s[56:57], s[54:55]
	s_wait_alu 0xfffd
	v_add_co_ci_u32_e64 v17, null, v15, v3, vcc_lo
	s_wait_alu 0xfffe
	s_cvt_f32_u32 s0, s56
	s_cvt_f32_u32 s14, s57
	s_sub_nc_u64 s[60:61], 0, s[56:57]
	v_xor_b32_e32 v26, v16, v3
	v_xor_b32_e32 v27, v17, v3
	s_wait_alu 0xfffe
	s_fmamk_f32 s0, s14, 0x4f800000, s0
	v_xor_b32_e32 v3, s54, v3
	s_wait_alu 0xfffe
	s_delay_alu instid0(SALU_CYCLE_1) | instskip(NEXT) | instid1(TRANS32_DEP_1)
	v_s_rcp_f32 s0, s0
	s_mul_f32 s0, s0, 0x5f7ffffc
	s_wait_alu 0xfffe
	s_delay_alu instid0(SALU_CYCLE_2) | instskip(SKIP_1) | instid1(SALU_CYCLE_2)
	s_mul_f32 s14, s0, 0x2f800000
	s_wait_alu 0xfffe
	s_trunc_f32 s14, s14
	s_wait_alu 0xfffe
	s_delay_alu instid0(SALU_CYCLE_2) | instskip(SKIP_2) | instid1(SALU_CYCLE_1)
	s_fmamk_f32 s0, s14, 0xcf800000, s0
	s_cvt_u32_f32 s59, s14
	s_wait_alu 0xfffe
	s_cvt_u32_f32 s58, s0
	s_wait_alu 0xfffe
	s_delay_alu instid0(SALU_CYCLE_2) | instskip(NEXT) | instid1(SALU_CYCLE_1)
	s_mul_u64 s[66:67], s[60:61], s[58:59]
	s_mul_hi_u32 s69, s58, s67
	s_mul_i32 s68, s58, s67
	s_mul_hi_u32 s14, s58, s66
	s_mul_i32 s55, s59, s66
	s_wait_alu 0xfffe
	s_add_nc_u64 s[68:69], s[14:15], s[68:69]
	s_mul_hi_u32 s0, s59, s66
	s_mul_hi_u32 s70, s59, s67
	s_add_co_u32 s14, s68, s55
	s_wait_alu 0xfffe
	s_add_co_ci_u32 s14, s69, s0
	s_mul_i32 s66, s59, s67
	s_add_co_ci_u32 s67, s70, 0
	s_wait_alu 0xfffe
	s_add_nc_u64 s[66:67], s[14:15], s[66:67]
	s_delay_alu instid0(SALU_CYCLE_1)
	s_add_co_u32 s58, s58, s66
	s_cselect_b32 s0, -1, 0
	s_wait_alu 0xfffe
	s_cmp_lg_u32 s0, 0
	s_add_co_ci_u32 s59, s59, s67
	s_wait_alu 0xfffe
	s_mul_u64 s[60:61], s[60:61], s[58:59]
	s_wait_alu 0xfffe
	s_mul_hi_u32 s67, s58, s61
	s_mul_i32 s66, s58, s61
	s_mul_hi_u32 s14, s58, s60
	s_mul_i32 s55, s59, s60
	s_wait_alu 0xfffe
	s_add_nc_u64 s[66:67], s[14:15], s[66:67]
	s_mul_hi_u32 s0, s59, s60
	s_mul_hi_u32 s68, s59, s61
	s_add_co_u32 s14, s66, s55
	s_wait_alu 0xfffe
	s_add_co_ci_u32 s14, s67, s0
	s_mul_i32 s60, s59, s61
	s_add_co_ci_u32 s61, s68, 0
	s_wait_alu 0xfffe
	s_add_nc_u64 s[60:61], s[14:15], s[60:61]
	s_wait_alu 0xfffe
	s_add_co_u32 s0, s58, s60
	s_cselect_b32 s14, -1, 0
	s_wait_alu 0xfffe
	v_mul_hi_u32 v28, v26, s0
	s_cmp_lg_u32 s14, 0
	v_mad_co_u64_u32 v[18:19], null, v27, s0, 0
	s_add_co_ci_u32 s14, s59, s61
	s_wait_alu 0xfffe
	v_mad_co_u64_u32 v[16:17], null, v26, s14, 0
	v_mad_co_u64_u32 v[24:25], null, v27, s14, 0
	s_delay_alu instid0(VALU_DEP_2) | instskip(SKIP_1) | instid1(VALU_DEP_3)
	v_add_co_u32 v16, vcc_lo, v28, v16
	s_wait_alu 0xfffd
	v_add_co_ci_u32_e64 v17, null, 0, v17, vcc_lo
	s_delay_alu instid0(VALU_DEP_2) | instskip(SKIP_1) | instid1(VALU_DEP_2)
	v_add_co_u32 v16, vcc_lo, v16, v18
	s_wait_alu 0xfffd
	v_add_co_ci_u32_e32 v16, vcc_lo, v17, v19, vcc_lo
	s_wait_alu 0xfffd
	v_add_co_ci_u32_e32 v17, vcc_lo, 0, v25, vcc_lo
	s_delay_alu instid0(VALU_DEP_2) | instskip(SKIP_1) | instid1(VALU_DEP_2)
	v_add_co_u32 v18, vcc_lo, v16, v24
	s_wait_alu 0xfffd
	v_add_co_ci_u32_e64 v19, null, 0, v17, vcc_lo
	s_delay_alu instid0(VALU_DEP_2) | instskip(SKIP_1) | instid1(VALU_DEP_3)
	v_mul_lo_u32 v24, s57, v18
	v_mad_co_u64_u32 v[16:17], null, s56, v18, 0
	v_mul_lo_u32 v25, s56, v19
	s_delay_alu instid0(VALU_DEP_2) | instskip(NEXT) | instid1(VALU_DEP_2)
	v_sub_co_u32 v16, vcc_lo, v26, v16
	v_add3_u32 v17, v17, v25, v24
	v_add_co_u32 v25, s0, v18, 2
	s_wait_alu 0xf1ff
	v_add_co_ci_u32_e64 v26, null, 0, v19, s0
	s_delay_alu instid0(VALU_DEP_3) | instskip(SKIP_3) | instid1(VALU_DEP_3)
	v_sub_nc_u32_e32 v24, v27, v17
	v_sub_co_u32 v28, s0, v16, s56
	s_wait_alu 0xfffd
	v_sub_co_ci_u32_e64 v17, null, v27, v17, vcc_lo
	v_subrev_co_ci_u32_e64 v24, null, s57, v24, vcc_lo
	s_delay_alu instid0(VALU_DEP_3) | instskip(SKIP_1) | instid1(VALU_DEP_2)
	v_cmp_le_u32_e32 vcc_lo, s56, v28
	s_wait_alu 0xf1ff
	v_subrev_co_ci_u32_e64 v24, null, 0, v24, s0
	s_wait_alu 0xfffd
	v_cndmask_b32_e64 v27, 0, -1, vcc_lo
	s_delay_alu instid0(VALU_DEP_2)
	v_cmp_le_u32_e32 vcc_lo, s57, v24
	s_wait_alu 0xfffd
	v_cndmask_b32_e64 v28, 0, -1, vcc_lo
	v_cmp_le_u32_e32 vcc_lo, s56, v16
	s_wait_alu 0xfffd
	v_cndmask_b32_e64 v16, 0, -1, vcc_lo
	;; [unrolled: 3-line block ×3, first 2 shown]
	v_cmp_eq_u32_e32 vcc_lo, s57, v24
	s_wait_alu 0xfffd
	v_cndmask_b32_e32 v24, v28, v27, vcc_lo
	v_add_co_u32 v27, vcc_lo, v18, 1
	s_wait_alu 0xfffd
	v_add_co_ci_u32_e64 v28, null, 0, v19, vcc_lo
	v_cmp_eq_u32_e32 vcc_lo, s57, v17
	s_wait_alu 0xfffd
	v_cndmask_b32_e32 v16, v29, v16, vcc_lo
	v_cmp_ne_u32_e32 vcc_lo, 0, v24
	s_wait_alu 0xfffd
	v_cndmask_b32_e32 v17, v28, v26, vcc_lo
	s_delay_alu instid0(VALU_DEP_3) | instskip(SKIP_2) | instid1(VALU_DEP_2)
	v_cmp_ne_u32_e64 s0, 0, v16
	v_cndmask_b32_e32 v16, v27, v25, vcc_lo
	s_wait_alu 0xf1ff
	v_cndmask_b32_e64 v17, v19, v17, s0
	s_delay_alu instid0(VALU_DEP_2) | instskip(NEXT) | instid1(VALU_DEP_2)
	v_cndmask_b32_e64 v16, v18, v16, s0
	v_xor_b32_e32 v17, v17, v3
	s_delay_alu instid0(VALU_DEP_2) | instskip(NEXT) | instid1(VALU_DEP_1)
	v_xor_b32_e32 v16, v16, v3
	v_sub_co_u32 v16, vcc_lo, v16, v3
	s_wait_alu 0xfffd
	s_delay_alu instid0(VALU_DEP_3)
	v_sub_co_ci_u32_e64 v17, null, v17, v3, vcc_lo
.LBB10_32:                              ;   in Loop: Header=BB10_22 Depth=2
	s_wait_alu 0xfffe
	s_and_not1_saveexec_b32 s0, s1
	s_cbranch_execz .LBB10_34
; %bb.33:                               ;   in Loop: Header=BB10_22 Depth=2
	v_cvt_f32_u32_e32 v3, s52
	s_sub_co_i32 s1, 0, s52
	s_delay_alu instid0(VALU_DEP_1) | instskip(NEXT) | instid1(TRANS32_DEP_1)
	v_rcp_iflag_f32_e32 v3, v3
	v_mul_f32_e32 v3, 0x4f7ffffe, v3
	s_delay_alu instid0(VALU_DEP_1) | instskip(SKIP_1) | instid1(VALU_DEP_1)
	v_cvt_u32_f32_e32 v3, v3
	s_wait_alu 0xfffe
	v_mul_lo_u32 v16, s1, v3
	s_delay_alu instid0(VALU_DEP_1) | instskip(NEXT) | instid1(VALU_DEP_1)
	v_mul_hi_u32 v16, v3, v16
	v_add_nc_u32_e32 v3, v3, v16
	s_delay_alu instid0(VALU_DEP_1) | instskip(NEXT) | instid1(VALU_DEP_1)
	v_mul_hi_u32 v3, v14, v3
	v_mul_lo_u32 v16, v3, s52
	v_add_nc_u32_e32 v17, 1, v3
	s_delay_alu instid0(VALU_DEP_2) | instskip(NEXT) | instid1(VALU_DEP_1)
	v_sub_nc_u32_e32 v16, v14, v16
	v_subrev_nc_u32_e32 v18, s52, v16
	v_cmp_le_u32_e32 vcc_lo, s52, v16
	s_wait_alu 0xfffd
	s_delay_alu instid0(VALU_DEP_2) | instskip(NEXT) | instid1(VALU_DEP_1)
	v_dual_cndmask_b32 v16, v16, v18 :: v_dual_cndmask_b32 v3, v3, v17
	v_cmp_le_u32_e32 vcc_lo, s52, v16
	s_delay_alu instid0(VALU_DEP_2) | instskip(SKIP_1) | instid1(VALU_DEP_1)
	v_add_nc_u32_e32 v17, 1, v3
	s_wait_alu 0xfffd
	v_dual_cndmask_b32 v16, v3, v17 :: v_dual_mov_b32 v17, v2
.LBB10_34:                              ;   in Loop: Header=BB10_22 Depth=2
	s_wait_alu 0xfffe
	s_or_b32 exec_lo, exec_lo, s0
	s_load_b64 s[56:57], s[40:41], 0x0
	s_load_b64 s[54:55], s[38:39], 0x8
                                        ; implicit-def: $vgpr18_vgpr19
	s_mov_b32 s0, exec_lo
	s_wait_kmcnt 0x0
	v_or_b32_e32 v3, s57, v17
	s_delay_alu instid0(VALU_DEP_1)
	v_cmpx_ne_u64_e32 0, v[2:3]
	s_wait_alu 0xfffe
	s_xor_b32 s1, exec_lo, s0
	s_cbranch_execz .LBB10_36
; %bb.35:                               ;   in Loop: Header=BB10_22 Depth=2
	s_ashr_i32 s58, s57, 31
	v_ashrrev_i32_e32 v3, 31, v17
	s_wait_alu 0xfffe
	s_mov_b32 s59, s58
	s_wait_alu 0xfffe
	s_add_nc_u64 s[60:61], s[56:57], s[58:59]
	v_add_co_u32 v18, vcc_lo, v16, v3
	s_wait_alu 0xfffe
	s_xor_b64 s[60:61], s[60:61], s[58:59]
	s_wait_alu 0xfffd
	v_add_co_ci_u32_e64 v19, null, v17, v3, vcc_lo
	s_wait_alu 0xfffe
	s_cvt_f32_u32 s0, s60
	s_cvt_f32_u32 s14, s61
	s_sub_nc_u64 s[68:69], 0, s[60:61]
	v_xor_b32_e32 v28, v18, v3
	v_xor_b32_e32 v29, v19, v3
	s_wait_alu 0xfffe
	s_fmamk_f32 s0, s14, 0x4f800000, s0
	v_xor_b32_e32 v3, s58, v3
	s_wait_alu 0xfffe
	s_delay_alu instid0(SALU_CYCLE_1) | instskip(NEXT) | instid1(TRANS32_DEP_1)
	v_s_rcp_f32 s0, s0
	s_mul_f32 s0, s0, 0x5f7ffffc
	s_wait_alu 0xfffe
	s_delay_alu instid0(SALU_CYCLE_2) | instskip(SKIP_1) | instid1(SALU_CYCLE_2)
	s_mul_f32 s14, s0, 0x2f800000
	s_wait_alu 0xfffe
	s_trunc_f32 s14, s14
	s_wait_alu 0xfffe
	s_delay_alu instid0(SALU_CYCLE_2) | instskip(SKIP_2) | instid1(SALU_CYCLE_1)
	s_fmamk_f32 s0, s14, 0xcf800000, s0
	s_cvt_u32_f32 s67, s14
	s_wait_alu 0xfffe
	s_cvt_u32_f32 s66, s0
	s_delay_alu instid0(SALU_CYCLE_3) | instskip(NEXT) | instid1(SALU_CYCLE_1)
	s_mul_u64 s[70:71], s[68:69], s[66:67]
	s_mul_hi_u32 s73, s66, s71
	s_mul_i32 s72, s66, s71
	s_mul_hi_u32 s14, s66, s70
	s_mul_i32 s59, s67, s70
	s_wait_alu 0xfffe
	s_add_nc_u64 s[72:73], s[14:15], s[72:73]
	s_mul_hi_u32 s0, s67, s70
	s_mul_hi_u32 s74, s67, s71
	s_add_co_u32 s14, s72, s59
	s_wait_alu 0xfffe
	s_add_co_ci_u32 s14, s73, s0
	s_mul_i32 s70, s67, s71
	s_add_co_ci_u32 s71, s74, 0
	s_wait_alu 0xfffe
	s_add_nc_u64 s[70:71], s[14:15], s[70:71]
	s_delay_alu instid0(SALU_CYCLE_1) | instskip(SKIP_4) | instid1(SALU_CYCLE_1)
	s_add_co_u32 s66, s66, s70
	s_cselect_b32 s0, -1, 0
	s_wait_alu 0xfffe
	s_cmp_lg_u32 s0, 0
	s_add_co_ci_u32 s67, s67, s71
	s_mul_u64 s[68:69], s[68:69], s[66:67]
	s_delay_alu instid0(SALU_CYCLE_1)
	s_mul_hi_u32 s71, s66, s69
	s_mul_i32 s70, s66, s69
	s_mul_hi_u32 s14, s66, s68
	s_mul_i32 s59, s67, s68
	s_wait_alu 0xfffe
	s_add_nc_u64 s[70:71], s[14:15], s[70:71]
	s_mul_hi_u32 s0, s67, s68
	s_mul_hi_u32 s72, s67, s69
	s_add_co_u32 s14, s70, s59
	s_wait_alu 0xfffe
	s_add_co_ci_u32 s14, s71, s0
	s_mul_i32 s68, s67, s69
	s_add_co_ci_u32 s69, s72, 0
	s_wait_alu 0xfffe
	s_add_nc_u64 s[68:69], s[14:15], s[68:69]
	s_delay_alu instid0(SALU_CYCLE_1)
	s_add_co_u32 s0, s66, s68
	s_cselect_b32 s14, -1, 0
	s_wait_alu 0xfffe
	v_mul_hi_u32 v30, v28, s0
	s_cmp_lg_u32 s14, 0
	v_mad_co_u64_u32 v[24:25], null, v29, s0, 0
	s_add_co_ci_u32 s14, s67, s69
	s_wait_alu 0xfffe
	v_mad_co_u64_u32 v[18:19], null, v28, s14, 0
	v_mad_co_u64_u32 v[26:27], null, v29, s14, 0
	s_delay_alu instid0(VALU_DEP_2) | instskip(SKIP_1) | instid1(VALU_DEP_3)
	v_add_co_u32 v18, vcc_lo, v30, v18
	s_wait_alu 0xfffd
	v_add_co_ci_u32_e64 v19, null, 0, v19, vcc_lo
	s_delay_alu instid0(VALU_DEP_2) | instskip(SKIP_1) | instid1(VALU_DEP_2)
	v_add_co_u32 v18, vcc_lo, v18, v24
	s_wait_alu 0xfffd
	v_add_co_ci_u32_e32 v18, vcc_lo, v19, v25, vcc_lo
	s_wait_alu 0xfffd
	v_add_co_ci_u32_e32 v19, vcc_lo, 0, v27, vcc_lo
	s_delay_alu instid0(VALU_DEP_2) | instskip(SKIP_1) | instid1(VALU_DEP_2)
	v_add_co_u32 v24, vcc_lo, v18, v26
	s_wait_alu 0xfffd
	v_add_co_ci_u32_e64 v25, null, 0, v19, vcc_lo
	s_delay_alu instid0(VALU_DEP_2) | instskip(SKIP_1) | instid1(VALU_DEP_3)
	v_mul_lo_u32 v26, s61, v24
	v_mad_co_u64_u32 v[18:19], null, s60, v24, 0
	v_mul_lo_u32 v27, s60, v25
	s_delay_alu instid0(VALU_DEP_2) | instskip(NEXT) | instid1(VALU_DEP_2)
	v_sub_co_u32 v18, vcc_lo, v28, v18
	v_add3_u32 v19, v19, v27, v26
	v_add_co_u32 v27, s0, v24, 2
	s_wait_alu 0xf1ff
	v_add_co_ci_u32_e64 v28, null, 0, v25, s0
	s_delay_alu instid0(VALU_DEP_3) | instskip(SKIP_3) | instid1(VALU_DEP_3)
	v_sub_nc_u32_e32 v26, v29, v19
	v_sub_co_u32 v30, s0, v18, s60
	s_wait_alu 0xfffd
	v_sub_co_ci_u32_e64 v19, null, v29, v19, vcc_lo
	v_subrev_co_ci_u32_e64 v26, null, s61, v26, vcc_lo
	s_delay_alu instid0(VALU_DEP_3) | instskip(SKIP_1) | instid1(VALU_DEP_2)
	v_cmp_le_u32_e32 vcc_lo, s60, v30
	s_wait_alu 0xf1ff
	v_subrev_co_ci_u32_e64 v26, null, 0, v26, s0
	s_wait_alu 0xfffd
	v_cndmask_b32_e64 v29, 0, -1, vcc_lo
	s_delay_alu instid0(VALU_DEP_2)
	v_cmp_le_u32_e32 vcc_lo, s61, v26
	s_wait_alu 0xfffd
	v_cndmask_b32_e64 v30, 0, -1, vcc_lo
	v_cmp_le_u32_e32 vcc_lo, s60, v18
	s_wait_alu 0xfffd
	v_cndmask_b32_e64 v18, 0, -1, vcc_lo
	v_cmp_le_u32_e32 vcc_lo, s61, v19
	s_wait_alu 0xfffd
	v_cndmask_b32_e64 v31, 0, -1, vcc_lo
	v_cmp_eq_u32_e32 vcc_lo, s61, v26
	s_wait_alu 0xfffd
	v_cndmask_b32_e32 v26, v30, v29, vcc_lo
	v_add_co_u32 v29, vcc_lo, v24, 1
	s_wait_alu 0xfffd
	v_add_co_ci_u32_e64 v30, null, 0, v25, vcc_lo
	v_cmp_eq_u32_e32 vcc_lo, s61, v19
	s_wait_alu 0xfffd
	v_cndmask_b32_e32 v18, v31, v18, vcc_lo
	v_cmp_ne_u32_e32 vcc_lo, 0, v26
	s_wait_alu 0xfffd
	v_cndmask_b32_e32 v19, v30, v28, vcc_lo
	s_delay_alu instid0(VALU_DEP_3) | instskip(SKIP_2) | instid1(VALU_DEP_2)
	v_cmp_ne_u32_e64 s0, 0, v18
	v_cndmask_b32_e32 v18, v29, v27, vcc_lo
	s_wait_alu 0xf1ff
	v_cndmask_b32_e64 v19, v25, v19, s0
	s_delay_alu instid0(VALU_DEP_2) | instskip(NEXT) | instid1(VALU_DEP_2)
	v_cndmask_b32_e64 v18, v24, v18, s0
	v_xor_b32_e32 v19, v19, v3
	s_delay_alu instid0(VALU_DEP_2) | instskip(NEXT) | instid1(VALU_DEP_1)
	v_xor_b32_e32 v18, v18, v3
	v_sub_co_u32 v18, vcc_lo, v18, v3
	s_wait_alu 0xfffd
	s_delay_alu instid0(VALU_DEP_3)
	v_sub_co_ci_u32_e64 v19, null, v19, v3, vcc_lo
.LBB10_36:                              ;   in Loop: Header=BB10_22 Depth=2
	s_wait_alu 0xfffe
	s_and_not1_saveexec_b32 s0, s1
	s_cbranch_execz .LBB10_21
; %bb.37:                               ;   in Loop: Header=BB10_22 Depth=2
	v_cvt_f32_u32_e32 v3, s56
	s_sub_co_i32 s1, 0, s56
	s_delay_alu instid0(VALU_DEP_1) | instskip(NEXT) | instid1(TRANS32_DEP_1)
	v_rcp_iflag_f32_e32 v3, v3
	v_mul_f32_e32 v3, 0x4f7ffffe, v3
	s_delay_alu instid0(VALU_DEP_1) | instskip(SKIP_1) | instid1(VALU_DEP_1)
	v_cvt_u32_f32_e32 v3, v3
	s_wait_alu 0xfffe
	v_mul_lo_u32 v18, s1, v3
	s_delay_alu instid0(VALU_DEP_1) | instskip(NEXT) | instid1(VALU_DEP_1)
	v_mul_hi_u32 v18, v3, v18
	v_add_nc_u32_e32 v3, v3, v18
	s_delay_alu instid0(VALU_DEP_1) | instskip(NEXT) | instid1(VALU_DEP_1)
	v_mul_hi_u32 v3, v16, v3
	v_mul_lo_u32 v18, v3, s56
	v_add_nc_u32_e32 v19, 1, v3
	s_delay_alu instid0(VALU_DEP_2) | instskip(NEXT) | instid1(VALU_DEP_1)
	v_sub_nc_u32_e32 v18, v16, v18
	v_subrev_nc_u32_e32 v24, s56, v18
	v_cmp_le_u32_e32 vcc_lo, s56, v18
	s_wait_alu 0xfffd
	s_delay_alu instid0(VALU_DEP_2) | instskip(NEXT) | instid1(VALU_DEP_1)
	v_dual_cndmask_b32 v18, v18, v24 :: v_dual_cndmask_b32 v3, v3, v19
	v_cmp_le_u32_e32 vcc_lo, s56, v18
	s_delay_alu instid0(VALU_DEP_2) | instskip(SKIP_1) | instid1(VALU_DEP_1)
	v_add_nc_u32_e32 v19, 1, v3
	s_wait_alu 0xfffd
	v_dual_cndmask_b32 v18, v3, v19 :: v_dual_mov_b32 v19, v2
	s_branch .LBB10_21
.LBB10_38:                              ;   in Loop: Header=BB10_3 Depth=1
	s_load_b64 s[38:39], s[24:25], 0x0
	s_wait_kmcnt 0x0
	v_cmp_gt_i64_e32 vcc_lo, s[38:39], v[4:5]
	s_and_b32 exec_lo, exec_lo, vcc_lo
	s_cbranch_execz .LBB10_2
; %bb.39:                               ;   in Loop: Header=BB10_3 Depth=1
	v_lshlrev_b64_e32 v[8:9], 2, v[10:11]
	v_cmp_lt_i64_e32 vcc_lo, s[4:5], v[6:7]
	s_delay_alu instid0(VALU_DEP_2) | instskip(SKIP_1) | instid1(VALU_DEP_3)
	v_add_co_u32 v6, s0, s10, v8
	s_wait_alu 0xf1ff
	v_add_co_ci_u32_e64 v7, null, s11, v9, s0
	s_and_saveexec_b32 s0, vcc_lo
	s_cbranch_execz .LBB10_41
; %bb.40:                               ;   in Loop: Header=BB10_3 Depth=1
	global_store_b32 v[6:7], v2, off
.LBB10_41:                              ;   in Loop: Header=BB10_3 Depth=1
	s_wait_alu 0xfffe
	s_or_b32 exec_lo, exec_lo, s0
	v_add_co_u32 v3, vcc_lo, v4, 1
	s_wait_alu 0xfffd
	v_add_co_ci_u32_e64 v4, null, 0, v5, vcc_lo
	s_delay_alu instid0(VALU_DEP_2) | instskip(SKIP_1) | instid1(VALU_DEP_2)
	v_sub_co_u32 v8, vcc_lo, v3, v22
	s_wait_alu 0xfffd
	v_sub_co_ci_u32_e64 v9, null, v4, v23, vcc_lo
	v_cmp_gt_i64_e32 vcc_lo, s[38:39], v[3:4]
	s_delay_alu instid0(VALU_DEP_2)
	v_cmp_lt_i64_e64 s0, s[4:5], v[8:9]
	s_and_b32 s0, vcc_lo, s0
	s_wait_alu 0xfffe
	s_and_b32 exec_lo, exec_lo, s0
	s_cbranch_execz .LBB10_2
; %bb.42:                               ;   in Loop: Header=BB10_3 Depth=1
	s_lshl_b64 s[0:1], s[2:3], 2
	s_wait_alu 0xfffe
	v_add_co_u32 v3, vcc_lo, v6, s0
	s_wait_alu 0xfffd
	v_add_co_ci_u32_e64 v4, null, s1, v7, vcc_lo
	global_store_b32 v[3:4], v2, off
	s_branch .LBB10_2
.LBB10_43:
	s_endpgm
	.section	.rodata,"a",@progbits
	.p2align	6, 0x0
	.amdhsa_kernel _ZN2at6native16triu_tril_kernelIilLb0ELi2ELb1EEEvNS_4cuda6detail10TensorInfoIT_T0_EENS4_IKS5_S6_EEllS6_
		.amdhsa_group_segment_fixed_size 0
		.amdhsa_private_segment_fixed_size 0
		.amdhsa_kernarg_size 1112
		.amdhsa_user_sgpr_count 2
		.amdhsa_user_sgpr_dispatch_ptr 0
		.amdhsa_user_sgpr_queue_ptr 0
		.amdhsa_user_sgpr_kernarg_segment_ptr 1
		.amdhsa_user_sgpr_dispatch_id 0
		.amdhsa_user_sgpr_private_segment_size 0
		.amdhsa_wavefront_size32 1
		.amdhsa_uses_dynamic_stack 0
		.amdhsa_enable_private_segment 0
		.amdhsa_system_sgpr_workgroup_id_x 1
		.amdhsa_system_sgpr_workgroup_id_y 0
		.amdhsa_system_sgpr_workgroup_id_z 0
		.amdhsa_system_sgpr_workgroup_info 0
		.amdhsa_system_vgpr_workitem_id 0
		.amdhsa_next_free_vgpr 32
		.amdhsa_next_free_sgpr 75
		.amdhsa_reserve_vcc 1
		.amdhsa_float_round_mode_32 0
		.amdhsa_float_round_mode_16_64 0
		.amdhsa_float_denorm_mode_32 3
		.amdhsa_float_denorm_mode_16_64 3
		.amdhsa_fp16_overflow 0
		.amdhsa_workgroup_processor_mode 1
		.amdhsa_memory_ordered 1
		.amdhsa_forward_progress 1
		.amdhsa_inst_pref_size 66
		.amdhsa_round_robin_scheduling 0
		.amdhsa_exception_fp_ieee_invalid_op 0
		.amdhsa_exception_fp_denorm_src 0
		.amdhsa_exception_fp_ieee_div_zero 0
		.amdhsa_exception_fp_ieee_overflow 0
		.amdhsa_exception_fp_ieee_underflow 0
		.amdhsa_exception_fp_ieee_inexact 0
		.amdhsa_exception_int_div_zero 0
	.end_amdhsa_kernel
	.section	.text._ZN2at6native16triu_tril_kernelIilLb0ELi2ELb1EEEvNS_4cuda6detail10TensorInfoIT_T0_EENS4_IKS5_S6_EEllS6_,"axG",@progbits,_ZN2at6native16triu_tril_kernelIilLb0ELi2ELb1EEEvNS_4cuda6detail10TensorInfoIT_T0_EENS4_IKS5_S6_EEllS6_,comdat
.Lfunc_end10:
	.size	_ZN2at6native16triu_tril_kernelIilLb0ELi2ELb1EEEvNS_4cuda6detail10TensorInfoIT_T0_EENS4_IKS5_S6_EEllS6_, .Lfunc_end10-_ZN2at6native16triu_tril_kernelIilLb0ELi2ELb1EEEvNS_4cuda6detail10TensorInfoIT_T0_EENS4_IKS5_S6_EEllS6_
                                        ; -- End function
	.set _ZN2at6native16triu_tril_kernelIilLb0ELi2ELb1EEEvNS_4cuda6detail10TensorInfoIT_T0_EENS4_IKS5_S6_EEllS6_.num_vgpr, 32
	.set _ZN2at6native16triu_tril_kernelIilLb0ELi2ELb1EEEvNS_4cuda6detail10TensorInfoIT_T0_EENS4_IKS5_S6_EEllS6_.num_agpr, 0
	.set _ZN2at6native16triu_tril_kernelIilLb0ELi2ELb1EEEvNS_4cuda6detail10TensorInfoIT_T0_EENS4_IKS5_S6_EEllS6_.numbered_sgpr, 75
	.set _ZN2at6native16triu_tril_kernelIilLb0ELi2ELb1EEEvNS_4cuda6detail10TensorInfoIT_T0_EENS4_IKS5_S6_EEllS6_.num_named_barrier, 0
	.set _ZN2at6native16triu_tril_kernelIilLb0ELi2ELb1EEEvNS_4cuda6detail10TensorInfoIT_T0_EENS4_IKS5_S6_EEllS6_.private_seg_size, 0
	.set _ZN2at6native16triu_tril_kernelIilLb0ELi2ELb1EEEvNS_4cuda6detail10TensorInfoIT_T0_EENS4_IKS5_S6_EEllS6_.uses_vcc, 1
	.set _ZN2at6native16triu_tril_kernelIilLb0ELi2ELb1EEEvNS_4cuda6detail10TensorInfoIT_T0_EENS4_IKS5_S6_EEllS6_.uses_flat_scratch, 0
	.set _ZN2at6native16triu_tril_kernelIilLb0ELi2ELb1EEEvNS_4cuda6detail10TensorInfoIT_T0_EENS4_IKS5_S6_EEllS6_.has_dyn_sized_stack, 0
	.set _ZN2at6native16triu_tril_kernelIilLb0ELi2ELb1EEEvNS_4cuda6detail10TensorInfoIT_T0_EENS4_IKS5_S6_EEllS6_.has_recursion, 0
	.set _ZN2at6native16triu_tril_kernelIilLb0ELi2ELb1EEEvNS_4cuda6detail10TensorInfoIT_T0_EENS4_IKS5_S6_EEllS6_.has_indirect_call, 0
	.section	.AMDGPU.csdata,"",@progbits
; Kernel info:
; codeLenInByte = 8364
; TotalNumSgprs: 77
; NumVgprs: 32
; ScratchSize: 0
; MemoryBound: 0
; FloatMode: 240
; IeeeMode: 1
; LDSByteSize: 0 bytes/workgroup (compile time only)
; SGPRBlocks: 0
; VGPRBlocks: 3
; NumSGPRsForWavesPerEU: 77
; NumVGPRsForWavesPerEU: 32
; Occupancy: 16
; WaveLimiterHint : 0
; COMPUTE_PGM_RSRC2:SCRATCH_EN: 0
; COMPUTE_PGM_RSRC2:USER_SGPR: 2
; COMPUTE_PGM_RSRC2:TRAP_HANDLER: 0
; COMPUTE_PGM_RSRC2:TGID_X_EN: 1
; COMPUTE_PGM_RSRC2:TGID_Y_EN: 0
; COMPUTE_PGM_RSRC2:TGID_Z_EN: 0
; COMPUTE_PGM_RSRC2:TIDIG_COMP_CNT: 0
	.section	.text._ZN2at6native16triu_tril_kernelIilLb0ELi2ELb0EEEvNS_4cuda6detail10TensorInfoIT_T0_EENS4_IKS5_S6_EEllS6_,"axG",@progbits,_ZN2at6native16triu_tril_kernelIilLb0ELi2ELb0EEEvNS_4cuda6detail10TensorInfoIT_T0_EENS4_IKS5_S6_EEllS6_,comdat
	.protected	_ZN2at6native16triu_tril_kernelIilLb0ELi2ELb0EEEvNS_4cuda6detail10TensorInfoIT_T0_EENS4_IKS5_S6_EEllS6_ ; -- Begin function _ZN2at6native16triu_tril_kernelIilLb0ELi2ELb0EEEvNS_4cuda6detail10TensorInfoIT_T0_EENS4_IKS5_S6_EEllS6_
	.globl	_ZN2at6native16triu_tril_kernelIilLb0ELi2ELb0EEEvNS_4cuda6detail10TensorInfoIT_T0_EENS4_IKS5_S6_EEllS6_
	.p2align	8
	.type	_ZN2at6native16triu_tril_kernelIilLb0ELi2ELb0EEEvNS_4cuda6detail10TensorInfoIT_T0_EENS4_IKS5_S6_EEllS6_,@function
_ZN2at6native16triu_tril_kernelIilLb0ELi2ELb0EEEvNS_4cuda6detail10TensorInfoIT_T0_EENS4_IKS5_S6_EEllS6_: ; @_ZN2at6native16triu_tril_kernelIilLb0ELi2ELb0EEEvNS_4cuda6detail10TensorInfoIT_T0_EENS4_IKS5_S6_EEllS6_
; %bb.0:
	s_clause 0x1
	s_load_b32 s2, s[0:1], 0x364
	s_load_b128 s[4:7], s[0:1], 0x340
	v_mov_b32_e32 v2, 0
	s_delay_alu instid0(VALU_DEP_1) | instskip(SKIP_3) | instid1(VALU_DEP_1)
	v_mov_b32_e32 v1, v2
	s_wait_kmcnt 0x0
	s_and_b32 s16, s2, 0xffff
	s_mov_b32 s2, exec_lo
	v_mad_co_u64_u32 v[0:1], null, s16, ttmp9, v[0:1]
	s_delay_alu instid0(VALU_DEP_1) | instskip(NEXT) | instid1(VALU_DEP_1)
	v_lshlrev_b64_e32 v[0:1], 1, v[0:1]
	v_cmpx_gt_i64_e64 s[6:7], v[0:1]
	s_cbranch_execz .LBB11_38
; %bb.1:
	s_clause 0x1
	s_load_b32 s38, s[0:1], 0x338
	s_load_b64 s[2:3], s[0:1], 0x1a0
	s_add_nc_u64 s[20:21], s[0:1], 0x1a0
	s_load_b64 s[22:23], s[0:1], 0x350
	s_add_nc_u64 s[14:15], s[0:1], 0x358
	s_mov_b32 s27, 0
	s_mov_b32 s63, 0
	s_wait_kmcnt 0x0
	s_ashr_i32 s39, s38, 31
	s_add_co_i32 s28, s38, -3
	s_lshl_b64 s[18:19], s[38:39], 3
	s_ashr_i32 s29, s28, 31
	s_add_nc_u64 s[12:13], s[20:21], s[18:19]
	v_cmp_gt_i64_e64 s62, s[38:39], 2
	s_add_nc_u64 s[8:9], s[12:13], -8
	s_add_nc_u64 s[30:31], s[28:29], -1
	s_load_b128 s[8:11], s[8:9], 0x0
	s_load_b32 s17, s[14:15], 0x0
	s_clause 0x1
	s_load_b64 s[24:25], s[0:1], 0x0
	s_load_b128 s[12:15], s[12:13], 0xc0
	v_cvt_f32_u32_e32 v3, s22
	s_add_nc_u64 s[38:39], s[0:1], 0xc8
	s_delay_alu instid0(VALU_DEP_1)
	v_rcp_iflag_f32_e32 v3, v3
	s_wait_kmcnt 0x0
	v_cvt_f32_u32_e32 v4, s8
	s_mul_i32 s26, s17, s16
	s_add_nc_u64 s[16:17], s[0:1], s[18:19]
	s_lshl_b32 s33, s26, 1
	s_load_b128 s[16:19], s[16:17], 0xc0
	v_rcp_iflag_f32_e32 v4, v4
	s_delay_alu instid0(TRANS32_DEP_2)
	v_mul_f32_e32 v3, 0x4f7ffffe, v3
	s_bitcmp0_b32 s28, 0
	s_cselect_b32 s60, -1, 0
	s_lshl_b64 s[36:37], s[28:29], 3
	s_cmp_lg_u32 s28, 0
	s_add_nc_u64 s[34:35], s[20:21], s[36:37]
	s_add_nc_u64 s[36:37], s[0:1], s[36:37]
	s_cselect_b32 s61, -1, 0
	s_delay_alu instid0(TRANS32_DEP_1) | instskip(SKIP_2) | instid1(VALU_DEP_2)
	v_mul_f32_e32 v4, 0x4f7ffffe, v4
	v_cvt_u32_f32_e32 v16, v3
	s_ashr_i32 s40, s23, 31
	v_cvt_u32_f32_e32 v17, v4
	s_branch .LBB11_3
.LBB11_2:                               ;   in Loop: Header=BB11_3 Depth=1
	s_wait_alu 0xfffe
	s_or_b32 exec_lo, exec_lo, s0
	v_add_co_u32 v0, vcc_lo, v0, s33
	s_wait_alu 0xfffd
	v_add_co_ci_u32_e64 v1, null, 0, v1, vcc_lo
	s_delay_alu instid0(VALU_DEP_1) | instskip(SKIP_1) | instid1(SALU_CYCLE_1)
	v_cmp_le_i64_e32 vcc_lo, s[6:7], v[0:1]
	s_or_b32 s63, vcc_lo, s63
	s_and_not1_b32 exec_lo, exec_lo, s63
	s_cbranch_execz .LBB11_38
.LBB11_3:                               ; =>This Loop Header: Depth=1
                                        ;     Child Loop BB11_21 Depth 2
	v_or_b32_e32 v3, s23, v1
                                        ; implicit-def: $vgpr6_vgpr7
	s_mov_b32 s0, exec_lo
	s_delay_alu instid0(VALU_DEP_1)
	v_cmpx_ne_u64_e32 0, v[2:3]
	s_wait_alu 0xfffe
	s_xor_b32 s1, exec_lo, s0
	s_cbranch_execz .LBB11_5
; %bb.4:                                ;   in Loop: Header=BB11_3 Depth=1
	s_mov_b32 s41, s40
	v_ashrrev_i32_e32 v9, 31, v1
	s_wait_alu 0xfffe
	s_add_nc_u64 s[42:43], s[22:23], s[40:41]
	s_wait_alu 0xfffe
	s_xor_b64 s[42:43], s[42:43], s[40:41]
	v_add_co_u32 v3, vcc_lo, v0, v9
	s_wait_alu 0xfffe
	s_cvt_f32_u32 s0, s42
	s_cvt_f32_u32 s26, s43
	s_sub_nc_u64 s[46:47], 0, s[42:43]
	s_wait_alu 0xfffd
	v_add_co_ci_u32_e64 v4, null, v1, v9, vcc_lo
	s_wait_alu 0xfffe
	s_fmamk_f32 s0, s26, 0x4f800000, s0
	v_xor_b32_e32 v10, v3, v9
	s_delay_alu instid0(VALU_DEP_2) | instskip(SKIP_2) | instid1(TRANS32_DEP_1)
	v_xor_b32_e32 v11, v4, v9
	s_wait_alu 0xfffe
	v_s_rcp_f32 s0, s0
	s_mul_f32 s0, s0, 0x5f7ffffc
	s_wait_alu 0xfffe
	s_delay_alu instid0(SALU_CYCLE_2) | instskip(SKIP_1) | instid1(SALU_CYCLE_2)
	s_mul_f32 s26, s0, 0x2f800000
	s_wait_alu 0xfffe
	s_trunc_f32 s26, s26
	s_wait_alu 0xfffe
	s_delay_alu instid0(SALU_CYCLE_2) | instskip(SKIP_2) | instid1(SALU_CYCLE_1)
	s_fmamk_f32 s0, s26, 0xcf800000, s0
	s_cvt_u32_f32 s45, s26
	s_wait_alu 0xfffe
	s_cvt_u32_f32 s44, s0
	s_wait_alu 0xfffe
	s_delay_alu instid0(SALU_CYCLE_2)
	s_mul_u64 s[48:49], s[46:47], s[44:45]
	s_wait_alu 0xfffe
	s_mul_hi_u32 s51, s44, s49
	s_mul_i32 s50, s44, s49
	s_mul_hi_u32 s26, s44, s48
	s_mul_i32 s41, s45, s48
	s_wait_alu 0xfffe
	s_add_nc_u64 s[50:51], s[26:27], s[50:51]
	s_mul_hi_u32 s0, s45, s48
	s_mul_hi_u32 s52, s45, s49
	s_wait_alu 0xfffe
	s_add_co_u32 s26, s50, s41
	s_add_co_ci_u32 s26, s51, s0
	s_mul_i32 s48, s45, s49
	s_add_co_ci_u32 s49, s52, 0
	s_wait_alu 0xfffe
	s_add_nc_u64 s[48:49], s[26:27], s[48:49]
	s_wait_alu 0xfffe
	s_add_co_u32 s44, s44, s48
	s_cselect_b32 s0, -1, 0
	s_wait_alu 0xfffe
	s_cmp_lg_u32 s0, 0
	s_add_co_ci_u32 s45, s45, s49
	s_wait_alu 0xfffe
	s_mul_u64 s[46:47], s[46:47], s[44:45]
	s_wait_alu 0xfffe
	s_mul_hi_u32 s49, s44, s47
	s_mul_i32 s48, s44, s47
	s_mul_hi_u32 s26, s44, s46
	s_mul_i32 s41, s45, s46
	s_wait_alu 0xfffe
	s_add_nc_u64 s[48:49], s[26:27], s[48:49]
	s_mul_hi_u32 s0, s45, s46
	s_mul_hi_u32 s50, s45, s47
	s_wait_alu 0xfffe
	s_add_co_u32 s26, s48, s41
	s_add_co_ci_u32 s26, s49, s0
	s_mul_i32 s46, s45, s47
	s_add_co_ci_u32 s47, s50, 0
	s_wait_alu 0xfffe
	s_add_nc_u64 s[46:47], s[26:27], s[46:47]
	s_wait_alu 0xfffe
	s_add_co_u32 s0, s44, s46
	s_cselect_b32 s26, -1, 0
	s_wait_alu 0xfffe
	v_mul_hi_u32 v12, v10, s0
	s_cmp_lg_u32 s26, 0
	v_mad_co_u64_u32 v[5:6], null, v11, s0, 0
	s_add_co_ci_u32 s26, s45, s47
	s_wait_alu 0xfffe
	v_mad_co_u64_u32 v[3:4], null, v10, s26, 0
	v_mad_co_u64_u32 v[7:8], null, v11, s26, 0
	s_delay_alu instid0(VALU_DEP_2) | instskip(SKIP_1) | instid1(VALU_DEP_3)
	v_add_co_u32 v3, vcc_lo, v12, v3
	s_wait_alu 0xfffd
	v_add_co_ci_u32_e64 v4, null, 0, v4, vcc_lo
	s_delay_alu instid0(VALU_DEP_2) | instskip(SKIP_1) | instid1(VALU_DEP_2)
	v_add_co_u32 v3, vcc_lo, v3, v5
	s_wait_alu 0xfffd
	v_add_co_ci_u32_e32 v3, vcc_lo, v4, v6, vcc_lo
	s_wait_alu 0xfffd
	v_add_co_ci_u32_e32 v4, vcc_lo, 0, v8, vcc_lo
	s_delay_alu instid0(VALU_DEP_2) | instskip(SKIP_1) | instid1(VALU_DEP_2)
	v_add_co_u32 v5, vcc_lo, v3, v7
	s_wait_alu 0xfffd
	v_add_co_ci_u32_e64 v6, null, 0, v4, vcc_lo
	s_delay_alu instid0(VALU_DEP_2) | instskip(SKIP_1) | instid1(VALU_DEP_3)
	v_mul_lo_u32 v7, s43, v5
	v_mad_co_u64_u32 v[3:4], null, s42, v5, 0
	v_mul_lo_u32 v8, s42, v6
	s_delay_alu instid0(VALU_DEP_2) | instskip(NEXT) | instid1(VALU_DEP_2)
	v_sub_co_u32 v3, vcc_lo, v10, v3
	v_add3_u32 v4, v4, v8, v7
	v_add_co_u32 v8, s0, v5, 2
	s_wait_alu 0xf1ff
	v_add_co_ci_u32_e64 v10, null, 0, v6, s0
	s_delay_alu instid0(VALU_DEP_3) | instskip(SKIP_3) | instid1(VALU_DEP_3)
	v_sub_nc_u32_e32 v7, v11, v4
	v_sub_co_u32 v12, s0, v3, s42
	s_wait_alu 0xfffd
	v_sub_co_ci_u32_e64 v4, null, v11, v4, vcc_lo
	v_subrev_co_ci_u32_e64 v7, null, s43, v7, vcc_lo
	s_delay_alu instid0(VALU_DEP_3) | instskip(SKIP_1) | instid1(VALU_DEP_2)
	v_cmp_le_u32_e32 vcc_lo, s42, v12
	s_wait_alu 0xf1ff
	v_subrev_co_ci_u32_e64 v7, null, 0, v7, s0
	s_wait_alu 0xfffd
	v_cndmask_b32_e64 v11, 0, -1, vcc_lo
	s_delay_alu instid0(VALU_DEP_2)
	v_cmp_le_u32_e32 vcc_lo, s43, v7
	s_wait_alu 0xfffd
	v_cndmask_b32_e64 v12, 0, -1, vcc_lo
	v_cmp_le_u32_e32 vcc_lo, s42, v3
	s_wait_alu 0xfffd
	v_cndmask_b32_e64 v3, 0, -1, vcc_lo
	;; [unrolled: 3-line block ×3, first 2 shown]
	v_cmp_eq_u32_e32 vcc_lo, s43, v7
	s_wait_alu 0xfffd
	v_cndmask_b32_e32 v7, v12, v11, vcc_lo
	v_add_co_u32 v11, vcc_lo, v5, 1
	s_wait_alu 0xfffd
	v_add_co_ci_u32_e64 v12, null, 0, v6, vcc_lo
	v_cmp_eq_u32_e32 vcc_lo, s43, v4
	s_wait_alu 0xfffd
	v_cndmask_b32_e32 v3, v13, v3, vcc_lo
	v_cmp_ne_u32_e32 vcc_lo, 0, v7
	v_xor_b32_e32 v7, s40, v9
	s_wait_alu 0xfffd
	v_cndmask_b32_e32 v4, v12, v10, vcc_lo
	v_cmp_ne_u32_e64 s0, 0, v3
	v_cndmask_b32_e32 v3, v11, v8, vcc_lo
	s_wait_alu 0xf1ff
	s_delay_alu instid0(VALU_DEP_2) | instskip(NEXT) | instid1(VALU_DEP_2)
	v_cndmask_b32_e64 v4, v6, v4, s0
	v_cndmask_b32_e64 v3, v5, v3, s0
	s_delay_alu instid0(VALU_DEP_2) | instskip(NEXT) | instid1(VALU_DEP_2)
	v_xor_b32_e32 v4, v4, v7
	v_xor_b32_e32 v3, v3, v7
	s_delay_alu instid0(VALU_DEP_1) | instskip(SKIP_1) | instid1(VALU_DEP_3)
	v_sub_co_u32 v6, vcc_lo, v3, v7
	s_wait_alu 0xfffd
	v_sub_co_ci_u32_e64 v7, null, v4, v7, vcc_lo
.LBB11_5:                               ;   in Loop: Header=BB11_3 Depth=1
	s_wait_alu 0xfffe
	s_and_not1_saveexec_b32 s0, s1
	s_cbranch_execz .LBB11_7
; %bb.6:                                ;   in Loop: Header=BB11_3 Depth=1
	s_sub_co_i32 s1, 0, s22
	v_mov_b32_e32 v7, v2
	s_wait_alu 0xfffe
	v_mul_lo_u32 v3, s1, v16
	s_delay_alu instid0(VALU_DEP_1) | instskip(NEXT) | instid1(VALU_DEP_1)
	v_mul_hi_u32 v3, v16, v3
	v_add_nc_u32_e32 v3, v16, v3
	s_delay_alu instid0(VALU_DEP_1) | instskip(NEXT) | instid1(VALU_DEP_1)
	v_mul_hi_u32 v3, v0, v3
	v_mul_lo_u32 v4, v3, s22
	s_delay_alu instid0(VALU_DEP_1) | instskip(NEXT) | instid1(VALU_DEP_1)
	v_sub_nc_u32_e32 v4, v0, v4
	v_subrev_nc_u32_e32 v6, s22, v4
	v_cmp_le_u32_e32 vcc_lo, s22, v4
	s_wait_alu 0xfffd
	s_delay_alu instid0(VALU_DEP_2) | instskip(NEXT) | instid1(VALU_DEP_1)
	v_dual_cndmask_b32 v4, v4, v6 :: v_dual_add_nc_u32 v5, 1, v3
	v_cndmask_b32_e32 v3, v3, v5, vcc_lo
	s_delay_alu instid0(VALU_DEP_2) | instskip(NEXT) | instid1(VALU_DEP_2)
	v_cmp_le_u32_e32 vcc_lo, s22, v4
	v_add_nc_u32_e32 v5, 1, v3
	s_wait_alu 0xfffd
	s_delay_alu instid0(VALU_DEP_1)
	v_cndmask_b32_e32 v6, v3, v5, vcc_lo
.LBB11_7:                               ;   in Loop: Header=BB11_3 Depth=1
	s_wait_alu 0xfffe
	s_or_b32 exec_lo, exec_lo, s0
	v_or_b32_e32 v3, s9, v7
                                        ; implicit-def: $vgpr10_vgpr11
	s_mov_b32 s0, exec_lo
	s_delay_alu instid0(VALU_DEP_1)
	v_cmpx_ne_u64_e32 0, v[2:3]
	s_wait_alu 0xfffe
	s_xor_b32 s1, exec_lo, s0
	s_cbranch_execz .LBB11_9
; %bb.8:                                ;   in Loop: Header=BB11_3 Depth=1
	s_ashr_i32 s42, s9, 31
	v_ashrrev_i32_e32 v5, 31, v7
	s_wait_alu 0xfffe
	s_mov_b32 s43, s42
	s_wait_alu 0xfffe
	s_add_nc_u64 s[44:45], s[8:9], s[42:43]
	v_add_co_u32 v3, vcc_lo, v6, v5
	s_wait_alu 0xfffe
	s_xor_b64 s[44:45], s[44:45], s[42:43]
	s_wait_alu 0xfffd
	v_add_co_ci_u32_e64 v4, null, v7, v5, vcc_lo
	s_wait_alu 0xfffe
	s_cvt_f32_u32 s0, s44
	s_cvt_f32_u32 s26, s45
	s_sub_nc_u64 s[48:49], 0, s[44:45]
	v_xor_b32_e32 v12, v3, v5
	v_xor_b32_e32 v13, v4, v5
	s_wait_alu 0xfffe
	s_fmamk_f32 s0, s26, 0x4f800000, s0
	v_xor_b32_e32 v5, s42, v5
	s_wait_alu 0xfffe
	s_delay_alu instid0(SALU_CYCLE_1) | instskip(NEXT) | instid1(TRANS32_DEP_1)
	v_s_rcp_f32 s0, s0
	s_mul_f32 s0, s0, 0x5f7ffffc
	s_wait_alu 0xfffe
	s_delay_alu instid0(SALU_CYCLE_2) | instskip(SKIP_1) | instid1(SALU_CYCLE_2)
	s_mul_f32 s26, s0, 0x2f800000
	s_wait_alu 0xfffe
	s_trunc_f32 s26, s26
	s_wait_alu 0xfffe
	s_delay_alu instid0(SALU_CYCLE_2) | instskip(SKIP_2) | instid1(SALU_CYCLE_1)
	s_fmamk_f32 s0, s26, 0xcf800000, s0
	s_cvt_u32_f32 s47, s26
	s_wait_alu 0xfffe
	s_cvt_u32_f32 s46, s0
	s_wait_alu 0xfffe
	s_delay_alu instid0(SALU_CYCLE_2)
	s_mul_u64 s[50:51], s[48:49], s[46:47]
	s_wait_alu 0xfffe
	s_mul_hi_u32 s53, s46, s51
	s_mul_i32 s52, s46, s51
	s_mul_hi_u32 s26, s46, s50
	s_mul_i32 s41, s47, s50
	s_wait_alu 0xfffe
	s_add_nc_u64 s[52:53], s[26:27], s[52:53]
	s_mul_hi_u32 s0, s47, s50
	s_mul_hi_u32 s43, s47, s51
	s_wait_alu 0xfffe
	s_add_co_u32 s26, s52, s41
	s_add_co_ci_u32 s26, s53, s0
	s_mul_i32 s50, s47, s51
	s_add_co_ci_u32 s51, s43, 0
	s_wait_alu 0xfffe
	s_add_nc_u64 s[50:51], s[26:27], s[50:51]
	s_wait_alu 0xfffe
	s_add_co_u32 s46, s46, s50
	s_cselect_b32 s0, -1, 0
	s_wait_alu 0xfffe
	s_cmp_lg_u32 s0, 0
	s_add_co_ci_u32 s47, s47, s51
	s_wait_alu 0xfffe
	s_mul_u64 s[48:49], s[48:49], s[46:47]
	s_wait_alu 0xfffe
	s_mul_hi_u32 s51, s46, s49
	s_mul_i32 s50, s46, s49
	s_mul_hi_u32 s26, s46, s48
	s_mul_i32 s41, s47, s48
	s_wait_alu 0xfffe
	s_add_nc_u64 s[50:51], s[26:27], s[50:51]
	s_mul_hi_u32 s0, s47, s48
	s_mul_hi_u32 s43, s47, s49
	s_wait_alu 0xfffe
	s_add_co_u32 s26, s50, s41
	s_add_co_ci_u32 s26, s51, s0
	s_mul_i32 s48, s47, s49
	s_add_co_ci_u32 s49, s43, 0
	s_wait_alu 0xfffe
	s_add_nc_u64 s[48:49], s[26:27], s[48:49]
	s_wait_alu 0xfffe
	s_add_co_u32 s0, s46, s48
	s_cselect_b32 s26, -1, 0
	s_wait_alu 0xfffe
	v_mul_hi_u32 v14, v12, s0
	s_cmp_lg_u32 s26, 0
	v_mad_co_u64_u32 v[8:9], null, v13, s0, 0
	s_add_co_ci_u32 s26, s47, s49
	s_wait_alu 0xfffe
	v_mad_co_u64_u32 v[3:4], null, v12, s26, 0
	v_mad_co_u64_u32 v[10:11], null, v13, s26, 0
	s_delay_alu instid0(VALU_DEP_2) | instskip(SKIP_1) | instid1(VALU_DEP_3)
	v_add_co_u32 v3, vcc_lo, v14, v3
	s_wait_alu 0xfffd
	v_add_co_ci_u32_e64 v4, null, 0, v4, vcc_lo
	s_delay_alu instid0(VALU_DEP_2) | instskip(SKIP_1) | instid1(VALU_DEP_2)
	v_add_co_u32 v3, vcc_lo, v3, v8
	s_wait_alu 0xfffd
	v_add_co_ci_u32_e32 v3, vcc_lo, v4, v9, vcc_lo
	s_wait_alu 0xfffd
	v_add_co_ci_u32_e32 v4, vcc_lo, 0, v11, vcc_lo
	s_delay_alu instid0(VALU_DEP_2) | instskip(SKIP_1) | instid1(VALU_DEP_2)
	v_add_co_u32 v8, vcc_lo, v3, v10
	s_wait_alu 0xfffd
	v_add_co_ci_u32_e64 v9, null, 0, v4, vcc_lo
	s_delay_alu instid0(VALU_DEP_2) | instskip(SKIP_1) | instid1(VALU_DEP_3)
	v_mul_lo_u32 v10, s45, v8
	v_mad_co_u64_u32 v[3:4], null, s44, v8, 0
	v_mul_lo_u32 v11, s44, v9
	s_delay_alu instid0(VALU_DEP_2) | instskip(NEXT) | instid1(VALU_DEP_2)
	v_sub_co_u32 v3, vcc_lo, v12, v3
	v_add3_u32 v4, v4, v11, v10
	v_add_co_u32 v11, s0, v8, 2
	s_wait_alu 0xf1ff
	v_add_co_ci_u32_e64 v12, null, 0, v9, s0
	s_delay_alu instid0(VALU_DEP_3) | instskip(SKIP_3) | instid1(VALU_DEP_3)
	v_sub_nc_u32_e32 v10, v13, v4
	v_sub_co_u32 v14, s0, v3, s44
	s_wait_alu 0xfffd
	v_sub_co_ci_u32_e64 v4, null, v13, v4, vcc_lo
	v_subrev_co_ci_u32_e64 v10, null, s45, v10, vcc_lo
	s_delay_alu instid0(VALU_DEP_3) | instskip(SKIP_1) | instid1(VALU_DEP_2)
	v_cmp_le_u32_e32 vcc_lo, s44, v14
	s_wait_alu 0xf1ff
	v_subrev_co_ci_u32_e64 v10, null, 0, v10, s0
	s_wait_alu 0xfffd
	v_cndmask_b32_e64 v13, 0, -1, vcc_lo
	s_delay_alu instid0(VALU_DEP_2)
	v_cmp_le_u32_e32 vcc_lo, s45, v10
	s_wait_alu 0xfffd
	v_cndmask_b32_e64 v14, 0, -1, vcc_lo
	v_cmp_le_u32_e32 vcc_lo, s44, v3
	s_wait_alu 0xfffd
	v_cndmask_b32_e64 v3, 0, -1, vcc_lo
	;; [unrolled: 3-line block ×3, first 2 shown]
	v_cmp_eq_u32_e32 vcc_lo, s45, v10
	s_wait_alu 0xfffd
	v_cndmask_b32_e32 v10, v14, v13, vcc_lo
	v_add_co_u32 v13, vcc_lo, v8, 1
	s_wait_alu 0xfffd
	v_add_co_ci_u32_e64 v14, null, 0, v9, vcc_lo
	v_cmp_eq_u32_e32 vcc_lo, s45, v4
	s_wait_alu 0xfffd
	v_cndmask_b32_e32 v3, v15, v3, vcc_lo
	v_cmp_ne_u32_e32 vcc_lo, 0, v10
	s_delay_alu instid0(VALU_DEP_2) | instskip(SKIP_3) | instid1(VALU_DEP_1)
	v_cmp_ne_u32_e64 s0, 0, v3
	s_wait_alu 0xfffd
	v_dual_cndmask_b32 v4, v14, v12 :: v_dual_cndmask_b32 v3, v13, v11
	s_wait_alu 0xf1ff
	v_cndmask_b32_e64 v4, v9, v4, s0
	s_delay_alu instid0(VALU_DEP_2) | instskip(NEXT) | instid1(VALU_DEP_2)
	v_cndmask_b32_e64 v3, v8, v3, s0
	v_xor_b32_e32 v4, v4, v5
	s_delay_alu instid0(VALU_DEP_2) | instskip(NEXT) | instid1(VALU_DEP_1)
	v_xor_b32_e32 v3, v3, v5
	v_sub_co_u32 v10, vcc_lo, v3, v5
	s_wait_alu 0xfffd
	s_delay_alu instid0(VALU_DEP_3)
	v_sub_co_ci_u32_e64 v11, null, v4, v5, vcc_lo
.LBB11_9:                               ;   in Loop: Header=BB11_3 Depth=1
	s_wait_alu 0xfffe
	s_and_not1_saveexec_b32 s0, s1
	s_cbranch_execz .LBB11_11
; %bb.10:                               ;   in Loop: Header=BB11_3 Depth=1
	s_sub_co_i32 s1, 0, s8
	v_mov_b32_e32 v11, v2
	s_wait_alu 0xfffe
	v_mul_lo_u32 v3, s1, v17
	s_delay_alu instid0(VALU_DEP_1) | instskip(NEXT) | instid1(VALU_DEP_1)
	v_mul_hi_u32 v3, v17, v3
	v_add_nc_u32_e32 v3, v17, v3
	s_delay_alu instid0(VALU_DEP_1) | instskip(NEXT) | instid1(VALU_DEP_1)
	v_mul_hi_u32 v3, v6, v3
	v_mul_lo_u32 v4, v3, s8
	v_add_nc_u32_e32 v5, 1, v3
	s_delay_alu instid0(VALU_DEP_2) | instskip(NEXT) | instid1(VALU_DEP_1)
	v_sub_nc_u32_e32 v4, v6, v4
	v_subrev_nc_u32_e32 v8, s8, v4
	v_cmp_le_u32_e32 vcc_lo, s8, v4
	s_wait_alu 0xfffd
	s_delay_alu instid0(VALU_DEP_2) | instskip(NEXT) | instid1(VALU_DEP_1)
	v_dual_cndmask_b32 v4, v4, v8 :: v_dual_cndmask_b32 v3, v3, v5
	v_cmp_le_u32_e32 vcc_lo, s8, v4
	s_delay_alu instid0(VALU_DEP_2) | instskip(SKIP_1) | instid1(VALU_DEP_1)
	v_add_nc_u32_e32 v5, 1, v3
	s_wait_alu 0xfffd
	v_cndmask_b32_e32 v10, v3, v5, vcc_lo
.LBB11_11:                              ;   in Loop: Header=BB11_3 Depth=1
	s_wait_alu 0xfffe
	s_or_b32 exec_lo, exec_lo, s0
	v_mul_lo_u32 v5, v7, s22
	v_mul_lo_u32 v12, v6, s23
	v_mad_co_u64_u32 v[3:4], null, v6, s22, 0
	v_mul_lo_u32 v13, v11, s8
	v_mul_lo_u32 v14, v10, s9
	v_mad_co_u64_u32 v[8:9], null, v10, s8, 0
	s_delay_alu instid0(VALU_DEP_4) | instskip(SKIP_1) | instid1(VALU_DEP_3)
	v_add3_u32 v5, v4, v12, v5
	v_sub_co_u32 v4, vcc_lo, v0, v3
	v_add3_u32 v3, v9, v14, v13
	s_wait_alu 0xfffd
	s_delay_alu instid0(VALU_DEP_3) | instskip(NEXT) | instid1(VALU_DEP_3)
	v_sub_co_ci_u32_e64 v5, null, v1, v5, vcc_lo
	v_mul_lo_u32 v9, s15, v4
	v_mad_co_u64_u32 v[12:13], null, s14, v4, 0
	s_wait_kmcnt 0x0
	v_mul_lo_u32 v20, s19, v4
	v_mul_lo_u32 v21, s14, v5
	;; [unrolled: 1-line block ×3, first 2 shown]
	v_mad_co_u64_u32 v[14:15], null, s18, v4, 0
	v_sub_co_u32 v18, vcc_lo, v6, v8
	s_wait_alu 0xfffd
	v_sub_co_ci_u32_e64 v19, null, v7, v3, vcc_lo
	v_add3_u32 v13, v13, v21, v9
	s_delay_alu instid0(VALU_DEP_3) | instskip(SKIP_1) | instid1(VALU_DEP_4)
	v_mul_lo_u32 v3, s13, v18
	v_add3_u32 v15, v15, v22, v20
	v_mul_lo_u32 v21, s12, v19
	s_and_not1_b32 vcc_lo, exec_lo, s62
	v_mad_co_u64_u32 v[8:9], null, s12, v18, v[12:13]
	v_mul_lo_u32 v12, s16, v19
	v_mul_lo_u32 v13, s17, v18
	v_mad_co_u64_u32 v[6:7], null, s16, v18, v[14:15]
	s_delay_alu instid0(VALU_DEP_4) | instskip(NEXT) | instid1(VALU_DEP_2)
	v_add3_u32 v9, v3, v9, v21
	v_add3_u32 v7, v13, v7, v12
	s_wait_alu 0xfffe
	s_cbranch_vccnz .LBB11_29
; %bb.12:                               ;   in Loop: Header=BB11_3 Depth=1
	s_and_not1_b32 vcc_lo, exec_lo, s60
	s_wait_alu 0xfffe
	s_cbranch_vccnz .LBB11_18
; %bb.13:                               ;   in Loop: Header=BB11_3 Depth=1
	s_load_b64 s[42:43], s[34:35], 0x8
                                        ; implicit-def: $vgpr12_vgpr13
	s_mov_b32 s0, exec_lo
	s_wait_kmcnt 0x0
	v_or_b32_e32 v3, s43, v11
	s_delay_alu instid0(VALU_DEP_1)
	v_cmpx_ne_u64_e32 0, v[2:3]
	s_wait_alu 0xfffe
	s_xor_b32 s1, exec_lo, s0
	s_cbranch_execz .LBB11_15
; %bb.14:                               ;   in Loop: Header=BB11_3 Depth=1
	s_ashr_i32 s44, s43, 31
	v_ashrrev_i32_e32 v3, 31, v11
	s_wait_alu 0xfffe
	s_mov_b32 s45, s44
	s_wait_alu 0xfffe
	s_add_nc_u64 s[46:47], s[42:43], s[44:45]
	v_add_co_u32 v12, vcc_lo, v10, v3
	s_wait_alu 0xfffe
	s_xor_b64 s[46:47], s[46:47], s[44:45]
	s_wait_alu 0xfffd
	v_add_co_ci_u32_e64 v13, null, v11, v3, vcc_lo
	s_wait_alu 0xfffe
	s_cvt_f32_u32 s0, s46
	s_cvt_f32_u32 s26, s47
	s_sub_nc_u64 s[50:51], 0, s[46:47]
	v_xor_b32_e32 v22, v12, v3
	v_xor_b32_e32 v23, v13, v3
	s_wait_alu 0xfffe
	s_fmamk_f32 s0, s26, 0x4f800000, s0
	v_xor_b32_e32 v3, s44, v3
	s_wait_alu 0xfffe
	s_delay_alu instid0(SALU_CYCLE_1) | instskip(NEXT) | instid1(TRANS32_DEP_1)
	v_s_rcp_f32 s0, s0
	s_mul_f32 s0, s0, 0x5f7ffffc
	s_wait_alu 0xfffe
	s_delay_alu instid0(SALU_CYCLE_2) | instskip(SKIP_1) | instid1(SALU_CYCLE_2)
	s_mul_f32 s26, s0, 0x2f800000
	s_wait_alu 0xfffe
	s_trunc_f32 s26, s26
	s_wait_alu 0xfffe
	s_delay_alu instid0(SALU_CYCLE_2) | instskip(SKIP_2) | instid1(SALU_CYCLE_1)
	s_fmamk_f32 s0, s26, 0xcf800000, s0
	s_cvt_u32_f32 s49, s26
	s_wait_alu 0xfffe
	s_cvt_u32_f32 s48, s0
	s_wait_alu 0xfffe
	s_delay_alu instid0(SALU_CYCLE_2)
	s_mul_u64 s[52:53], s[50:51], s[48:49]
	s_wait_alu 0xfffe
	s_mul_hi_u32 s55, s48, s53
	s_mul_i32 s54, s48, s53
	s_mul_hi_u32 s26, s48, s52
	s_mul_i32 s41, s49, s52
	s_wait_alu 0xfffe
	s_add_nc_u64 s[54:55], s[26:27], s[54:55]
	s_mul_hi_u32 s0, s49, s52
	s_mul_hi_u32 s45, s49, s53
	s_wait_alu 0xfffe
	s_add_co_u32 s26, s54, s41
	s_add_co_ci_u32 s26, s55, s0
	s_mul_i32 s52, s49, s53
	s_add_co_ci_u32 s53, s45, 0
	s_wait_alu 0xfffe
	s_add_nc_u64 s[52:53], s[26:27], s[52:53]
	s_wait_alu 0xfffe
	s_add_co_u32 s48, s48, s52
	s_cselect_b32 s0, -1, 0
	s_wait_alu 0xfffe
	s_cmp_lg_u32 s0, 0
	s_add_co_ci_u32 s49, s49, s53
	s_wait_alu 0xfffe
	s_mul_u64 s[50:51], s[50:51], s[48:49]
	s_wait_alu 0xfffe
	s_mul_hi_u32 s53, s48, s51
	s_mul_i32 s52, s48, s51
	s_mul_hi_u32 s26, s48, s50
	s_mul_i32 s41, s49, s50
	s_wait_alu 0xfffe
	s_add_nc_u64 s[52:53], s[26:27], s[52:53]
	s_mul_hi_u32 s0, s49, s50
	s_mul_hi_u32 s45, s49, s51
	s_wait_alu 0xfffe
	s_add_co_u32 s26, s52, s41
	s_add_co_ci_u32 s26, s53, s0
	s_mul_i32 s50, s49, s51
	s_add_co_ci_u32 s51, s45, 0
	s_wait_alu 0xfffe
	s_add_nc_u64 s[50:51], s[26:27], s[50:51]
	s_wait_alu 0xfffe
	s_add_co_u32 s0, s48, s50
	s_cselect_b32 s26, -1, 0
	s_wait_alu 0xfffe
	v_mul_hi_u32 v24, v22, s0
	s_cmp_lg_u32 s26, 0
	v_mad_co_u64_u32 v[14:15], null, v23, s0, 0
	s_add_co_ci_u32 s26, s49, s51
	s_wait_alu 0xfffe
	v_mad_co_u64_u32 v[12:13], null, v22, s26, 0
	v_mad_co_u64_u32 v[20:21], null, v23, s26, 0
	s_delay_alu instid0(VALU_DEP_2) | instskip(SKIP_1) | instid1(VALU_DEP_3)
	v_add_co_u32 v12, vcc_lo, v24, v12
	s_wait_alu 0xfffd
	v_add_co_ci_u32_e64 v13, null, 0, v13, vcc_lo
	s_delay_alu instid0(VALU_DEP_2) | instskip(SKIP_1) | instid1(VALU_DEP_2)
	v_add_co_u32 v12, vcc_lo, v12, v14
	s_wait_alu 0xfffd
	v_add_co_ci_u32_e32 v12, vcc_lo, v13, v15, vcc_lo
	s_wait_alu 0xfffd
	v_add_co_ci_u32_e32 v13, vcc_lo, 0, v21, vcc_lo
	s_delay_alu instid0(VALU_DEP_2) | instskip(SKIP_1) | instid1(VALU_DEP_2)
	v_add_co_u32 v14, vcc_lo, v12, v20
	s_wait_alu 0xfffd
	v_add_co_ci_u32_e64 v15, null, 0, v13, vcc_lo
	s_delay_alu instid0(VALU_DEP_2) | instskip(SKIP_1) | instid1(VALU_DEP_3)
	v_mul_lo_u32 v20, s47, v14
	v_mad_co_u64_u32 v[12:13], null, s46, v14, 0
	v_mul_lo_u32 v21, s46, v15
	s_delay_alu instid0(VALU_DEP_2) | instskip(NEXT) | instid1(VALU_DEP_2)
	v_sub_co_u32 v12, vcc_lo, v22, v12
	v_add3_u32 v13, v13, v21, v20
	v_add_co_u32 v21, s0, v14, 2
	s_wait_alu 0xf1ff
	v_add_co_ci_u32_e64 v22, null, 0, v15, s0
	s_delay_alu instid0(VALU_DEP_3) | instskip(SKIP_3) | instid1(VALU_DEP_3)
	v_sub_nc_u32_e32 v20, v23, v13
	v_sub_co_u32 v24, s0, v12, s46
	s_wait_alu 0xfffd
	v_sub_co_ci_u32_e64 v13, null, v23, v13, vcc_lo
	v_subrev_co_ci_u32_e64 v20, null, s47, v20, vcc_lo
	s_delay_alu instid0(VALU_DEP_3) | instskip(SKIP_1) | instid1(VALU_DEP_2)
	v_cmp_le_u32_e32 vcc_lo, s46, v24
	s_wait_alu 0xf1ff
	v_subrev_co_ci_u32_e64 v20, null, 0, v20, s0
	s_wait_alu 0xfffd
	v_cndmask_b32_e64 v23, 0, -1, vcc_lo
	s_delay_alu instid0(VALU_DEP_2)
	v_cmp_le_u32_e32 vcc_lo, s47, v20
	s_wait_alu 0xfffd
	v_cndmask_b32_e64 v24, 0, -1, vcc_lo
	v_cmp_le_u32_e32 vcc_lo, s46, v12
	s_wait_alu 0xfffd
	v_cndmask_b32_e64 v12, 0, -1, vcc_lo
	;; [unrolled: 3-line block ×3, first 2 shown]
	v_cmp_eq_u32_e32 vcc_lo, s47, v20
	s_wait_alu 0xfffd
	v_cndmask_b32_e32 v20, v24, v23, vcc_lo
	v_add_co_u32 v23, vcc_lo, v14, 1
	s_wait_alu 0xfffd
	v_add_co_ci_u32_e64 v24, null, 0, v15, vcc_lo
	v_cmp_eq_u32_e32 vcc_lo, s47, v13
	s_wait_alu 0xfffd
	v_cndmask_b32_e32 v12, v25, v12, vcc_lo
	v_cmp_ne_u32_e32 vcc_lo, 0, v20
	s_wait_alu 0xfffd
	v_cndmask_b32_e32 v13, v24, v22, vcc_lo
	s_delay_alu instid0(VALU_DEP_3) | instskip(SKIP_2) | instid1(VALU_DEP_2)
	v_cmp_ne_u32_e64 s0, 0, v12
	v_cndmask_b32_e32 v12, v23, v21, vcc_lo
	s_wait_alu 0xf1ff
	v_cndmask_b32_e64 v13, v15, v13, s0
	s_delay_alu instid0(VALU_DEP_2) | instskip(NEXT) | instid1(VALU_DEP_2)
	v_cndmask_b32_e64 v12, v14, v12, s0
	v_xor_b32_e32 v13, v13, v3
	s_delay_alu instid0(VALU_DEP_2) | instskip(NEXT) | instid1(VALU_DEP_1)
	v_xor_b32_e32 v12, v12, v3
	v_sub_co_u32 v12, vcc_lo, v12, v3
	s_wait_alu 0xfffd
	s_delay_alu instid0(VALU_DEP_3)
	v_sub_co_ci_u32_e64 v13, null, v13, v3, vcc_lo
.LBB11_15:                              ;   in Loop: Header=BB11_3 Depth=1
	s_wait_alu 0xfffe
	s_and_not1_saveexec_b32 s0, s1
	s_cbranch_execz .LBB11_17
; %bb.16:                               ;   in Loop: Header=BB11_3 Depth=1
	v_cvt_f32_u32_e32 v3, s42
	s_sub_co_i32 s1, 0, s42
	s_delay_alu instid0(VALU_DEP_1) | instskip(NEXT) | instid1(TRANS32_DEP_1)
	v_rcp_iflag_f32_e32 v3, v3
	v_mul_f32_e32 v3, 0x4f7ffffe, v3
	s_delay_alu instid0(VALU_DEP_1) | instskip(SKIP_1) | instid1(VALU_DEP_1)
	v_cvt_u32_f32_e32 v3, v3
	s_wait_alu 0xfffe
	v_mul_lo_u32 v12, s1, v3
	s_delay_alu instid0(VALU_DEP_1) | instskip(NEXT) | instid1(VALU_DEP_1)
	v_mul_hi_u32 v12, v3, v12
	v_add_nc_u32_e32 v3, v3, v12
	s_delay_alu instid0(VALU_DEP_1) | instskip(NEXT) | instid1(VALU_DEP_1)
	v_mul_hi_u32 v3, v10, v3
	v_mul_lo_u32 v12, v3, s42
	v_add_nc_u32_e32 v13, 1, v3
	s_delay_alu instid0(VALU_DEP_2) | instskip(NEXT) | instid1(VALU_DEP_1)
	v_sub_nc_u32_e32 v12, v10, v12
	v_subrev_nc_u32_e32 v14, s42, v12
	v_cmp_le_u32_e32 vcc_lo, s42, v12
	s_wait_alu 0xfffd
	s_delay_alu instid0(VALU_DEP_2) | instskip(NEXT) | instid1(VALU_DEP_1)
	v_dual_cndmask_b32 v12, v12, v14 :: v_dual_cndmask_b32 v3, v3, v13
	v_cmp_le_u32_e32 vcc_lo, s42, v12
	s_delay_alu instid0(VALU_DEP_2) | instskip(SKIP_1) | instid1(VALU_DEP_1)
	v_add_nc_u32_e32 v13, 1, v3
	s_wait_alu 0xfffd
	v_dual_cndmask_b32 v12, v3, v13 :: v_dual_mov_b32 v13, v2
.LBB11_17:                              ;   in Loop: Header=BB11_3 Depth=1
	s_wait_alu 0xfffe
	s_or_b32 exec_lo, exec_lo, s0
	s_delay_alu instid0(VALU_DEP_1) | instskip(NEXT) | instid1(VALU_DEP_2)
	v_mul_lo_u32 v3, v13, s42
	v_mul_lo_u32 v20, v12, s43
	s_load_b64 s[0:1], s[34:35], 0xd0
	v_mad_co_u64_u32 v[14:15], null, v12, s42, 0
	s_load_b64 s[42:43], s[36:37], 0xd0
	v_add3_u32 v3, v15, v20, v3
	v_sub_co_u32 v10, vcc_lo, v10, v14
	s_wait_alu 0xfffd
	s_delay_alu instid0(VALU_DEP_2) | instskip(SKIP_1) | instid1(VALU_DEP_1)
	v_sub_co_ci_u32_e64 v3, null, v11, v3, vcc_lo
	s_wait_kmcnt 0x0
	v_mul_lo_u32 v11, s0, v3
	v_mul_lo_u32 v14, s1, v10
	v_mad_co_u64_u32 v[8:9], null, s0, v10, v[8:9]
	v_mul_lo_u32 v3, s42, v3
	v_mul_lo_u32 v15, s43, v10
	v_mad_co_u64_u32 v[6:7], null, s42, v10, v[6:7]
	s_mov_b64 s[0:1], s[30:31]
	v_add3_u32 v9, v14, v9, v11
	v_dual_mov_b32 v10, v12 :: v_dual_mov_b32 v11, v13
	v_add3_u32 v7, v15, v7, v3
	s_and_not1_b32 vcc_lo, exec_lo, s61
	s_wait_alu 0xfffe
	s_cbranch_vccz .LBB11_19
	s_branch .LBB11_29
.LBB11_18:                              ;   in Loop: Header=BB11_3 Depth=1
	s_mov_b64 s[0:1], s[28:29]
	s_and_not1_b32 vcc_lo, exec_lo, s61
	s_wait_alu 0xfffe
	s_cbranch_vccnz .LBB11_29
.LBB11_19:                              ;   in Loop: Header=BB11_3 Depth=1
	s_lshl_b64 s[44:45], s[0:1], 3
	s_add_nc_u64 s[46:47], s[0:1], 1
	s_wait_alu 0xfffe
	s_add_nc_u64 s[42:43], s[38:39], s[44:45]
	s_add_nc_u64 s[44:45], s[20:21], s[44:45]
	s_branch .LBB11_21
.LBB11_20:                              ;   in Loop: Header=BB11_21 Depth=2
	s_wait_alu 0xfffe
	s_or_b32 exec_lo, exec_lo, s0
	v_mul_lo_u32 v3, v13, s48
	v_mul_lo_u32 v24, v12, s49
	v_mad_co_u64_u32 v[20:21], null, v12, s48, 0
	s_load_b64 s[0:1], s[44:45], 0xc8
	s_load_b64 s[48:49], s[42:43], 0x0
	v_mul_lo_u32 v25, v15, s54
	v_mul_lo_u32 v26, v14, s55
	v_mad_co_u64_u32 v[22:23], null, v14, s54, 0
	v_add3_u32 v3, v21, v24, v3
	v_sub_co_u32 v10, vcc_lo, v10, v20
	s_add_nc_u64 s[46:47], s[46:47], -2
	s_add_nc_u64 s[42:43], s[42:43], -16
	s_wait_alu 0xfffd
	v_sub_co_ci_u32_e64 v3, null, v11, v3, vcc_lo
	v_mul_lo_u32 v11, s53, v10
	v_mad_co_u64_u32 v[8:9], null, s52, v10, v[8:9]
	s_delay_alu instid0(VALU_DEP_3)
	v_mul_lo_u32 v20, s52, v3
	v_mul_lo_u32 v21, s51, v10
	v_mad_co_u64_u32 v[6:7], null, s50, v10, v[6:7]
	v_mul_lo_u32 v3, s50, v3
	v_add3_u32 v10, v23, v26, v25
	s_wait_alu 0xfffe
	s_cmp_eq_u64 s[46:47], 0
	s_add_nc_u64 s[44:45], s[44:45], -16
	v_add3_u32 v9, v11, v9, v20
	v_sub_co_u32 v11, vcc_lo, v12, v22
	s_wait_alu 0xfffd
	v_sub_co_ci_u32_e64 v10, null, v13, v10, vcc_lo
	v_add3_u32 v7, v21, v7, v3
	s_wait_kmcnt 0x0
	v_mad_co_u64_u32 v[8:9], null, s0, v11, v[8:9]
	s_delay_alu instid0(VALU_DEP_3) | instskip(SKIP_4) | instid1(VALU_DEP_4)
	v_mul_lo_u32 v3, s0, v10
	v_mul_lo_u32 v12, s1, v11
	;; [unrolled: 1-line block ×4, first 2 shown]
	v_mad_co_u64_u32 v[6:7], null, s48, v11, v[6:7]
	v_add3_u32 v9, v12, v9, v3
	s_delay_alu instid0(VALU_DEP_2)
	v_add3_u32 v7, v13, v7, v10
	v_dual_mov_b32 v10, v14 :: v_dual_mov_b32 v11, v15
	s_cbranch_scc1 .LBB11_29
.LBB11_21:                              ;   Parent Loop BB11_3 Depth=1
                                        ; =>  This Inner Loop Header: Depth=2
	s_load_b64 s[48:49], s[44:45], 0x8
                                        ; implicit-def: $vgpr12_vgpr13
	s_mov_b32 s0, exec_lo
	s_wait_kmcnt 0x0
	v_or_b32_e32 v3, s49, v11
	s_delay_alu instid0(VALU_DEP_1)
	v_cmpx_ne_u64_e32 0, v[2:3]
	s_wait_alu 0xfffe
	s_xor_b32 s1, exec_lo, s0
	s_cbranch_execz .LBB11_23
; %bb.22:                               ;   in Loop: Header=BB11_21 Depth=2
	s_ashr_i32 s50, s49, 31
	v_ashrrev_i32_e32 v3, 31, v11
	s_wait_alu 0xfffe
	s_mov_b32 s51, s50
	s_wait_alu 0xfffe
	s_add_nc_u64 s[52:53], s[48:49], s[50:51]
	v_add_co_u32 v12, vcc_lo, v10, v3
	s_wait_alu 0xfffe
	s_xor_b64 s[52:53], s[52:53], s[50:51]
	s_wait_alu 0xfffd
	v_add_co_ci_u32_e64 v13, null, v11, v3, vcc_lo
	s_wait_alu 0xfffe
	s_cvt_f32_u32 s0, s52
	s_cvt_f32_u32 s26, s53
	s_sub_nc_u64 s[56:57], 0, s[52:53]
	v_xor_b32_e32 v22, v12, v3
	v_xor_b32_e32 v23, v13, v3
	s_wait_alu 0xfffe
	s_fmamk_f32 s0, s26, 0x4f800000, s0
	v_xor_b32_e32 v3, s50, v3
	s_wait_alu 0xfffe
	s_delay_alu instid0(SALU_CYCLE_1) | instskip(NEXT) | instid1(TRANS32_DEP_1)
	v_s_rcp_f32 s0, s0
	s_mul_f32 s0, s0, 0x5f7ffffc
	s_wait_alu 0xfffe
	s_delay_alu instid0(SALU_CYCLE_2) | instskip(SKIP_1) | instid1(SALU_CYCLE_2)
	s_mul_f32 s26, s0, 0x2f800000
	s_wait_alu 0xfffe
	s_trunc_f32 s26, s26
	s_wait_alu 0xfffe
	s_delay_alu instid0(SALU_CYCLE_2) | instskip(SKIP_2) | instid1(SALU_CYCLE_1)
	s_fmamk_f32 s0, s26, 0xcf800000, s0
	s_cvt_u32_f32 s55, s26
	s_wait_alu 0xfffe
	s_cvt_u32_f32 s54, s0
	s_wait_alu 0xfffe
	s_delay_alu instid0(SALU_CYCLE_2)
	s_mul_u64 s[58:59], s[56:57], s[54:55]
	s_wait_alu 0xfffe
	s_mul_hi_u32 s65, s54, s59
	s_mul_i32 s64, s54, s59
	s_mul_hi_u32 s26, s54, s58
	s_mul_i32 s41, s55, s58
	s_wait_alu 0xfffe
	s_add_nc_u64 s[64:65], s[26:27], s[64:65]
	s_mul_hi_u32 s0, s55, s58
	s_mul_hi_u32 s51, s55, s59
	s_add_co_u32 s26, s64, s41
	s_wait_alu 0xfffe
	s_add_co_ci_u32 s26, s65, s0
	s_mul_i32 s58, s55, s59
	s_add_co_ci_u32 s59, s51, 0
	s_wait_alu 0xfffe
	s_add_nc_u64 s[58:59], s[26:27], s[58:59]
	s_wait_alu 0xfffe
	s_add_co_u32 s54, s54, s58
	s_cselect_b32 s0, -1, 0
	s_wait_alu 0xfffe
	s_cmp_lg_u32 s0, 0
	s_add_co_ci_u32 s55, s55, s59
	s_wait_alu 0xfffe
	s_mul_u64 s[56:57], s[56:57], s[54:55]
	s_wait_alu 0xfffe
	s_mul_hi_u32 s59, s54, s57
	s_mul_i32 s58, s54, s57
	s_mul_hi_u32 s26, s54, s56
	s_mul_i32 s41, s55, s56
	s_wait_alu 0xfffe
	s_add_nc_u64 s[58:59], s[26:27], s[58:59]
	s_mul_hi_u32 s0, s55, s56
	s_mul_hi_u32 s51, s55, s57
	s_wait_alu 0xfffe
	s_add_co_u32 s26, s58, s41
	s_add_co_ci_u32 s26, s59, s0
	s_mul_i32 s56, s55, s57
	s_add_co_ci_u32 s57, s51, 0
	s_wait_alu 0xfffe
	s_add_nc_u64 s[56:57], s[26:27], s[56:57]
	s_wait_alu 0xfffe
	s_add_co_u32 s0, s54, s56
	s_cselect_b32 s26, -1, 0
	s_wait_alu 0xfffe
	v_mul_hi_u32 v24, v22, s0
	s_cmp_lg_u32 s26, 0
	v_mad_co_u64_u32 v[14:15], null, v23, s0, 0
	s_add_co_ci_u32 s26, s55, s57
	s_wait_alu 0xfffe
	v_mad_co_u64_u32 v[12:13], null, v22, s26, 0
	v_mad_co_u64_u32 v[20:21], null, v23, s26, 0
	s_delay_alu instid0(VALU_DEP_2) | instskip(SKIP_1) | instid1(VALU_DEP_3)
	v_add_co_u32 v12, vcc_lo, v24, v12
	s_wait_alu 0xfffd
	v_add_co_ci_u32_e64 v13, null, 0, v13, vcc_lo
	s_delay_alu instid0(VALU_DEP_2) | instskip(SKIP_1) | instid1(VALU_DEP_2)
	v_add_co_u32 v12, vcc_lo, v12, v14
	s_wait_alu 0xfffd
	v_add_co_ci_u32_e32 v12, vcc_lo, v13, v15, vcc_lo
	s_wait_alu 0xfffd
	v_add_co_ci_u32_e32 v13, vcc_lo, 0, v21, vcc_lo
	s_delay_alu instid0(VALU_DEP_2) | instskip(SKIP_1) | instid1(VALU_DEP_2)
	v_add_co_u32 v14, vcc_lo, v12, v20
	s_wait_alu 0xfffd
	v_add_co_ci_u32_e64 v15, null, 0, v13, vcc_lo
	s_delay_alu instid0(VALU_DEP_2) | instskip(SKIP_1) | instid1(VALU_DEP_3)
	v_mul_lo_u32 v20, s53, v14
	v_mad_co_u64_u32 v[12:13], null, s52, v14, 0
	v_mul_lo_u32 v21, s52, v15
	s_delay_alu instid0(VALU_DEP_2) | instskip(NEXT) | instid1(VALU_DEP_2)
	v_sub_co_u32 v12, vcc_lo, v22, v12
	v_add3_u32 v13, v13, v21, v20
	v_add_co_u32 v21, s0, v14, 2
	s_wait_alu 0xf1ff
	v_add_co_ci_u32_e64 v22, null, 0, v15, s0
	s_delay_alu instid0(VALU_DEP_3) | instskip(SKIP_3) | instid1(VALU_DEP_3)
	v_sub_nc_u32_e32 v20, v23, v13
	v_sub_co_u32 v24, s0, v12, s52
	s_wait_alu 0xfffd
	v_sub_co_ci_u32_e64 v13, null, v23, v13, vcc_lo
	v_subrev_co_ci_u32_e64 v20, null, s53, v20, vcc_lo
	s_delay_alu instid0(VALU_DEP_3) | instskip(SKIP_1) | instid1(VALU_DEP_2)
	v_cmp_le_u32_e32 vcc_lo, s52, v24
	s_wait_alu 0xf1ff
	v_subrev_co_ci_u32_e64 v20, null, 0, v20, s0
	s_wait_alu 0xfffd
	v_cndmask_b32_e64 v23, 0, -1, vcc_lo
	s_delay_alu instid0(VALU_DEP_2)
	v_cmp_le_u32_e32 vcc_lo, s53, v20
	s_wait_alu 0xfffd
	v_cndmask_b32_e64 v24, 0, -1, vcc_lo
	v_cmp_le_u32_e32 vcc_lo, s52, v12
	s_wait_alu 0xfffd
	v_cndmask_b32_e64 v12, 0, -1, vcc_lo
	;; [unrolled: 3-line block ×3, first 2 shown]
	v_cmp_eq_u32_e32 vcc_lo, s53, v20
	s_wait_alu 0xfffd
	v_cndmask_b32_e32 v20, v24, v23, vcc_lo
	v_add_co_u32 v23, vcc_lo, v14, 1
	s_wait_alu 0xfffd
	v_add_co_ci_u32_e64 v24, null, 0, v15, vcc_lo
	v_cmp_eq_u32_e32 vcc_lo, s53, v13
	s_wait_alu 0xfffd
	v_cndmask_b32_e32 v12, v25, v12, vcc_lo
	v_cmp_ne_u32_e32 vcc_lo, 0, v20
	s_wait_alu 0xfffd
	v_cndmask_b32_e32 v13, v24, v22, vcc_lo
	s_delay_alu instid0(VALU_DEP_3) | instskip(SKIP_2) | instid1(VALU_DEP_2)
	v_cmp_ne_u32_e64 s0, 0, v12
	v_cndmask_b32_e32 v12, v23, v21, vcc_lo
	s_wait_alu 0xf1ff
	v_cndmask_b32_e64 v13, v15, v13, s0
	s_delay_alu instid0(VALU_DEP_2) | instskip(NEXT) | instid1(VALU_DEP_2)
	v_cndmask_b32_e64 v12, v14, v12, s0
	v_xor_b32_e32 v13, v13, v3
	s_delay_alu instid0(VALU_DEP_2) | instskip(NEXT) | instid1(VALU_DEP_1)
	v_xor_b32_e32 v12, v12, v3
	v_sub_co_u32 v12, vcc_lo, v12, v3
	s_wait_alu 0xfffd
	s_delay_alu instid0(VALU_DEP_3)
	v_sub_co_ci_u32_e64 v13, null, v13, v3, vcc_lo
.LBB11_23:                              ;   in Loop: Header=BB11_21 Depth=2
	s_wait_alu 0xfffe
	s_and_not1_saveexec_b32 s0, s1
	s_cbranch_execz .LBB11_25
; %bb.24:                               ;   in Loop: Header=BB11_21 Depth=2
	v_cvt_f32_u32_e32 v3, s48
	s_sub_co_i32 s1, 0, s48
	s_delay_alu instid0(VALU_DEP_1) | instskip(NEXT) | instid1(TRANS32_DEP_1)
	v_rcp_iflag_f32_e32 v3, v3
	v_mul_f32_e32 v3, 0x4f7ffffe, v3
	s_delay_alu instid0(VALU_DEP_1) | instskip(SKIP_1) | instid1(VALU_DEP_1)
	v_cvt_u32_f32_e32 v3, v3
	s_wait_alu 0xfffe
	v_mul_lo_u32 v12, s1, v3
	s_delay_alu instid0(VALU_DEP_1) | instskip(NEXT) | instid1(VALU_DEP_1)
	v_mul_hi_u32 v12, v3, v12
	v_add_nc_u32_e32 v3, v3, v12
	s_delay_alu instid0(VALU_DEP_1) | instskip(NEXT) | instid1(VALU_DEP_1)
	v_mul_hi_u32 v3, v10, v3
	v_mul_lo_u32 v12, v3, s48
	v_add_nc_u32_e32 v13, 1, v3
	s_delay_alu instid0(VALU_DEP_2) | instskip(NEXT) | instid1(VALU_DEP_1)
	v_sub_nc_u32_e32 v12, v10, v12
	v_subrev_nc_u32_e32 v14, s48, v12
	v_cmp_le_u32_e32 vcc_lo, s48, v12
	s_wait_alu 0xfffd
	s_delay_alu instid0(VALU_DEP_2) | instskip(NEXT) | instid1(VALU_DEP_1)
	v_dual_cndmask_b32 v12, v12, v14 :: v_dual_cndmask_b32 v3, v3, v13
	v_cmp_le_u32_e32 vcc_lo, s48, v12
	s_delay_alu instid0(VALU_DEP_2) | instskip(SKIP_1) | instid1(VALU_DEP_1)
	v_add_nc_u32_e32 v13, 1, v3
	s_wait_alu 0xfffd
	v_dual_cndmask_b32 v12, v3, v13 :: v_dual_mov_b32 v13, v2
.LBB11_25:                              ;   in Loop: Header=BB11_21 Depth=2
	s_wait_alu 0xfffe
	s_or_b32 exec_lo, exec_lo, s0
	s_clause 0x1
	s_load_b64 s[54:55], s[44:45], 0x0
	s_load_b64 s[52:53], s[44:45], 0xd0
	;; [unrolled: 1-line block ×3, first 2 shown]
                                        ; implicit-def: $vgpr14_vgpr15
	s_mov_b32 s0, exec_lo
	s_wait_kmcnt 0x0
	v_or_b32_e32 v3, s55, v13
	s_delay_alu instid0(VALU_DEP_1)
	v_cmpx_ne_u64_e32 0, v[2:3]
	s_wait_alu 0xfffe
	s_xor_b32 s1, exec_lo, s0
	s_cbranch_execz .LBB11_27
; %bb.26:                               ;   in Loop: Header=BB11_21 Depth=2
	s_ashr_i32 s56, s55, 31
	v_ashrrev_i32_e32 v3, 31, v13
	s_wait_alu 0xfffe
	s_mov_b32 s57, s56
	s_wait_alu 0xfffe
	s_add_nc_u64 s[58:59], s[54:55], s[56:57]
	v_add_co_u32 v14, vcc_lo, v12, v3
	s_wait_alu 0xfffe
	s_xor_b64 s[58:59], s[58:59], s[56:57]
	s_wait_alu 0xfffd
	v_add_co_ci_u32_e64 v15, null, v13, v3, vcc_lo
	s_wait_alu 0xfffe
	s_cvt_f32_u32 s0, s58
	s_cvt_f32_u32 s26, s59
	s_sub_nc_u64 s[66:67], 0, s[58:59]
	v_xor_b32_e32 v24, v14, v3
	v_xor_b32_e32 v25, v15, v3
	s_wait_alu 0xfffe
	s_fmamk_f32 s0, s26, 0x4f800000, s0
	v_xor_b32_e32 v3, s56, v3
	s_wait_alu 0xfffe
	s_delay_alu instid0(SALU_CYCLE_1) | instskip(NEXT) | instid1(TRANS32_DEP_1)
	v_s_rcp_f32 s0, s0
	s_mul_f32 s0, s0, 0x5f7ffffc
	s_wait_alu 0xfffe
	s_delay_alu instid0(SALU_CYCLE_2) | instskip(SKIP_1) | instid1(SALU_CYCLE_2)
	s_mul_f32 s26, s0, 0x2f800000
	s_wait_alu 0xfffe
	s_trunc_f32 s26, s26
	s_wait_alu 0xfffe
	s_delay_alu instid0(SALU_CYCLE_2) | instskip(SKIP_2) | instid1(SALU_CYCLE_1)
	s_fmamk_f32 s0, s26, 0xcf800000, s0
	s_cvt_u32_f32 s65, s26
	s_wait_alu 0xfffe
	s_cvt_u32_f32 s64, s0
	s_delay_alu instid0(SALU_CYCLE_3) | instskip(NEXT) | instid1(SALU_CYCLE_1)
	s_mul_u64 s[68:69], s[66:67], s[64:65]
	s_mul_hi_u32 s71, s64, s69
	s_mul_i32 s70, s64, s69
	s_mul_hi_u32 s26, s64, s68
	s_mul_i32 s41, s65, s68
	s_wait_alu 0xfffe
	s_add_nc_u64 s[70:71], s[26:27], s[70:71]
	s_mul_hi_u32 s0, s65, s68
	s_mul_hi_u32 s57, s65, s69
	s_add_co_u32 s26, s70, s41
	s_wait_alu 0xfffe
	s_add_co_ci_u32 s26, s71, s0
	s_mul_i32 s68, s65, s69
	s_add_co_ci_u32 s69, s57, 0
	s_wait_alu 0xfffe
	s_add_nc_u64 s[68:69], s[26:27], s[68:69]
	s_delay_alu instid0(SALU_CYCLE_1) | instskip(SKIP_4) | instid1(SALU_CYCLE_1)
	s_add_co_u32 s64, s64, s68
	s_cselect_b32 s0, -1, 0
	s_wait_alu 0xfffe
	s_cmp_lg_u32 s0, 0
	s_add_co_ci_u32 s65, s65, s69
	s_mul_u64 s[66:67], s[66:67], s[64:65]
	s_delay_alu instid0(SALU_CYCLE_1)
	s_mul_hi_u32 s69, s64, s67
	s_mul_i32 s68, s64, s67
	s_mul_hi_u32 s26, s64, s66
	s_mul_i32 s41, s65, s66
	s_wait_alu 0xfffe
	s_add_nc_u64 s[68:69], s[26:27], s[68:69]
	s_mul_hi_u32 s0, s65, s66
	s_mul_hi_u32 s57, s65, s67
	s_add_co_u32 s26, s68, s41
	s_wait_alu 0xfffe
	s_add_co_ci_u32 s26, s69, s0
	s_mul_i32 s66, s65, s67
	s_add_co_ci_u32 s67, s57, 0
	s_wait_alu 0xfffe
	s_add_nc_u64 s[66:67], s[26:27], s[66:67]
	s_delay_alu instid0(SALU_CYCLE_1)
	s_add_co_u32 s0, s64, s66
	s_cselect_b32 s26, -1, 0
	s_wait_alu 0xfffe
	v_mul_hi_u32 v26, v24, s0
	s_cmp_lg_u32 s26, 0
	v_mad_co_u64_u32 v[20:21], null, v25, s0, 0
	s_add_co_ci_u32 s26, s65, s67
	s_wait_alu 0xfffe
	v_mad_co_u64_u32 v[14:15], null, v24, s26, 0
	v_mad_co_u64_u32 v[22:23], null, v25, s26, 0
	s_delay_alu instid0(VALU_DEP_2) | instskip(SKIP_1) | instid1(VALU_DEP_3)
	v_add_co_u32 v14, vcc_lo, v26, v14
	s_wait_alu 0xfffd
	v_add_co_ci_u32_e64 v15, null, 0, v15, vcc_lo
	s_delay_alu instid0(VALU_DEP_2) | instskip(SKIP_1) | instid1(VALU_DEP_2)
	v_add_co_u32 v14, vcc_lo, v14, v20
	s_wait_alu 0xfffd
	v_add_co_ci_u32_e32 v14, vcc_lo, v15, v21, vcc_lo
	s_wait_alu 0xfffd
	v_add_co_ci_u32_e32 v15, vcc_lo, 0, v23, vcc_lo
	s_delay_alu instid0(VALU_DEP_2) | instskip(SKIP_1) | instid1(VALU_DEP_2)
	v_add_co_u32 v20, vcc_lo, v14, v22
	s_wait_alu 0xfffd
	v_add_co_ci_u32_e64 v21, null, 0, v15, vcc_lo
	s_delay_alu instid0(VALU_DEP_2) | instskip(SKIP_1) | instid1(VALU_DEP_3)
	v_mul_lo_u32 v22, s59, v20
	v_mad_co_u64_u32 v[14:15], null, s58, v20, 0
	v_mul_lo_u32 v23, s58, v21
	s_delay_alu instid0(VALU_DEP_2) | instskip(NEXT) | instid1(VALU_DEP_2)
	v_sub_co_u32 v14, vcc_lo, v24, v14
	v_add3_u32 v15, v15, v23, v22
	v_add_co_u32 v23, s0, v20, 2
	s_wait_alu 0xf1ff
	v_add_co_ci_u32_e64 v24, null, 0, v21, s0
	s_delay_alu instid0(VALU_DEP_3) | instskip(SKIP_3) | instid1(VALU_DEP_3)
	v_sub_nc_u32_e32 v22, v25, v15
	v_sub_co_u32 v26, s0, v14, s58
	s_wait_alu 0xfffd
	v_sub_co_ci_u32_e64 v15, null, v25, v15, vcc_lo
	v_subrev_co_ci_u32_e64 v22, null, s59, v22, vcc_lo
	s_delay_alu instid0(VALU_DEP_3) | instskip(SKIP_1) | instid1(VALU_DEP_2)
	v_cmp_le_u32_e32 vcc_lo, s58, v26
	s_wait_alu 0xf1ff
	v_subrev_co_ci_u32_e64 v22, null, 0, v22, s0
	s_wait_alu 0xfffd
	v_cndmask_b32_e64 v25, 0, -1, vcc_lo
	s_delay_alu instid0(VALU_DEP_2)
	v_cmp_le_u32_e32 vcc_lo, s59, v22
	s_wait_alu 0xfffd
	v_cndmask_b32_e64 v26, 0, -1, vcc_lo
	v_cmp_le_u32_e32 vcc_lo, s58, v14
	s_wait_alu 0xfffd
	v_cndmask_b32_e64 v14, 0, -1, vcc_lo
	;; [unrolled: 3-line block ×3, first 2 shown]
	v_cmp_eq_u32_e32 vcc_lo, s59, v22
	s_wait_alu 0xfffd
	v_cndmask_b32_e32 v22, v26, v25, vcc_lo
	v_add_co_u32 v25, vcc_lo, v20, 1
	s_wait_alu 0xfffd
	v_add_co_ci_u32_e64 v26, null, 0, v21, vcc_lo
	v_cmp_eq_u32_e32 vcc_lo, s59, v15
	s_wait_alu 0xfffd
	v_cndmask_b32_e32 v14, v27, v14, vcc_lo
	v_cmp_ne_u32_e32 vcc_lo, 0, v22
	s_wait_alu 0xfffd
	v_cndmask_b32_e32 v15, v26, v24, vcc_lo
	s_delay_alu instid0(VALU_DEP_3) | instskip(SKIP_2) | instid1(VALU_DEP_2)
	v_cmp_ne_u32_e64 s0, 0, v14
	v_cndmask_b32_e32 v14, v25, v23, vcc_lo
	s_wait_alu 0xf1ff
	v_cndmask_b32_e64 v15, v21, v15, s0
	s_delay_alu instid0(VALU_DEP_2) | instskip(NEXT) | instid1(VALU_DEP_2)
	v_cndmask_b32_e64 v14, v20, v14, s0
	v_xor_b32_e32 v15, v15, v3
	s_delay_alu instid0(VALU_DEP_2) | instskip(NEXT) | instid1(VALU_DEP_1)
	v_xor_b32_e32 v14, v14, v3
	v_sub_co_u32 v14, vcc_lo, v14, v3
	s_wait_alu 0xfffd
	s_delay_alu instid0(VALU_DEP_3)
	v_sub_co_ci_u32_e64 v15, null, v15, v3, vcc_lo
.LBB11_27:                              ;   in Loop: Header=BB11_21 Depth=2
	s_wait_alu 0xfffe
	s_and_not1_saveexec_b32 s0, s1
	s_cbranch_execz .LBB11_20
; %bb.28:                               ;   in Loop: Header=BB11_21 Depth=2
	v_cvt_f32_u32_e32 v3, s54
	s_sub_co_i32 s1, 0, s54
	s_delay_alu instid0(VALU_DEP_1) | instskip(NEXT) | instid1(TRANS32_DEP_1)
	v_rcp_iflag_f32_e32 v3, v3
	v_mul_f32_e32 v3, 0x4f7ffffe, v3
	s_delay_alu instid0(VALU_DEP_1) | instskip(SKIP_1) | instid1(VALU_DEP_1)
	v_cvt_u32_f32_e32 v3, v3
	s_wait_alu 0xfffe
	v_mul_lo_u32 v14, s1, v3
	s_delay_alu instid0(VALU_DEP_1) | instskip(NEXT) | instid1(VALU_DEP_1)
	v_mul_hi_u32 v14, v3, v14
	v_add_nc_u32_e32 v3, v3, v14
	s_delay_alu instid0(VALU_DEP_1) | instskip(NEXT) | instid1(VALU_DEP_1)
	v_mul_hi_u32 v3, v12, v3
	v_mul_lo_u32 v14, v3, s54
	v_add_nc_u32_e32 v15, 1, v3
	s_delay_alu instid0(VALU_DEP_2) | instskip(NEXT) | instid1(VALU_DEP_1)
	v_sub_nc_u32_e32 v14, v12, v14
	v_subrev_nc_u32_e32 v20, s54, v14
	v_cmp_le_u32_e32 vcc_lo, s54, v14
	s_wait_alu 0xfffd
	s_delay_alu instid0(VALU_DEP_2) | instskip(NEXT) | instid1(VALU_DEP_1)
	v_dual_cndmask_b32 v14, v14, v20 :: v_dual_cndmask_b32 v3, v3, v15
	v_cmp_le_u32_e32 vcc_lo, s54, v14
	s_delay_alu instid0(VALU_DEP_2) | instskip(SKIP_1) | instid1(VALU_DEP_1)
	v_add_nc_u32_e32 v15, 1, v3
	s_wait_alu 0xfffd
	v_dual_cndmask_b32 v14, v3, v15 :: v_dual_mov_b32 v15, v2
	s_branch .LBB11_20
.LBB11_29:                              ;   in Loop: Header=BB11_3 Depth=1
	v_sub_co_u32 v10, vcc_lo, v4, v18
	s_wait_alu 0xfffd
	v_sub_co_ci_u32_e64 v11, null, v5, v19, vcc_lo
	v_dual_mov_b32 v13, 0 :: v_dual_mov_b32 v12, 0
	s_mov_b32 s0, exec_lo
	s_delay_alu instid0(VALU_DEP_2)
	v_cmpx_ge_i64_e64 s[4:5], v[10:11]
	s_cbranch_execz .LBB11_35
; %bb.30:                               ;   in Loop: Header=BB11_3 Depth=1
	v_dual_mov_b32 v12, 0 :: v_dual_mov_b32 v3, 0
	s_mov_b32 s1, exec_lo
	v_cmpx_gt_i64_e64 s[10:11], v[4:5]
	s_cbranch_execz .LBB11_34
; %bb.31:                               ;   in Loop: Header=BB11_3 Depth=1
	v_lshlrev_b64_e32 v[8:9], 2, v[8:9]
	v_mov_b32_e32 v3, 0
	s_mov_b32 s26, exec_lo
	s_delay_alu instid0(VALU_DEP_2) | instskip(SKIP_1) | instid1(VALU_DEP_3)
	v_add_co_u32 v8, vcc_lo, s2, v8
	s_wait_alu 0xfffd
	v_add_co_ci_u32_e64 v9, null, s3, v9, vcc_lo
	v_add_co_u32 v13, vcc_lo, v4, 1
	s_wait_alu 0xfffd
	v_add_co_ci_u32_e64 v14, null, 0, v5, vcc_lo
	global_load_b32 v12, v[8:9], off
	v_cmpx_gt_i64_e64 s[10:11], v[13:14]
	s_wait_alu 0xfffe
	s_xor_b32 s26, exec_lo, s26
	s_cbranch_execz .LBB11_33
; %bb.32:                               ;   in Loop: Header=BB11_3 Depth=1
	s_lshl_b64 s[42:43], s[14:15], 2
	s_wait_alu 0xfffe
	v_add_co_u32 v8, vcc_lo, v8, s42
	s_wait_alu 0xfffd
	v_add_co_ci_u32_e64 v9, null, s43, v9, vcc_lo
	global_load_b32 v3, v[8:9], off
.LBB11_33:                              ;   in Loop: Header=BB11_3 Depth=1
	s_wait_alu 0xfffe
	s_or_b32 exec_lo, exec_lo, s26
.LBB11_34:                              ;   in Loop: Header=BB11_3 Depth=1
	s_wait_alu 0xfffe
	s_or_b32 exec_lo, exec_lo, s1
	v_add_co_u32 v8, vcc_lo, v10, 1
	s_wait_alu 0xfffd
	v_add_co_ci_u32_e64 v9, null, 0, v11, vcc_lo
	s_delay_alu instid0(VALU_DEP_1)
	v_cmp_ge_i64_e32 vcc_lo, s[4:5], v[8:9]
	s_wait_loadcnt 0x0
	s_wait_alu 0xfffd
	v_cndmask_b32_e32 v13, 0, v3, vcc_lo
.LBB11_35:                              ;   in Loop: Header=BB11_3 Depth=1
	s_wait_alu 0xfffe
	s_or_b32 exec_lo, exec_lo, s0
	s_delay_alu instid0(SALU_CYCLE_1)
	s_mov_b32 s0, exec_lo
	v_cmpx_gt_i64_e64 s[10:11], v[4:5]
	s_cbranch_execz .LBB11_2
; %bb.36:                               ;   in Loop: Header=BB11_3 Depth=1
	v_lshlrev_b64_e32 v[6:7], 2, v[6:7]
	v_add_co_u32 v8, vcc_lo, v4, 1
	s_wait_alu 0xfffd
	v_add_co_ci_u32_e64 v9, null, 0, v5, vcc_lo
	s_mov_b32 s1, exec_lo
	v_add_co_u32 v3, vcc_lo, s24, v6
	s_wait_alu 0xfffd
	v_add_co_ci_u32_e64 v4, null, s25, v7, vcc_lo
	global_store_b32 v[3:4], v12, off
	v_cmpx_gt_i64_e64 s[10:11], v[8:9]
	s_wait_alu 0xfffe
	s_xor_b32 s1, exec_lo, s1
	s_cbranch_execz .LBB11_2
; %bb.37:                               ;   in Loop: Header=BB11_3 Depth=1
	s_lshl_b64 s[42:43], s[18:19], 2
	s_wait_alu 0xfffe
	v_add_co_u32 v3, vcc_lo, v3, s42
	s_wait_alu 0xfffd
	v_add_co_ci_u32_e64 v4, null, s43, v4, vcc_lo
	global_store_b32 v[3:4], v13, off
	s_branch .LBB11_2
.LBB11_38:
	s_endpgm
	.section	.rodata,"a",@progbits
	.p2align	6, 0x0
	.amdhsa_kernel _ZN2at6native16triu_tril_kernelIilLb0ELi2ELb0EEEvNS_4cuda6detail10TensorInfoIT_T0_EENS4_IKS5_S6_EEllS6_
		.amdhsa_group_segment_fixed_size 0
		.amdhsa_private_segment_fixed_size 0
		.amdhsa_kernarg_size 1112
		.amdhsa_user_sgpr_count 2
		.amdhsa_user_sgpr_dispatch_ptr 0
		.amdhsa_user_sgpr_queue_ptr 0
		.amdhsa_user_sgpr_kernarg_segment_ptr 1
		.amdhsa_user_sgpr_dispatch_id 0
		.amdhsa_user_sgpr_private_segment_size 0
		.amdhsa_wavefront_size32 1
		.amdhsa_uses_dynamic_stack 0
		.amdhsa_enable_private_segment 0
		.amdhsa_system_sgpr_workgroup_id_x 1
		.amdhsa_system_sgpr_workgroup_id_y 0
		.amdhsa_system_sgpr_workgroup_id_z 0
		.amdhsa_system_sgpr_workgroup_info 0
		.amdhsa_system_vgpr_workitem_id 0
		.amdhsa_next_free_vgpr 28
		.amdhsa_next_free_sgpr 72
		.amdhsa_reserve_vcc 1
		.amdhsa_float_round_mode_32 0
		.amdhsa_float_round_mode_16_64 0
		.amdhsa_float_denorm_mode_32 3
		.amdhsa_float_denorm_mode_16_64 3
		.amdhsa_fp16_overflow 0
		.amdhsa_workgroup_processor_mode 1
		.amdhsa_memory_ordered 1
		.amdhsa_forward_progress 1
		.amdhsa_inst_pref_size 51
		.amdhsa_round_robin_scheduling 0
		.amdhsa_exception_fp_ieee_invalid_op 0
		.amdhsa_exception_fp_denorm_src 0
		.amdhsa_exception_fp_ieee_div_zero 0
		.amdhsa_exception_fp_ieee_overflow 0
		.amdhsa_exception_fp_ieee_underflow 0
		.amdhsa_exception_fp_ieee_inexact 0
		.amdhsa_exception_int_div_zero 0
	.end_amdhsa_kernel
	.section	.text._ZN2at6native16triu_tril_kernelIilLb0ELi2ELb0EEEvNS_4cuda6detail10TensorInfoIT_T0_EENS4_IKS5_S6_EEllS6_,"axG",@progbits,_ZN2at6native16triu_tril_kernelIilLb0ELi2ELb0EEEvNS_4cuda6detail10TensorInfoIT_T0_EENS4_IKS5_S6_EEllS6_,comdat
.Lfunc_end11:
	.size	_ZN2at6native16triu_tril_kernelIilLb0ELi2ELb0EEEvNS_4cuda6detail10TensorInfoIT_T0_EENS4_IKS5_S6_EEllS6_, .Lfunc_end11-_ZN2at6native16triu_tril_kernelIilLb0ELi2ELb0EEEvNS_4cuda6detail10TensorInfoIT_T0_EENS4_IKS5_S6_EEllS6_
                                        ; -- End function
	.set _ZN2at6native16triu_tril_kernelIilLb0ELi2ELb0EEEvNS_4cuda6detail10TensorInfoIT_T0_EENS4_IKS5_S6_EEllS6_.num_vgpr, 28
	.set _ZN2at6native16triu_tril_kernelIilLb0ELi2ELb0EEEvNS_4cuda6detail10TensorInfoIT_T0_EENS4_IKS5_S6_EEllS6_.num_agpr, 0
	.set _ZN2at6native16triu_tril_kernelIilLb0ELi2ELb0EEEvNS_4cuda6detail10TensorInfoIT_T0_EENS4_IKS5_S6_EEllS6_.numbered_sgpr, 72
	.set _ZN2at6native16triu_tril_kernelIilLb0ELi2ELb0EEEvNS_4cuda6detail10TensorInfoIT_T0_EENS4_IKS5_S6_EEllS6_.num_named_barrier, 0
	.set _ZN2at6native16triu_tril_kernelIilLb0ELi2ELb0EEEvNS_4cuda6detail10TensorInfoIT_T0_EENS4_IKS5_S6_EEllS6_.private_seg_size, 0
	.set _ZN2at6native16triu_tril_kernelIilLb0ELi2ELb0EEEvNS_4cuda6detail10TensorInfoIT_T0_EENS4_IKS5_S6_EEllS6_.uses_vcc, 1
	.set _ZN2at6native16triu_tril_kernelIilLb0ELi2ELb0EEEvNS_4cuda6detail10TensorInfoIT_T0_EENS4_IKS5_S6_EEllS6_.uses_flat_scratch, 0
	.set _ZN2at6native16triu_tril_kernelIilLb0ELi2ELb0EEEvNS_4cuda6detail10TensorInfoIT_T0_EENS4_IKS5_S6_EEllS6_.has_dyn_sized_stack, 0
	.set _ZN2at6native16triu_tril_kernelIilLb0ELi2ELb0EEEvNS_4cuda6detail10TensorInfoIT_T0_EENS4_IKS5_S6_EEllS6_.has_recursion, 0
	.set _ZN2at6native16triu_tril_kernelIilLb0ELi2ELb0EEEvNS_4cuda6detail10TensorInfoIT_T0_EENS4_IKS5_S6_EEllS6_.has_indirect_call, 0
	.section	.AMDGPU.csdata,"",@progbits
; Kernel info:
; codeLenInByte = 6472
; TotalNumSgprs: 74
; NumVgprs: 28
; ScratchSize: 0
; MemoryBound: 0
; FloatMode: 240
; IeeeMode: 1
; LDSByteSize: 0 bytes/workgroup (compile time only)
; SGPRBlocks: 0
; VGPRBlocks: 3
; NumSGPRsForWavesPerEU: 74
; NumVGPRsForWavesPerEU: 28
; Occupancy: 16
; WaveLimiterHint : 0
; COMPUTE_PGM_RSRC2:SCRATCH_EN: 0
; COMPUTE_PGM_RSRC2:USER_SGPR: 2
; COMPUTE_PGM_RSRC2:TRAP_HANDLER: 0
; COMPUTE_PGM_RSRC2:TGID_X_EN: 1
; COMPUTE_PGM_RSRC2:TGID_Y_EN: 0
; COMPUTE_PGM_RSRC2:TGID_Z_EN: 0
; COMPUTE_PGM_RSRC2:TIDIG_COMP_CNT: 0
	.section	.text._ZN2at6native16triu_tril_kernelIliLb0ELi2ELb1EEEvNS_4cuda6detail10TensorInfoIT_T0_EENS4_IKS5_S6_EEllS6_,"axG",@progbits,_ZN2at6native16triu_tril_kernelIliLb0ELi2ELb1EEEvNS_4cuda6detail10TensorInfoIT_T0_EENS4_IKS5_S6_EEllS6_,comdat
	.protected	_ZN2at6native16triu_tril_kernelIliLb0ELi2ELb1EEEvNS_4cuda6detail10TensorInfoIT_T0_EENS4_IKS5_S6_EEllS6_ ; -- Begin function _ZN2at6native16triu_tril_kernelIliLb0ELi2ELb1EEEvNS_4cuda6detail10TensorInfoIT_T0_EENS4_IKS5_S6_EEllS6_
	.globl	_ZN2at6native16triu_tril_kernelIliLb0ELi2ELb1EEEvNS_4cuda6detail10TensorInfoIT_T0_EENS4_IKS5_S6_EEllS6_
	.p2align	8
	.type	_ZN2at6native16triu_tril_kernelIliLb0ELi2ELb1EEEvNS_4cuda6detail10TensorInfoIT_T0_EENS4_IKS5_S6_EEllS6_,@function
_ZN2at6native16triu_tril_kernelIliLb0ELi2ELb1EEEvNS_4cuda6detail10TensorInfoIT_T0_EENS4_IKS5_S6_EEllS6_: ; @_ZN2at6native16triu_tril_kernelIliLb0ELi2ELb1EEEvNS_4cuda6detail10TensorInfoIT_T0_EENS4_IKS5_S6_EEllS6_
; %bb.0:
	s_clause 0x1
	s_load_b32 s2, s[0:1], 0x1d4
	s_load_b128 s[4:7], s[0:1], 0x1b0
	v_mov_b32_e32 v2, 0
	s_mov_b32 s3, exec_lo
	s_delay_alu instid0(VALU_DEP_1)
	v_mov_b32_e32 v1, v2
	s_wait_kmcnt 0x0
	s_and_b32 s2, s2, 0xffff
	s_delay_alu instid0(VALU_DEP_1) | instid1(SALU_CYCLE_1)
	v_mad_co_u64_u32 v[0:1], null, s2, ttmp9, v[0:1]
	s_delay_alu instid0(VALU_DEP_1) | instskip(NEXT) | instid1(VALU_DEP_1)
	v_lshlrev_b64_e32 v[0:1], 1, v[0:1]
	v_cmpx_gt_i64_e64 s[6:7], v[0:1]
	s_cbranch_execz .LBB12_62
; %bb.1:
	s_clause 0x1
	s_load_b32 s20, s[0:1], 0x1a8
	s_load_b32 s8, s[0:1], 0x1c0
	s_add_nc_u64 s[12:13], s[0:1], 0x1c8
	s_add_nc_u64 s[10:11], s[0:1], 0xd8
	s_load_b32 s3, s[12:13], 0x0
	s_mov_b32 s19, 0
	s_mov_b32 s57, 0
	s_wait_kmcnt 0x0
	s_ashr_i32 s21, s20, 31
	v_cvt_f32_u32_e32 v3, s8
	s_lshl_b64 s[22:23], s[20:21], 2
	s_add_co_i32 s9, s20, 6
	s_add_nc_u64 s[12:13], s[10:11], s[22:23]
	s_mul_i32 s3, s3, s2
	s_clause 0x1
	s_load_b32 s14, s[12:13], 0x0
	s_load_b64 s[16:17], s[0:1], 0x0
	v_rcp_iflag_f32_e32 v3, v3
	s_and_b32 s18, s20, 7
	s_add_co_i32 s33, s20, -3
	s_and_b32 s52, s9, 7
	s_lshl_b32 s53, s3, 1
	s_ashr_i32 s9, s8, 31
	v_cmp_gt_i64_e64 s56, s[20:21], 2
	s_add_nc_u64 s[20:21], s[0:1], s[22:23]
	s_wait_kmcnt 0x0
	v_cvt_f32_u32_e32 v4, s14
	s_ashr_i32 s15, s14, 31
	s_cmp_lg_u32 s18, 2
	s_cselect_b32 s54, -1, 0
	s_delay_alu instid0(VALU_DEP_1)
	v_rcp_iflag_f32_e32 v4, v4
	v_mul_f32_e32 v3, 0x4f7ffffe, v3
	s_cmp_gt_u32 s33, 6
	s_cselect_b32 s55, -1, 0
	s_sub_co_i32 s2, 0, s8
	s_wait_alu 0xfffe
	s_ashr_i32 s22, s9, 31
	s_ashr_i32 s24, s15, 31
	s_delay_alu instid0(TRANS32_DEP_1) | instskip(SKIP_1) | instid1(VALU_DEP_2)
	v_mul_f32_e32 v4, 0x4f7ffffe, v4
	v_cvt_u32_f32_e32 v3, v3
	v_cvt_u32_f32_e32 v25, v4
	s_delay_alu instid0(VALU_DEP_2) | instskip(NEXT) | instid1(VALU_DEP_1)
	v_mul_lo_u32 v5, s2, v3
	v_mul_hi_u32 v5, v3, v5
	s_delay_alu instid0(VALU_DEP_1)
	v_add_nc_u32_e32 v26, v3, v5
	s_branch .LBB12_3
.LBB12_2:                               ;   in Loop: Header=BB12_3 Depth=1
	s_wait_alu 0xfffe
	s_or_b32 exec_lo, exec_lo, s23
	v_add_co_u32 v0, vcc_lo, v0, s53
	s_wait_alu 0xfffd
	v_add_co_ci_u32_e64 v1, null, 0, v1, vcc_lo
	s_delay_alu instid0(VALU_DEP_1) | instskip(SKIP_1) | instid1(SALU_CYCLE_1)
	v_cmp_le_i64_e32 vcc_lo, s[6:7], v[0:1]
	s_or_b32 s57, vcc_lo, s57
	s_and_not1_b32 exec_lo, exec_lo, s57
	s_cbranch_execz .LBB12_62
.LBB12_3:                               ; =>This Loop Header: Depth=1
                                        ;     Child Loop BB12_16 Depth 2
                                        ;     Child Loop BB12_22 Depth 2
	v_or_b32_e32 v3, s9, v1
                                        ; implicit-def: $vgpr4_vgpr5
	s_mov_b32 s2, exec_lo
	s_delay_alu instid0(VALU_DEP_1)
	v_cmpx_ne_u64_e32 0, v[2:3]
	s_wait_alu 0xfffe
	s_xor_b32 s3, exec_lo, s2
	s_cbranch_execz .LBB12_5
; %bb.4:                                ;   in Loop: Header=BB12_3 Depth=1
	s_mov_b32 s23, s22
	v_ashrrev_i32_e32 v9, 31, v1
	s_wait_alu 0xfffe
	s_add_nc_u64 s[26:27], s[8:9], s[22:23]
	s_wait_alu 0xfffe
	s_xor_b64 s[26:27], s[26:27], s[22:23]
	v_add_co_u32 v3, vcc_lo, v0, v9
	s_wait_alu 0xfffe
	s_cvt_f32_u32 s2, s26
	s_cvt_f32_u32 s18, s27
	s_sub_nc_u64 s[30:31], 0, s[26:27]
	s_wait_alu 0xfffd
	v_add_co_ci_u32_e64 v4, null, v1, v9, vcc_lo
	s_wait_alu 0xfffe
	s_fmamk_f32 s2, s18, 0x4f800000, s2
	v_xor_b32_e32 v10, v3, v9
	s_delay_alu instid0(VALU_DEP_2) | instskip(SKIP_2) | instid1(TRANS32_DEP_1)
	v_xor_b32_e32 v11, v4, v9
	s_wait_alu 0xfffe
	v_s_rcp_f32 s2, s2
	s_mul_f32 s2, s2, 0x5f7ffffc
	s_wait_alu 0xfffe
	s_delay_alu instid0(SALU_CYCLE_2) | instskip(SKIP_1) | instid1(SALU_CYCLE_2)
	s_mul_f32 s18, s2, 0x2f800000
	s_wait_alu 0xfffe
	s_trunc_f32 s18, s18
	s_wait_alu 0xfffe
	s_delay_alu instid0(SALU_CYCLE_2) | instskip(SKIP_2) | instid1(SALU_CYCLE_1)
	s_fmamk_f32 s2, s18, 0xcf800000, s2
	s_cvt_u32_f32 s29, s18
	s_wait_alu 0xfffe
	s_cvt_u32_f32 s28, s2
	s_wait_alu 0xfffe
	s_delay_alu instid0(SALU_CYCLE_2)
	s_mul_u64 s[34:35], s[30:31], s[28:29]
	s_wait_alu 0xfffe
	s_mul_hi_u32 s37, s28, s35
	s_mul_i32 s36, s28, s35
	s_mul_hi_u32 s18, s28, s34
	s_mul_i32 s23, s29, s34
	s_wait_alu 0xfffe
	s_add_nc_u64 s[36:37], s[18:19], s[36:37]
	s_mul_hi_u32 s2, s29, s34
	s_mul_hi_u32 s25, s29, s35
	s_wait_alu 0xfffe
	s_add_co_u32 s18, s36, s23
	s_add_co_ci_u32 s18, s37, s2
	s_mul_i32 s34, s29, s35
	s_add_co_ci_u32 s35, s25, 0
	s_wait_alu 0xfffe
	s_add_nc_u64 s[34:35], s[18:19], s[34:35]
	s_wait_alu 0xfffe
	s_add_co_u32 s28, s28, s34
	s_cselect_b32 s2, -1, 0
	s_wait_alu 0xfffe
	s_cmp_lg_u32 s2, 0
	s_add_co_ci_u32 s29, s29, s35
	s_wait_alu 0xfffe
	s_mul_u64 s[30:31], s[30:31], s[28:29]
	s_wait_alu 0xfffe
	s_mul_hi_u32 s35, s28, s31
	s_mul_i32 s34, s28, s31
	s_mul_hi_u32 s18, s28, s30
	s_mul_i32 s23, s29, s30
	s_wait_alu 0xfffe
	s_add_nc_u64 s[34:35], s[18:19], s[34:35]
	s_mul_hi_u32 s2, s29, s30
	s_mul_hi_u32 s25, s29, s31
	s_wait_alu 0xfffe
	s_add_co_u32 s18, s34, s23
	s_add_co_ci_u32 s18, s35, s2
	s_mul_i32 s30, s29, s31
	s_add_co_ci_u32 s31, s25, 0
	s_wait_alu 0xfffe
	s_add_nc_u64 s[30:31], s[18:19], s[30:31]
	s_wait_alu 0xfffe
	s_add_co_u32 s2, s28, s30
	s_cselect_b32 s18, -1, 0
	s_wait_alu 0xfffe
	v_mul_hi_u32 v12, v10, s2
	s_cmp_lg_u32 s18, 0
	v_mad_co_u64_u32 v[5:6], null, v11, s2, 0
	s_add_co_ci_u32 s18, s29, s31
	s_wait_alu 0xfffe
	v_mad_co_u64_u32 v[3:4], null, v10, s18, 0
	v_mad_co_u64_u32 v[7:8], null, v11, s18, 0
	s_delay_alu instid0(VALU_DEP_2) | instskip(SKIP_1) | instid1(VALU_DEP_3)
	v_add_co_u32 v3, vcc_lo, v12, v3
	s_wait_alu 0xfffd
	v_add_co_ci_u32_e64 v4, null, 0, v4, vcc_lo
	s_delay_alu instid0(VALU_DEP_2) | instskip(SKIP_1) | instid1(VALU_DEP_2)
	v_add_co_u32 v3, vcc_lo, v3, v5
	s_wait_alu 0xfffd
	v_add_co_ci_u32_e32 v3, vcc_lo, v4, v6, vcc_lo
	s_wait_alu 0xfffd
	v_add_co_ci_u32_e32 v4, vcc_lo, 0, v8, vcc_lo
	s_delay_alu instid0(VALU_DEP_2) | instskip(SKIP_1) | instid1(VALU_DEP_2)
	v_add_co_u32 v5, vcc_lo, v3, v7
	s_wait_alu 0xfffd
	v_add_co_ci_u32_e64 v6, null, 0, v4, vcc_lo
	s_delay_alu instid0(VALU_DEP_2) | instskip(SKIP_1) | instid1(VALU_DEP_3)
	v_mul_lo_u32 v7, s27, v5
	v_mad_co_u64_u32 v[3:4], null, s26, v5, 0
	v_mul_lo_u32 v8, s26, v6
	s_delay_alu instid0(VALU_DEP_2) | instskip(NEXT) | instid1(VALU_DEP_2)
	v_sub_co_u32 v3, vcc_lo, v10, v3
	v_add3_u32 v4, v4, v8, v7
	v_add_co_u32 v8, s2, v5, 2
	s_wait_alu 0xf1ff
	v_add_co_ci_u32_e64 v10, null, 0, v6, s2
	s_delay_alu instid0(VALU_DEP_3) | instskip(SKIP_3) | instid1(VALU_DEP_3)
	v_sub_nc_u32_e32 v7, v11, v4
	v_sub_co_u32 v12, s2, v3, s26
	s_wait_alu 0xfffd
	v_sub_co_ci_u32_e64 v4, null, v11, v4, vcc_lo
	v_subrev_co_ci_u32_e64 v7, null, s27, v7, vcc_lo
	s_delay_alu instid0(VALU_DEP_3) | instskip(SKIP_1) | instid1(VALU_DEP_2)
	v_cmp_le_u32_e32 vcc_lo, s26, v12
	s_wait_alu 0xf1ff
	v_subrev_co_ci_u32_e64 v7, null, 0, v7, s2
	s_wait_alu 0xfffd
	v_cndmask_b32_e64 v11, 0, -1, vcc_lo
	s_delay_alu instid0(VALU_DEP_2)
	v_cmp_le_u32_e32 vcc_lo, s27, v7
	s_wait_alu 0xfffd
	v_cndmask_b32_e64 v12, 0, -1, vcc_lo
	v_cmp_le_u32_e32 vcc_lo, s26, v3
	s_wait_alu 0xfffd
	v_cndmask_b32_e64 v3, 0, -1, vcc_lo
	;; [unrolled: 3-line block ×3, first 2 shown]
	v_cmp_eq_u32_e32 vcc_lo, s27, v7
	s_wait_alu 0xfffd
	v_cndmask_b32_e32 v7, v12, v11, vcc_lo
	v_add_co_u32 v11, vcc_lo, v5, 1
	s_wait_alu 0xfffd
	v_add_co_ci_u32_e64 v12, null, 0, v6, vcc_lo
	v_cmp_eq_u32_e32 vcc_lo, s27, v4
	s_wait_alu 0xfffd
	v_cndmask_b32_e32 v3, v13, v3, vcc_lo
	v_cmp_ne_u32_e32 vcc_lo, 0, v7
	v_xor_b32_e32 v7, s22, v9
	s_wait_alu 0xfffd
	v_cndmask_b32_e32 v4, v12, v10, vcc_lo
	v_cmp_ne_u32_e64 s2, 0, v3
	v_cndmask_b32_e32 v3, v11, v8, vcc_lo
	s_wait_alu 0xf1ff
	s_delay_alu instid0(VALU_DEP_2) | instskip(NEXT) | instid1(VALU_DEP_2)
	v_cndmask_b32_e64 v4, v6, v4, s2
	v_cndmask_b32_e64 v3, v5, v3, s2
	s_delay_alu instid0(VALU_DEP_2) | instskip(NEXT) | instid1(VALU_DEP_2)
	v_xor_b32_e32 v5, v4, v7
	v_xor_b32_e32 v3, v3, v7
	s_delay_alu instid0(VALU_DEP_1) | instskip(SKIP_1) | instid1(VALU_DEP_3)
	v_sub_co_u32 v4, vcc_lo, v3, v7
	s_wait_alu 0xfffd
	v_sub_co_ci_u32_e64 v5, null, v5, v7, vcc_lo
.LBB12_5:                               ;   in Loop: Header=BB12_3 Depth=1
	s_wait_alu 0xfffe
	s_and_not1_saveexec_b32 s2, s3
	s_cbranch_execz .LBB12_7
; %bb.6:                                ;   in Loop: Header=BB12_3 Depth=1
	v_mul_hi_u32 v3, v0, v26
	s_delay_alu instid0(VALU_DEP_1) | instskip(NEXT) | instid1(VALU_DEP_1)
	v_mul_lo_u32 v4, v3, s8
	v_sub_nc_u32_e32 v4, v0, v4
	s_delay_alu instid0(VALU_DEP_1) | instskip(SKIP_2) | instid1(VALU_DEP_2)
	v_subrev_nc_u32_e32 v6, s8, v4
	v_cmp_le_u32_e32 vcc_lo, s8, v4
	s_wait_alu 0xfffd
	v_dual_cndmask_b32 v4, v4, v6 :: v_dual_add_nc_u32 v5, 1, v3
	s_delay_alu instid0(VALU_DEP_1) | instskip(NEXT) | instid1(VALU_DEP_2)
	v_cndmask_b32_e32 v3, v3, v5, vcc_lo
	v_cmp_le_u32_e32 vcc_lo, s8, v4
	s_delay_alu instid0(VALU_DEP_2) | instskip(SKIP_1) | instid1(VALU_DEP_1)
	v_add_nc_u32_e32 v5, 1, v3
	s_wait_alu 0xfffd
	v_dual_cndmask_b32 v4, v3, v5 :: v_dual_mov_b32 v5, v2
.LBB12_7:                               ;   in Loop: Header=BB12_3 Depth=1
	s_wait_alu 0xfffe
	s_or_b32 exec_lo, exec_lo, s2
	s_delay_alu instid0(VALU_DEP_1) | instskip(SKIP_1) | instid1(VALU_DEP_1)
	v_or_b32_e32 v3, s15, v5
                                        ; implicit-def: $vgpr7_vgpr8
	s_mov_b32 s2, exec_lo
	v_cmpx_ne_u64_e32 0, v[2:3]
	s_wait_alu 0xfffe
	s_xor_b32 s3, exec_lo, s2
	s_cbranch_execz .LBB12_9
; %bb.8:                                ;   in Loop: Header=BB12_3 Depth=1
	s_mov_b32 s25, s24
	v_ashrrev_i32_e32 v3, 31, v5
	s_wait_alu 0xfffe
	s_add_nc_u64 s[26:27], s[14:15], s[24:25]
	s_wait_alu 0xfffe
	s_xor_b64 s[26:27], s[26:27], s[24:25]
	v_add_co_u32 v6, vcc_lo, v4, v3
	s_wait_alu 0xfffe
	s_cvt_f32_u32 s2, s26
	s_cvt_f32_u32 s18, s27
	s_sub_nc_u64 s[30:31], 0, s[26:27]
	s_wait_alu 0xfffd
	v_add_co_ci_u32_e64 v5, null, v5, v3, vcc_lo
	s_wait_alu 0xfffe
	s_fmamk_f32 s2, s18, 0x4f800000, s2
	v_xor_b32_e32 v11, v6, v3
	s_delay_alu instid0(VALU_DEP_2) | instskip(SKIP_3) | instid1(TRANS32_DEP_1)
	v_xor_b32_e32 v12, v5, v3
	s_wait_alu 0xfffe
	v_s_rcp_f32 s2, s2
	v_xor_b32_e32 v3, s24, v3
	s_mul_f32 s2, s2, 0x5f7ffffc
	s_wait_alu 0xfffe
	s_delay_alu instid0(SALU_CYCLE_2) | instskip(SKIP_1) | instid1(SALU_CYCLE_2)
	s_mul_f32 s18, s2, 0x2f800000
	s_wait_alu 0xfffe
	s_trunc_f32 s18, s18
	s_wait_alu 0xfffe
	s_delay_alu instid0(SALU_CYCLE_2) | instskip(SKIP_2) | instid1(SALU_CYCLE_1)
	s_fmamk_f32 s2, s18, 0xcf800000, s2
	s_cvt_u32_f32 s29, s18
	s_wait_alu 0xfffe
	s_cvt_u32_f32 s28, s2
	s_wait_alu 0xfffe
	s_delay_alu instid0(SALU_CYCLE_2)
	s_mul_u64 s[34:35], s[30:31], s[28:29]
	s_wait_alu 0xfffe
	s_mul_hi_u32 s37, s28, s35
	s_mul_i32 s36, s28, s35
	s_mul_hi_u32 s18, s28, s34
	s_mul_i32 s23, s29, s34
	s_wait_alu 0xfffe
	s_add_nc_u64 s[36:37], s[18:19], s[36:37]
	s_mul_hi_u32 s2, s29, s34
	s_mul_hi_u32 s25, s29, s35
	s_wait_alu 0xfffe
	s_add_co_u32 s18, s36, s23
	s_add_co_ci_u32 s18, s37, s2
	s_mul_i32 s34, s29, s35
	s_add_co_ci_u32 s35, s25, 0
	s_wait_alu 0xfffe
	s_add_nc_u64 s[34:35], s[18:19], s[34:35]
	s_wait_alu 0xfffe
	s_add_co_u32 s28, s28, s34
	s_cselect_b32 s2, -1, 0
	s_wait_alu 0xfffe
	s_cmp_lg_u32 s2, 0
	s_add_co_ci_u32 s29, s29, s35
	s_wait_alu 0xfffe
	s_mul_u64 s[30:31], s[30:31], s[28:29]
	s_wait_alu 0xfffe
	s_mul_hi_u32 s35, s28, s31
	s_mul_i32 s34, s28, s31
	s_mul_hi_u32 s18, s28, s30
	s_mul_i32 s23, s29, s30
	s_wait_alu 0xfffe
	s_add_nc_u64 s[34:35], s[18:19], s[34:35]
	s_mul_hi_u32 s2, s29, s30
	s_mul_hi_u32 s25, s29, s31
	s_wait_alu 0xfffe
	s_add_co_u32 s18, s34, s23
	s_add_co_ci_u32 s18, s35, s2
	s_mul_i32 s30, s29, s31
	s_add_co_ci_u32 s31, s25, 0
	s_wait_alu 0xfffe
	s_add_nc_u64 s[30:31], s[18:19], s[30:31]
	s_wait_alu 0xfffe
	s_add_co_u32 s2, s28, s30
	s_cselect_b32 s18, -1, 0
	s_wait_alu 0xfffe
	v_mul_hi_u32 v13, v11, s2
	s_cmp_lg_u32 s18, 0
	v_mad_co_u64_u32 v[7:8], null, v12, s2, 0
	s_add_co_ci_u32 s18, s29, s31
	s_wait_alu 0xfffe
	v_mad_co_u64_u32 v[5:6], null, v11, s18, 0
	v_mad_co_u64_u32 v[9:10], null, v12, s18, 0
	s_delay_alu instid0(VALU_DEP_2) | instskip(SKIP_1) | instid1(VALU_DEP_3)
	v_add_co_u32 v5, vcc_lo, v13, v5
	s_wait_alu 0xfffd
	v_add_co_ci_u32_e64 v6, null, 0, v6, vcc_lo
	s_delay_alu instid0(VALU_DEP_2) | instskip(SKIP_1) | instid1(VALU_DEP_2)
	v_add_co_u32 v5, vcc_lo, v5, v7
	s_wait_alu 0xfffd
	v_add_co_ci_u32_e32 v5, vcc_lo, v6, v8, vcc_lo
	s_wait_alu 0xfffd
	v_add_co_ci_u32_e32 v6, vcc_lo, 0, v10, vcc_lo
	s_delay_alu instid0(VALU_DEP_2) | instskip(SKIP_1) | instid1(VALU_DEP_2)
	v_add_co_u32 v7, vcc_lo, v5, v9
	s_wait_alu 0xfffd
	v_add_co_ci_u32_e64 v8, null, 0, v6, vcc_lo
	s_delay_alu instid0(VALU_DEP_2) | instskip(SKIP_1) | instid1(VALU_DEP_3)
	v_mul_lo_u32 v9, s27, v7
	v_mad_co_u64_u32 v[5:6], null, s26, v7, 0
	v_mul_lo_u32 v10, s26, v8
	s_delay_alu instid0(VALU_DEP_2) | instskip(NEXT) | instid1(VALU_DEP_2)
	v_sub_co_u32 v5, vcc_lo, v11, v5
	v_add3_u32 v6, v6, v10, v9
	v_add_co_u32 v10, s2, v7, 2
	s_wait_alu 0xf1ff
	v_add_co_ci_u32_e64 v11, null, 0, v8, s2
	s_delay_alu instid0(VALU_DEP_3) | instskip(SKIP_3) | instid1(VALU_DEP_3)
	v_sub_nc_u32_e32 v9, v12, v6
	v_sub_co_u32 v13, s2, v5, s26
	s_wait_alu 0xfffd
	v_sub_co_ci_u32_e64 v6, null, v12, v6, vcc_lo
	v_subrev_co_ci_u32_e64 v9, null, s27, v9, vcc_lo
	s_delay_alu instid0(VALU_DEP_3) | instskip(SKIP_1) | instid1(VALU_DEP_2)
	v_cmp_le_u32_e32 vcc_lo, s26, v13
	s_wait_alu 0xf1ff
	v_subrev_co_ci_u32_e64 v9, null, 0, v9, s2
	s_wait_alu 0xfffd
	v_cndmask_b32_e64 v12, 0, -1, vcc_lo
	s_delay_alu instid0(VALU_DEP_2)
	v_cmp_le_u32_e32 vcc_lo, s27, v9
	s_wait_alu 0xfffd
	v_cndmask_b32_e64 v13, 0, -1, vcc_lo
	v_cmp_le_u32_e32 vcc_lo, s26, v5
	s_wait_alu 0xfffd
	v_cndmask_b32_e64 v5, 0, -1, vcc_lo
	;; [unrolled: 3-line block ×3, first 2 shown]
	v_cmp_eq_u32_e32 vcc_lo, s27, v9
	s_wait_alu 0xfffd
	v_cndmask_b32_e32 v9, v13, v12, vcc_lo
	v_add_co_u32 v12, vcc_lo, v7, 1
	s_wait_alu 0xfffd
	v_add_co_ci_u32_e64 v13, null, 0, v8, vcc_lo
	v_cmp_eq_u32_e32 vcc_lo, s27, v6
	s_wait_alu 0xfffd
	v_cndmask_b32_e32 v5, v14, v5, vcc_lo
	v_cmp_ne_u32_e32 vcc_lo, 0, v9
	s_wait_alu 0xfffd
	v_cndmask_b32_e32 v6, v13, v11, vcc_lo
	s_delay_alu instid0(VALU_DEP_3) | instskip(SKIP_2) | instid1(VALU_DEP_2)
	v_cmp_ne_u32_e64 s2, 0, v5
	v_cndmask_b32_e32 v5, v12, v10, vcc_lo
	s_wait_alu 0xf1ff
	v_cndmask_b32_e64 v6, v8, v6, s2
	s_delay_alu instid0(VALU_DEP_2) | instskip(NEXT) | instid1(VALU_DEP_2)
	v_cndmask_b32_e64 v5, v7, v5, s2
	v_xor_b32_e32 v6, v6, v3
	s_delay_alu instid0(VALU_DEP_2) | instskip(NEXT) | instid1(VALU_DEP_1)
	v_xor_b32_e32 v5, v5, v3
	v_sub_co_u32 v7, vcc_lo, v5, v3
	s_wait_alu 0xfffd
	s_delay_alu instid0(VALU_DEP_3)
	v_sub_co_ci_u32_e64 v8, null, v6, v3, vcc_lo
.LBB12_9:                               ;   in Loop: Header=BB12_3 Depth=1
	s_wait_alu 0xfffe
	s_and_not1_saveexec_b32 s2, s3
	s_cbranch_execz .LBB12_11
; %bb.10:                               ;   in Loop: Header=BB12_3 Depth=1
	s_sub_co_i32 s3, 0, s14
	v_mov_b32_e32 v8, v2
	s_wait_alu 0xfffe
	v_mul_lo_u32 v3, s3, v25
	s_delay_alu instid0(VALU_DEP_1) | instskip(NEXT) | instid1(VALU_DEP_1)
	v_mul_hi_u32 v3, v25, v3
	v_add_nc_u32_e32 v3, v25, v3
	s_delay_alu instid0(VALU_DEP_1) | instskip(NEXT) | instid1(VALU_DEP_1)
	v_mul_hi_u32 v3, v4, v3
	v_mul_lo_u32 v5, v3, s14
	v_add_nc_u32_e32 v6, 1, v3
	s_delay_alu instid0(VALU_DEP_2) | instskip(NEXT) | instid1(VALU_DEP_1)
	v_sub_nc_u32_e32 v5, v4, v5
	v_subrev_nc_u32_e32 v7, s14, v5
	v_cmp_le_u32_e32 vcc_lo, s14, v5
	s_wait_alu 0xfffd
	s_delay_alu instid0(VALU_DEP_2) | instskip(SKIP_1) | instid1(VALU_DEP_2)
	v_cndmask_b32_e32 v5, v5, v7, vcc_lo
	v_cndmask_b32_e32 v3, v3, v6, vcc_lo
	v_cmp_le_u32_e32 vcc_lo, s14, v5
	s_delay_alu instid0(VALU_DEP_2) | instskip(SKIP_1) | instid1(VALU_DEP_1)
	v_add_nc_u32_e32 v6, 1, v3
	s_wait_alu 0xfffd
	v_cndmask_b32_e32 v7, v3, v6, vcc_lo
.LBB12_11:                              ;   in Loop: Header=BB12_3 Depth=1
	s_wait_alu 0xfffe
	s_or_b32 exec_lo, exec_lo, s2
	v_mad_co_u64_u32 v[5:6], null, v4, s8, 0
	s_delay_alu instid0(VALU_DEP_2) | instskip(SKIP_3) | instid1(VALU_DEP_1)
	v_mad_co_u64_u32 v[9:10], null, v7, s14, 0
	s_mov_b32 s23, exec_lo
	v_sub_co_u32 v28, null, v0, v5
	v_sub_co_u32 v27, null, v4, v9
	v_sub_nc_u32_e32 v6, v28, v27
	s_delay_alu instid0(VALU_DEP_1) | instskip(NEXT) | instid1(VALU_DEP_1)
	v_add_nc_u32_e32 v3, 2, v6
	v_ashrrev_i32_e32 v4, 31, v3
	s_delay_alu instid0(VALU_DEP_1)
	v_cmpx_lt_i64_e64 s[4:5], v[3:4]
	s_cbranch_execz .LBB12_2
; %bb.12:                               ;   in Loop: Header=BB12_3 Depth=1
	s_load_b64 s[2:3], s[20:21], 0x64
	s_and_not1_b32 vcc_lo, exec_lo, s56
	s_wait_kmcnt 0x0
	v_mul_lo_u32 v3, s3, v28
	s_delay_alu instid0(VALU_DEP_1)
	v_mad_co_u64_u32 v[4:5], null, s2, v27, v[3:4]
	s_wait_alu 0xfffe
	s_cbranch_vccnz .LBB12_56
; %bb.13:                               ;   in Loop: Header=BB12_3 Depth=1
	s_mov_b32 s25, s52
	s_and_not1_b32 vcc_lo, exec_lo, s54
	s_mov_b32 s18, s33
	s_mov_b32 s2, s33
	s_wait_alu 0xfffe
	s_cbranch_vccz .LBB12_16
; %bb.14:                               ;   in Loop: Header=BB12_3 Depth=1
	s_and_not1_b32 vcc_lo, exec_lo, s55
	s_wait_alu 0xfffe
	s_cbranch_vccz .LBB12_21
	s_branch .LBB12_56
.LBB12_15:                              ;   in Loop: Header=BB12_16 Depth=2
	s_wait_alu 0xfffe
	s_or_b32 exec_lo, exec_lo, s2
	s_add_nc_u64 s[26:27], s[0:1], s[26:27]
	v_mul_lo_u32 v3, v9, s28
	s_load_b32 s2, s[26:27], 0x6c
	s_add_co_i32 s25, s25, -1
	s_add_co_i32 s18, s18, -1
	s_wait_alu 0xfffe
	s_cmp_lg_u32 s25, 0
	s_delay_alu instid0(VALU_DEP_1) | instskip(SKIP_2) | instid1(VALU_DEP_2)
	v_sub_nc_u32_e32 v3, v7, v3
	v_dual_mov_b32 v7, v9 :: v_dual_mov_b32 v8, v10
	s_wait_kmcnt 0x0
	v_mad_co_u64_u32 v[4:5], null, s2, v3, v[4:5]
	s_cbranch_scc0 .LBB12_20
.LBB12_16:                              ;   Parent Loop BB12_3 Depth=1
                                        ; =>  This Inner Loop Header: Depth=2
	s_lshl_b64 s[26:27], s[18:19], 2
                                        ; implicit-def: $vgpr9_vgpr10
	s_mov_b32 s2, exec_lo
	s_wait_alu 0xfffe
	s_add_nc_u64 s[28:29], s[10:11], s[26:27]
	s_load_b32 s28, s[28:29], 0x8
	s_wait_kmcnt 0x0
	s_ashr_i32 s29, s28, 31
	s_wait_alu 0xfffe
	v_or_b32_e32 v3, s29, v8
	s_delay_alu instid0(VALU_DEP_1)
	v_cmpx_ne_u64_e32 0, v[2:3]
	s_xor_b32 s36, exec_lo, s2
	s_cbranch_execz .LBB12_18
; %bb.17:                               ;   in Loop: Header=BB12_16 Depth=2
	s_ashr_i32 s30, s29, 31
	s_mov_b32 s43, s19
	s_wait_alu 0xfffe
	s_mov_b32 s31, s30
	s_mov_b32 s47, s19
	s_wait_alu 0xfffe
	s_add_nc_u64 s[34:35], s[28:29], s[30:31]
	v_ashrrev_i32_e32 v3, 31, v8
	s_wait_alu 0xfffe
	s_xor_b64 s[34:35], s[34:35], s[30:31]
	s_wait_alu 0xfffe
	s_cvt_f32_u32 s2, s34
	s_cvt_f32_u32 s29, s35
	s_sub_nc_u64 s[40:41], 0, s[34:35]
	v_add_co_u32 v5, vcc_lo, v7, v3
	s_wait_alu 0xfffe
	s_fmamk_f32 s2, s29, 0x4f800000, s2
	s_wait_alu 0xfffd
	v_add_co_ci_u32_e64 v8, null, v8, v3, vcc_lo
	v_xor_b32_e32 v5, v5, v3
	s_wait_alu 0xfffe
	v_s_rcp_f32 s2, s2
	s_delay_alu instid0(VALU_DEP_2) | instskip(SKIP_1) | instid1(TRANS32_DEP_1)
	v_xor_b32_e32 v14, v8, v3
	v_xor_b32_e32 v3, s30, v3
	s_mul_f32 s2, s2, 0x5f7ffffc
	s_wait_alu 0xfffe
	s_delay_alu instid0(SALU_CYCLE_2) | instskip(SKIP_1) | instid1(SALU_CYCLE_2)
	s_mul_f32 s29, s2, 0x2f800000
	s_wait_alu 0xfffe
	s_trunc_f32 s29, s29
	s_wait_alu 0xfffe
	s_delay_alu instid0(SALU_CYCLE_2) | instskip(SKIP_2) | instid1(SALU_CYCLE_1)
	s_fmamk_f32 s2, s29, 0xcf800000, s2
	s_cvt_u32_f32 s39, s29
	s_wait_alu 0xfffe
	s_cvt_u32_f32 s38, s2
	s_wait_alu 0xfffe
	s_delay_alu instid0(SALU_CYCLE_2)
	s_mul_u64 s[44:45], s[40:41], s[38:39]
	s_wait_alu 0xfffe
	s_mul_hi_u32 s49, s38, s45
	s_mul_i32 s48, s38, s45
	s_mul_hi_u32 s42, s38, s44
	s_mul_i32 s29, s39, s44
	s_wait_alu 0xfffe
	s_add_nc_u64 s[42:43], s[42:43], s[48:49]
	s_mul_hi_u32 s2, s39, s44
	s_mul_hi_u32 s31, s39, s45
	s_wait_alu 0xfffe
	s_add_co_u32 s29, s42, s29
	s_add_co_ci_u32 s46, s43, s2
	s_mul_i32 s44, s39, s45
	s_add_co_ci_u32 s45, s31, 0
	s_wait_alu 0xfffe
	s_add_nc_u64 s[42:43], s[46:47], s[44:45]
	s_mov_b32 s45, s19
	s_wait_alu 0xfffe
	s_add_co_u32 s38, s38, s42
	s_cselect_b32 s2, -1, 0
	s_wait_alu 0xfffe
	s_cmp_lg_u32 s2, 0
	s_add_co_ci_u32 s39, s39, s43
	s_mov_b32 s43, s19
	s_wait_alu 0xfffe
	s_mul_u64 s[40:41], s[40:41], s[38:39]
	s_wait_alu 0xfffe
	s_mul_hi_u32 s47, s38, s41
	s_mul_i32 s46, s38, s41
	s_mul_hi_u32 s44, s38, s40
	s_mul_i32 s29, s39, s40
	s_wait_alu 0xfffe
	s_add_nc_u64 s[44:45], s[44:45], s[46:47]
	s_mul_hi_u32 s2, s39, s40
	s_mul_hi_u32 s31, s39, s41
	s_wait_alu 0xfffe
	s_add_co_u32 s29, s44, s29
	s_add_co_ci_u32 s42, s45, s2
	s_mul_i32 s40, s39, s41
	s_add_co_ci_u32 s41, s31, 0
	s_wait_alu 0xfffe
	s_add_nc_u64 s[40:41], s[42:43], s[40:41]
	s_wait_alu 0xfffe
	s_add_co_u32 s2, s38, s40
	s_cselect_b32 s29, -1, 0
	s_wait_alu 0xfffe
	v_mul_hi_u32 v15, v5, s2
	s_cmp_lg_u32 s29, 0
	v_mad_co_u64_u32 v[10:11], null, v14, s2, 0
	s_add_co_ci_u32 s29, s39, s41
	s_wait_alu 0xfffe
	v_mad_co_u64_u32 v[8:9], null, v5, s29, 0
	v_mad_co_u64_u32 v[12:13], null, v14, s29, 0
	s_delay_alu instid0(VALU_DEP_2) | instskip(SKIP_1) | instid1(VALU_DEP_3)
	v_add_co_u32 v8, vcc_lo, v15, v8
	s_wait_alu 0xfffd
	v_add_co_ci_u32_e64 v9, null, 0, v9, vcc_lo
	s_delay_alu instid0(VALU_DEP_2) | instskip(SKIP_1) | instid1(VALU_DEP_2)
	v_add_co_u32 v8, vcc_lo, v8, v10
	s_wait_alu 0xfffd
	v_add_co_ci_u32_e32 v8, vcc_lo, v9, v11, vcc_lo
	s_wait_alu 0xfffd
	v_add_co_ci_u32_e32 v9, vcc_lo, 0, v13, vcc_lo
	s_delay_alu instid0(VALU_DEP_2) | instskip(SKIP_1) | instid1(VALU_DEP_2)
	v_add_co_u32 v10, vcc_lo, v8, v12
	s_wait_alu 0xfffd
	v_add_co_ci_u32_e64 v11, null, 0, v9, vcc_lo
	s_delay_alu instid0(VALU_DEP_2) | instskip(SKIP_1) | instid1(VALU_DEP_3)
	v_mul_lo_u32 v12, s35, v10
	v_mad_co_u64_u32 v[8:9], null, s34, v10, 0
	v_mul_lo_u32 v13, s34, v11
	s_delay_alu instid0(VALU_DEP_2) | instskip(NEXT) | instid1(VALU_DEP_2)
	v_sub_co_u32 v5, vcc_lo, v5, v8
	v_add3_u32 v9, v9, v13, v12
	s_delay_alu instid0(VALU_DEP_1) | instskip(SKIP_2) | instid1(VALU_DEP_2)
	v_sub_nc_u32_e32 v12, v14, v9
	s_wait_alu 0xfffd
	v_sub_co_ci_u32_e64 v9, null, v14, v9, vcc_lo
	v_subrev_co_ci_u32_e64 v8, null, s35, v12, vcc_lo
	v_add_co_u32 v12, s2, v10, 2
	s_wait_alu 0xf1ff
	v_add_co_ci_u32_e64 v13, null, 0, v11, s2
	v_sub_co_u32 v15, s2, v5, s34
	s_wait_alu 0xf1ff
	v_subrev_co_ci_u32_e64 v8, null, 0, v8, s2
	s_delay_alu instid0(VALU_DEP_2) | instskip(SKIP_2) | instid1(VALU_DEP_3)
	v_cmp_le_u32_e32 vcc_lo, s34, v15
	s_wait_alu 0xfffd
	v_cndmask_b32_e64 v14, 0, -1, vcc_lo
	v_cmp_le_u32_e32 vcc_lo, s35, v8
	s_wait_alu 0xfffd
	v_cndmask_b32_e64 v15, 0, -1, vcc_lo
	;; [unrolled: 3-line block ×4, first 2 shown]
	v_cmp_eq_u32_e32 vcc_lo, s35, v8
	s_wait_alu 0xfffd
	v_cndmask_b32_e32 v8, v15, v14, vcc_lo
	v_add_co_u32 v14, vcc_lo, v10, 1
	s_wait_alu 0xfffd
	v_add_co_ci_u32_e64 v15, null, 0, v11, vcc_lo
	v_cmp_eq_u32_e32 vcc_lo, s35, v9
	s_wait_alu 0xfffd
	v_cndmask_b32_e32 v5, v16, v5, vcc_lo
	v_cmp_ne_u32_e32 vcc_lo, 0, v8
	s_delay_alu instid0(VALU_DEP_2) | instskip(SKIP_3) | instid1(VALU_DEP_1)
	v_cmp_ne_u32_e64 s2, 0, v5
	s_wait_alu 0xfffd
	v_dual_cndmask_b32 v8, v15, v13 :: v_dual_cndmask_b32 v5, v14, v12
	s_wait_alu 0xf1ff
	v_cndmask_b32_e64 v8, v11, v8, s2
	s_delay_alu instid0(VALU_DEP_2) | instskip(NEXT) | instid1(VALU_DEP_2)
	v_cndmask_b32_e64 v5, v10, v5, s2
	v_xor_b32_e32 v8, v8, v3
	s_delay_alu instid0(VALU_DEP_2) | instskip(NEXT) | instid1(VALU_DEP_1)
	v_xor_b32_e32 v5, v5, v3
	v_sub_co_u32 v9, vcc_lo, v5, v3
	s_wait_alu 0xfffd
	s_delay_alu instid0(VALU_DEP_3)
	v_sub_co_ci_u32_e64 v10, null, v8, v3, vcc_lo
.LBB12_18:                              ;   in Loop: Header=BB12_16 Depth=2
	s_wait_alu 0xfffe
	s_and_not1_saveexec_b32 s2, s36
	s_cbranch_execz .LBB12_15
; %bb.19:                               ;   in Loop: Header=BB12_16 Depth=2
	v_cvt_f32_u32_e32 v3, s28
	s_sub_co_i32 s29, 0, s28
	v_mov_b32_e32 v10, v2
	s_delay_alu instid0(VALU_DEP_2) | instskip(NEXT) | instid1(TRANS32_DEP_1)
	v_rcp_iflag_f32_e32 v3, v3
	v_mul_f32_e32 v3, 0x4f7ffffe, v3
	s_delay_alu instid0(VALU_DEP_1) | instskip(SKIP_1) | instid1(VALU_DEP_1)
	v_cvt_u32_f32_e32 v3, v3
	s_wait_alu 0xfffe
	v_mul_lo_u32 v5, s29, v3
	s_delay_alu instid0(VALU_DEP_1) | instskip(NEXT) | instid1(VALU_DEP_1)
	v_mul_hi_u32 v5, v3, v5
	v_add_nc_u32_e32 v3, v3, v5
	s_delay_alu instid0(VALU_DEP_1) | instskip(NEXT) | instid1(VALU_DEP_1)
	v_mul_hi_u32 v3, v7, v3
	v_mul_lo_u32 v5, v3, s28
	s_delay_alu instid0(VALU_DEP_1) | instskip(NEXT) | instid1(VALU_DEP_1)
	v_sub_nc_u32_e32 v5, v7, v5
	v_subrev_nc_u32_e32 v9, s28, v5
	v_cmp_le_u32_e32 vcc_lo, s28, v5
	s_wait_alu 0xfffd
	s_delay_alu instid0(VALU_DEP_2) | instskip(NEXT) | instid1(VALU_DEP_1)
	v_dual_cndmask_b32 v5, v5, v9 :: v_dual_add_nc_u32 v8, 1, v3
	v_cndmask_b32_e32 v3, v3, v8, vcc_lo
	s_delay_alu instid0(VALU_DEP_2) | instskip(NEXT) | instid1(VALU_DEP_2)
	v_cmp_le_u32_e32 vcc_lo, s28, v5
	v_add_nc_u32_e32 v8, 1, v3
	s_wait_alu 0xfffd
	s_delay_alu instid0(VALU_DEP_1)
	v_cndmask_b32_e32 v9, v3, v8, vcc_lo
	s_branch .LBB12_15
.LBB12_20:                              ;   in Loop: Header=BB12_3 Depth=1
	s_mov_b32 s2, s18
	s_and_not1_b32 vcc_lo, exec_lo, s55
	s_wait_alu 0xfffe
	s_cbranch_vccnz .LBB12_56
.LBB12_21:                              ;   in Loop: Header=BB12_3 Depth=1
	s_add_co_i32 s26, s2, -7
.LBB12_22:                              ;   Parent Loop BB12_3 Depth=1
                                        ; =>  This Inner Loop Header: Depth=2
	s_wait_alu 0xfffe
	s_add_co_i32 s18, s26, 7
                                        ; implicit-def: $vgpr9_vgpr10
	s_mov_b32 s2, exec_lo
	s_wait_alu 0xfffe
	s_lshl_b64 s[34:35], s[18:19], 2
	s_wait_alu 0xfffe
	s_add_nc_u64 s[28:29], s[10:11], s[34:35]
	s_load_b32 s28, s[28:29], 0x8
	s_wait_kmcnt 0x0
	s_ashr_i32 s29, s28, 31
	s_wait_alu 0xfffe
	v_or_b32_e32 v3, s29, v8
	s_delay_alu instid0(VALU_DEP_1)
	v_cmpx_ne_u64_e32 0, v[2:3]
	s_xor_b32 s25, exec_lo, s2
	s_cbranch_execz .LBB12_24
; %bb.23:                               ;   in Loop: Header=BB12_22 Depth=2
	s_ashr_i32 s30, s29, 31
	v_ashrrev_i32_e32 v3, 31, v8
	s_wait_alu 0xfffe
	s_mov_b32 s31, s30
	s_wait_alu 0xfffe
	s_add_nc_u64 s[36:37], s[28:29], s[30:31]
	v_add_co_u32 v5, vcc_lo, v7, v3
	s_wait_alu 0xfffe
	s_xor_b64 s[36:37], s[36:37], s[30:31]
	s_wait_alu 0xfffd
	v_add_co_ci_u32_e64 v8, null, v8, v3, vcc_lo
	s_wait_alu 0xfffe
	s_cvt_f32_u32 s2, s36
	s_cvt_f32_u32 s18, s37
	s_sub_nc_u64 s[40:41], 0, s[36:37]
	v_xor_b32_e32 v5, v5, v3
	v_xor_b32_e32 v14, v8, v3
	s_wait_alu 0xfffe
	s_fmamk_f32 s2, s18, 0x4f800000, s2
	v_xor_b32_e32 v3, s30, v3
	s_wait_alu 0xfffe
	s_delay_alu instid0(SALU_CYCLE_1) | instskip(NEXT) | instid1(TRANS32_DEP_1)
	v_s_rcp_f32 s2, s2
	s_mul_f32 s2, s2, 0x5f7ffffc
	s_wait_alu 0xfffe
	s_delay_alu instid0(SALU_CYCLE_2) | instskip(SKIP_1) | instid1(SALU_CYCLE_2)
	s_mul_f32 s18, s2, 0x2f800000
	s_wait_alu 0xfffe
	s_trunc_f32 s18, s18
	s_wait_alu 0xfffe
	s_delay_alu instid0(SALU_CYCLE_2) | instskip(SKIP_2) | instid1(SALU_CYCLE_1)
	s_fmamk_f32 s2, s18, 0xcf800000, s2
	s_cvt_u32_f32 s39, s18
	s_wait_alu 0xfffe
	s_cvt_u32_f32 s38, s2
	s_wait_alu 0xfffe
	s_delay_alu instid0(SALU_CYCLE_2)
	s_mul_u64 s[42:43], s[40:41], s[38:39]
	s_wait_alu 0xfffe
	s_mul_hi_u32 s45, s38, s43
	s_mul_i32 s44, s38, s43
	s_mul_hi_u32 s18, s38, s42
	s_mul_i32 s27, s39, s42
	s_wait_alu 0xfffe
	s_add_nc_u64 s[44:45], s[18:19], s[44:45]
	s_mul_hi_u32 s2, s39, s42
	s_mul_hi_u32 s29, s39, s43
	s_wait_alu 0xfffe
	s_add_co_u32 s18, s44, s27
	s_add_co_ci_u32 s18, s45, s2
	s_mul_i32 s42, s39, s43
	s_add_co_ci_u32 s43, s29, 0
	s_wait_alu 0xfffe
	s_add_nc_u64 s[42:43], s[18:19], s[42:43]
	s_wait_alu 0xfffe
	s_add_co_u32 s38, s38, s42
	s_cselect_b32 s2, -1, 0
	s_wait_alu 0xfffe
	s_cmp_lg_u32 s2, 0
	s_add_co_ci_u32 s39, s39, s43
	s_wait_alu 0xfffe
	s_mul_u64 s[40:41], s[40:41], s[38:39]
	s_wait_alu 0xfffe
	s_mul_hi_u32 s43, s38, s41
	s_mul_i32 s42, s38, s41
	s_mul_hi_u32 s18, s38, s40
	s_mul_i32 s27, s39, s40
	s_wait_alu 0xfffe
	s_add_nc_u64 s[42:43], s[18:19], s[42:43]
	s_mul_hi_u32 s2, s39, s40
	s_mul_hi_u32 s29, s39, s41
	s_wait_alu 0xfffe
	s_add_co_u32 s18, s42, s27
	s_add_co_ci_u32 s18, s43, s2
	s_mul_i32 s40, s39, s41
	s_add_co_ci_u32 s41, s29, 0
	s_wait_alu 0xfffe
	s_add_nc_u64 s[40:41], s[18:19], s[40:41]
	s_wait_alu 0xfffe
	s_add_co_u32 s2, s38, s40
	s_cselect_b32 s18, -1, 0
	s_wait_alu 0xfffe
	v_mul_hi_u32 v15, v5, s2
	s_cmp_lg_u32 s18, 0
	v_mad_co_u64_u32 v[10:11], null, v14, s2, 0
	s_add_co_ci_u32 s18, s39, s41
	s_wait_alu 0xfffe
	v_mad_co_u64_u32 v[8:9], null, v5, s18, 0
	v_mad_co_u64_u32 v[12:13], null, v14, s18, 0
	s_delay_alu instid0(VALU_DEP_2) | instskip(SKIP_1) | instid1(VALU_DEP_3)
	v_add_co_u32 v8, vcc_lo, v15, v8
	s_wait_alu 0xfffd
	v_add_co_ci_u32_e64 v9, null, 0, v9, vcc_lo
	s_delay_alu instid0(VALU_DEP_2) | instskip(SKIP_1) | instid1(VALU_DEP_2)
	v_add_co_u32 v8, vcc_lo, v8, v10
	s_wait_alu 0xfffd
	v_add_co_ci_u32_e32 v8, vcc_lo, v9, v11, vcc_lo
	s_wait_alu 0xfffd
	v_add_co_ci_u32_e32 v9, vcc_lo, 0, v13, vcc_lo
	s_delay_alu instid0(VALU_DEP_2) | instskip(SKIP_1) | instid1(VALU_DEP_2)
	v_add_co_u32 v10, vcc_lo, v8, v12
	s_wait_alu 0xfffd
	v_add_co_ci_u32_e64 v11, null, 0, v9, vcc_lo
	s_delay_alu instid0(VALU_DEP_2) | instskip(SKIP_1) | instid1(VALU_DEP_3)
	v_mul_lo_u32 v12, s37, v10
	v_mad_co_u64_u32 v[8:9], null, s36, v10, 0
	v_mul_lo_u32 v13, s36, v11
	s_delay_alu instid0(VALU_DEP_2) | instskip(NEXT) | instid1(VALU_DEP_2)
	v_sub_co_u32 v5, vcc_lo, v5, v8
	v_add3_u32 v9, v9, v13, v12
	s_delay_alu instid0(VALU_DEP_1) | instskip(SKIP_2) | instid1(VALU_DEP_2)
	v_sub_nc_u32_e32 v12, v14, v9
	s_wait_alu 0xfffd
	v_sub_co_ci_u32_e64 v9, null, v14, v9, vcc_lo
	v_subrev_co_ci_u32_e64 v8, null, s37, v12, vcc_lo
	v_add_co_u32 v12, s2, v10, 2
	s_wait_alu 0xf1ff
	v_add_co_ci_u32_e64 v13, null, 0, v11, s2
	v_sub_co_u32 v15, s2, v5, s36
	s_wait_alu 0xf1ff
	v_subrev_co_ci_u32_e64 v8, null, 0, v8, s2
	s_delay_alu instid0(VALU_DEP_2) | instskip(SKIP_2) | instid1(VALU_DEP_3)
	v_cmp_le_u32_e32 vcc_lo, s36, v15
	s_wait_alu 0xfffd
	v_cndmask_b32_e64 v14, 0, -1, vcc_lo
	v_cmp_le_u32_e32 vcc_lo, s37, v8
	s_wait_alu 0xfffd
	v_cndmask_b32_e64 v15, 0, -1, vcc_lo
	;; [unrolled: 3-line block ×4, first 2 shown]
	v_cmp_eq_u32_e32 vcc_lo, s37, v8
	s_wait_alu 0xfffd
	v_cndmask_b32_e32 v8, v15, v14, vcc_lo
	v_add_co_u32 v14, vcc_lo, v10, 1
	s_wait_alu 0xfffd
	v_add_co_ci_u32_e64 v15, null, 0, v11, vcc_lo
	v_cmp_eq_u32_e32 vcc_lo, s37, v9
	s_wait_alu 0xfffd
	v_cndmask_b32_e32 v5, v16, v5, vcc_lo
	v_cmp_ne_u32_e32 vcc_lo, 0, v8
	s_delay_alu instid0(VALU_DEP_2) | instskip(SKIP_3) | instid1(VALU_DEP_1)
	v_cmp_ne_u32_e64 s2, 0, v5
	s_wait_alu 0xfffd
	v_dual_cndmask_b32 v8, v15, v13 :: v_dual_cndmask_b32 v5, v14, v12
	s_wait_alu 0xf1ff
	v_cndmask_b32_e64 v8, v11, v8, s2
	s_delay_alu instid0(VALU_DEP_2) | instskip(NEXT) | instid1(VALU_DEP_2)
	v_cndmask_b32_e64 v5, v10, v5, s2
	v_xor_b32_e32 v8, v8, v3
	s_delay_alu instid0(VALU_DEP_2) | instskip(NEXT) | instid1(VALU_DEP_1)
	v_xor_b32_e32 v5, v5, v3
	v_sub_co_u32 v9, vcc_lo, v5, v3
	s_wait_alu 0xfffd
	s_delay_alu instid0(VALU_DEP_3)
	v_sub_co_ci_u32_e64 v10, null, v8, v3, vcc_lo
.LBB12_24:                              ;   in Loop: Header=BB12_22 Depth=2
	s_wait_alu 0xfffe
	s_and_not1_saveexec_b32 s2, s25
	s_cbranch_execz .LBB12_26
; %bb.25:                               ;   in Loop: Header=BB12_22 Depth=2
	v_cvt_f32_u32_e32 v3, s28
	s_sub_co_i32 s18, 0, s28
	v_mov_b32_e32 v10, v2
	s_delay_alu instid0(VALU_DEP_2) | instskip(NEXT) | instid1(TRANS32_DEP_1)
	v_rcp_iflag_f32_e32 v3, v3
	v_mul_f32_e32 v3, 0x4f7ffffe, v3
	s_delay_alu instid0(VALU_DEP_1) | instskip(SKIP_1) | instid1(VALU_DEP_1)
	v_cvt_u32_f32_e32 v3, v3
	s_wait_alu 0xfffe
	v_mul_lo_u32 v5, s18, v3
	s_delay_alu instid0(VALU_DEP_1) | instskip(NEXT) | instid1(VALU_DEP_1)
	v_mul_hi_u32 v5, v3, v5
	v_add_nc_u32_e32 v3, v3, v5
	s_delay_alu instid0(VALU_DEP_1) | instskip(NEXT) | instid1(VALU_DEP_1)
	v_mul_hi_u32 v3, v7, v3
	v_mul_lo_u32 v5, v3, s28
	s_delay_alu instid0(VALU_DEP_1) | instskip(NEXT) | instid1(VALU_DEP_1)
	v_sub_nc_u32_e32 v5, v7, v5
	v_subrev_nc_u32_e32 v9, s28, v5
	v_cmp_le_u32_e32 vcc_lo, s28, v5
	s_wait_alu 0xfffd
	s_delay_alu instid0(VALU_DEP_2) | instskip(NEXT) | instid1(VALU_DEP_1)
	v_dual_cndmask_b32 v5, v5, v9 :: v_dual_add_nc_u32 v8, 1, v3
	v_cndmask_b32_e32 v3, v3, v8, vcc_lo
	s_delay_alu instid0(VALU_DEP_2) | instskip(NEXT) | instid1(VALU_DEP_2)
	v_cmp_le_u32_e32 vcc_lo, s28, v5
	v_add_nc_u32_e32 v8, 1, v3
	s_wait_alu 0xfffd
	s_delay_alu instid0(VALU_DEP_1)
	v_cndmask_b32_e32 v9, v3, v8, vcc_lo
.LBB12_26:                              ;   in Loop: Header=BB12_22 Depth=2
	s_wait_alu 0xfffe
	s_or_b32 exec_lo, exec_lo, s2
	s_add_co_i32 s18, s26, 6
	s_add_nc_u64 s[34:35], s[0:1], s[34:35]
	s_wait_alu 0xfffe
	s_lshl_b64 s[36:37], s[18:19], 2
                                        ; implicit-def: $vgpr11_vgpr12
	s_mov_b32 s2, exec_lo
	s_wait_alu 0xfffe
	s_add_nc_u64 s[30:31], s[10:11], s[36:37]
	s_clause 0x1
	s_load_b32 s25, s[34:35], 0x6c
	s_load_b32 s30, s[30:31], 0x8
	s_wait_kmcnt 0x0
	s_ashr_i32 s31, s30, 31
	s_wait_alu 0xfffe
	v_or_b32_e32 v3, s31, v10
	s_delay_alu instid0(VALU_DEP_1)
	v_cmpx_ne_u64_e32 0, v[2:3]
	s_xor_b32 s27, exec_lo, s2
	s_cbranch_execz .LBB12_28
; %bb.27:                               ;   in Loop: Header=BB12_22 Depth=2
	s_ashr_i32 s34, s31, 31
	v_ashrrev_i32_e32 v3, 31, v10
	s_wait_alu 0xfffe
	s_mov_b32 s35, s34
	s_wait_alu 0xfffe
	s_add_nc_u64 s[38:39], s[30:31], s[34:35]
	v_add_co_u32 v5, vcc_lo, v9, v3
	s_wait_alu 0xfffe
	s_xor_b64 s[38:39], s[38:39], s[34:35]
	s_wait_alu 0xfffd
	v_add_co_ci_u32_e64 v8, null, v10, v3, vcc_lo
	s_wait_alu 0xfffe
	s_cvt_f32_u32 s2, s38
	s_cvt_f32_u32 s18, s39
	s_sub_nc_u64 s[42:43], 0, s[38:39]
	v_xor_b32_e32 v5, v5, v3
	v_xor_b32_e32 v8, v8, v3
	s_wait_alu 0xfffe
	s_fmamk_f32 s2, s18, 0x4f800000, s2
	v_xor_b32_e32 v3, s34, v3
	s_wait_alu 0xfffe
	s_delay_alu instid0(SALU_CYCLE_1) | instskip(NEXT) | instid1(TRANS32_DEP_1)
	v_s_rcp_f32 s2, s2
	s_mul_f32 s2, s2, 0x5f7ffffc
	s_wait_alu 0xfffe
	s_delay_alu instid0(SALU_CYCLE_2) | instskip(SKIP_1) | instid1(SALU_CYCLE_2)
	s_mul_f32 s18, s2, 0x2f800000
	s_wait_alu 0xfffe
	s_trunc_f32 s18, s18
	s_wait_alu 0xfffe
	s_delay_alu instid0(SALU_CYCLE_2) | instskip(SKIP_2) | instid1(SALU_CYCLE_1)
	s_fmamk_f32 s2, s18, 0xcf800000, s2
	s_cvt_u32_f32 s41, s18
	s_wait_alu 0xfffe
	s_cvt_u32_f32 s40, s2
	s_wait_alu 0xfffe
	s_delay_alu instid0(SALU_CYCLE_2)
	s_mul_u64 s[44:45], s[42:43], s[40:41]
	s_wait_alu 0xfffe
	s_mul_hi_u32 s47, s40, s45
	s_mul_i32 s46, s40, s45
	s_mul_hi_u32 s18, s40, s44
	s_mul_i32 s29, s41, s44
	s_wait_alu 0xfffe
	s_add_nc_u64 s[46:47], s[18:19], s[46:47]
	s_mul_hi_u32 s2, s41, s44
	s_mul_hi_u32 s31, s41, s45
	s_wait_alu 0xfffe
	s_add_co_u32 s18, s46, s29
	s_add_co_ci_u32 s18, s47, s2
	s_mul_i32 s44, s41, s45
	s_add_co_ci_u32 s45, s31, 0
	s_wait_alu 0xfffe
	s_add_nc_u64 s[44:45], s[18:19], s[44:45]
	s_wait_alu 0xfffe
	s_add_co_u32 s40, s40, s44
	s_cselect_b32 s2, -1, 0
	s_wait_alu 0xfffe
	s_cmp_lg_u32 s2, 0
	s_add_co_ci_u32 s41, s41, s45
	s_wait_alu 0xfffe
	s_mul_u64 s[42:43], s[42:43], s[40:41]
	s_wait_alu 0xfffe
	s_mul_hi_u32 s45, s40, s43
	s_mul_i32 s44, s40, s43
	s_mul_hi_u32 s18, s40, s42
	s_mul_i32 s29, s41, s42
	s_wait_alu 0xfffe
	s_add_nc_u64 s[44:45], s[18:19], s[44:45]
	s_mul_hi_u32 s2, s41, s42
	s_mul_hi_u32 s31, s41, s43
	s_wait_alu 0xfffe
	s_add_co_u32 s18, s44, s29
	s_add_co_ci_u32 s18, s45, s2
	s_mul_i32 s42, s41, s43
	s_add_co_ci_u32 s43, s31, 0
	s_wait_alu 0xfffe
	s_add_nc_u64 s[42:43], s[18:19], s[42:43]
	s_wait_alu 0xfffe
	s_add_co_u32 s2, s40, s42
	s_cselect_b32 s18, -1, 0
	s_wait_alu 0xfffe
	v_mul_hi_u32 v16, v5, s2
	s_cmp_lg_u32 s18, 0
	v_mad_co_u64_u32 v[12:13], null, v8, s2, 0
	s_add_co_ci_u32 s18, s41, s43
	s_wait_alu 0xfffe
	v_mad_co_u64_u32 v[10:11], null, v5, s18, 0
	v_mad_co_u64_u32 v[14:15], null, v8, s18, 0
	s_delay_alu instid0(VALU_DEP_2) | instskip(SKIP_1) | instid1(VALU_DEP_3)
	v_add_co_u32 v10, vcc_lo, v16, v10
	s_wait_alu 0xfffd
	v_add_co_ci_u32_e64 v11, null, 0, v11, vcc_lo
	s_delay_alu instid0(VALU_DEP_2) | instskip(SKIP_1) | instid1(VALU_DEP_2)
	v_add_co_u32 v10, vcc_lo, v10, v12
	s_wait_alu 0xfffd
	v_add_co_ci_u32_e32 v10, vcc_lo, v11, v13, vcc_lo
	s_wait_alu 0xfffd
	v_add_co_ci_u32_e32 v11, vcc_lo, 0, v15, vcc_lo
	s_delay_alu instid0(VALU_DEP_2) | instskip(SKIP_1) | instid1(VALU_DEP_2)
	v_add_co_u32 v12, vcc_lo, v10, v14
	s_wait_alu 0xfffd
	v_add_co_ci_u32_e64 v13, null, 0, v11, vcc_lo
	s_delay_alu instid0(VALU_DEP_2) | instskip(SKIP_1) | instid1(VALU_DEP_3)
	v_mul_lo_u32 v14, s39, v12
	v_mad_co_u64_u32 v[10:11], null, s38, v12, 0
	v_mul_lo_u32 v15, s38, v13
	s_delay_alu instid0(VALU_DEP_2) | instskip(NEXT) | instid1(VALU_DEP_2)
	v_sub_co_u32 v5, vcc_lo, v5, v10
	v_add3_u32 v11, v11, v15, v14
	s_delay_alu instid0(VALU_DEP_1) | instskip(SKIP_2) | instid1(VALU_DEP_2)
	v_sub_nc_u32_e32 v14, v8, v11
	s_wait_alu 0xfffd
	v_sub_co_ci_u32_e64 v8, null, v8, v11, vcc_lo
	v_subrev_co_ci_u32_e64 v10, null, s39, v14, vcc_lo
	v_add_co_u32 v14, s2, v12, 2
	s_wait_alu 0xf1ff
	v_add_co_ci_u32_e64 v15, null, 0, v13, s2
	v_sub_co_u32 v16, s2, v5, s38
	s_wait_alu 0xf1ff
	v_subrev_co_ci_u32_e64 v10, null, 0, v10, s2
	s_delay_alu instid0(VALU_DEP_2) | instskip(SKIP_2) | instid1(VALU_DEP_3)
	v_cmp_le_u32_e32 vcc_lo, s38, v16
	s_wait_alu 0xfffd
	v_cndmask_b32_e64 v11, 0, -1, vcc_lo
	v_cmp_le_u32_e32 vcc_lo, s39, v10
	s_wait_alu 0xfffd
	v_cndmask_b32_e64 v16, 0, -1, vcc_lo
	v_cmp_le_u32_e32 vcc_lo, s38, v5
	s_wait_alu 0xfffd
	v_cndmask_b32_e64 v5, 0, -1, vcc_lo
	v_cmp_le_u32_e32 vcc_lo, s39, v8
	s_wait_alu 0xfffd
	v_cndmask_b32_e64 v17, 0, -1, vcc_lo
	v_cmp_eq_u32_e32 vcc_lo, s39, v10
	s_wait_alu 0xfffd
	v_cndmask_b32_e32 v10, v16, v11, vcc_lo
	v_add_co_u32 v11, vcc_lo, v12, 1
	s_wait_alu 0xfffd
	v_add_co_ci_u32_e64 v16, null, 0, v13, vcc_lo
	v_cmp_eq_u32_e32 vcc_lo, s39, v8
	s_wait_alu 0xfffd
	v_cndmask_b32_e32 v5, v17, v5, vcc_lo
	v_cmp_ne_u32_e32 vcc_lo, 0, v10
	s_delay_alu instid0(VALU_DEP_2) | instskip(SKIP_3) | instid1(VALU_DEP_1)
	v_cmp_ne_u32_e64 s2, 0, v5
	s_wait_alu 0xfffd
	v_dual_cndmask_b32 v8, v16, v15 :: v_dual_cndmask_b32 v5, v11, v14
	s_wait_alu 0xf1ff
	v_cndmask_b32_e64 v8, v13, v8, s2
	s_delay_alu instid0(VALU_DEP_2) | instskip(NEXT) | instid1(VALU_DEP_2)
	v_cndmask_b32_e64 v5, v12, v5, s2
	v_xor_b32_e32 v8, v8, v3
	s_delay_alu instid0(VALU_DEP_2) | instskip(NEXT) | instid1(VALU_DEP_1)
	v_xor_b32_e32 v5, v5, v3
	v_sub_co_u32 v11, vcc_lo, v5, v3
	s_wait_alu 0xfffd
	s_delay_alu instid0(VALU_DEP_3)
	v_sub_co_ci_u32_e64 v12, null, v8, v3, vcc_lo
.LBB12_28:                              ;   in Loop: Header=BB12_22 Depth=2
	s_wait_alu 0xfffe
	s_and_not1_saveexec_b32 s2, s27
	s_cbranch_execz .LBB12_30
; %bb.29:                               ;   in Loop: Header=BB12_22 Depth=2
	v_cvt_f32_u32_e32 v3, s30
	s_sub_co_i32 s18, 0, s30
	v_mov_b32_e32 v12, v2
	s_delay_alu instid0(VALU_DEP_2) | instskip(NEXT) | instid1(TRANS32_DEP_1)
	v_rcp_iflag_f32_e32 v3, v3
	v_mul_f32_e32 v3, 0x4f7ffffe, v3
	s_delay_alu instid0(VALU_DEP_1) | instskip(SKIP_1) | instid1(VALU_DEP_1)
	v_cvt_u32_f32_e32 v3, v3
	s_wait_alu 0xfffe
	v_mul_lo_u32 v5, s18, v3
	s_delay_alu instid0(VALU_DEP_1) | instskip(NEXT) | instid1(VALU_DEP_1)
	v_mul_hi_u32 v5, v3, v5
	v_add_nc_u32_e32 v3, v3, v5
	s_delay_alu instid0(VALU_DEP_1) | instskip(NEXT) | instid1(VALU_DEP_1)
	v_mul_hi_u32 v3, v9, v3
	v_mul_lo_u32 v5, v3, s30
	s_delay_alu instid0(VALU_DEP_1) | instskip(NEXT) | instid1(VALU_DEP_1)
	v_sub_nc_u32_e32 v5, v9, v5
	v_subrev_nc_u32_e32 v10, s30, v5
	v_cmp_le_u32_e32 vcc_lo, s30, v5
	s_wait_alu 0xfffd
	s_delay_alu instid0(VALU_DEP_2) | instskip(NEXT) | instid1(VALU_DEP_1)
	v_dual_cndmask_b32 v5, v5, v10 :: v_dual_add_nc_u32 v8, 1, v3
	v_cndmask_b32_e32 v3, v3, v8, vcc_lo
	s_delay_alu instid0(VALU_DEP_2) | instskip(NEXT) | instid1(VALU_DEP_2)
	v_cmp_le_u32_e32 vcc_lo, s30, v5
	v_add_nc_u32_e32 v8, 1, v3
	s_wait_alu 0xfffd
	s_delay_alu instid0(VALU_DEP_1)
	v_cndmask_b32_e32 v11, v3, v8, vcc_lo
.LBB12_30:                              ;   in Loop: Header=BB12_22 Depth=2
	s_wait_alu 0xfffe
	s_or_b32 exec_lo, exec_lo, s2
	s_add_co_i32 s18, s26, 5
	s_add_nc_u64 s[36:37], s[0:1], s[36:37]
	s_wait_alu 0xfffe
	s_lshl_b64 s[38:39], s[18:19], 2
                                        ; implicit-def: $vgpr13_vgpr14
	s_mov_b32 s2, exec_lo
	s_wait_alu 0xfffe
	s_add_nc_u64 s[34:35], s[10:11], s[38:39]
	s_clause 0x1
	s_load_b32 s29, s[36:37], 0x6c
	s_load_b32 s34, s[34:35], 0x8
	s_wait_kmcnt 0x0
	s_ashr_i32 s35, s34, 31
	s_wait_alu 0xfffe
	v_or_b32_e32 v3, s35, v12
	s_delay_alu instid0(VALU_DEP_1)
	v_cmpx_ne_u64_e32 0, v[2:3]
	s_xor_b32 s27, exec_lo, s2
	s_cbranch_execz .LBB12_32
; %bb.31:                               ;   in Loop: Header=BB12_22 Depth=2
	s_ashr_i32 s36, s35, 31
	v_ashrrev_i32_e32 v3, 31, v12
	s_wait_alu 0xfffe
	s_mov_b32 s37, s36
	s_wait_alu 0xfffe
	s_add_nc_u64 s[40:41], s[34:35], s[36:37]
	v_add_co_u32 v5, vcc_lo, v11, v3
	s_wait_alu 0xfffe
	s_xor_b64 s[40:41], s[40:41], s[36:37]
	s_wait_alu 0xfffd
	v_add_co_ci_u32_e64 v8, null, v12, v3, vcc_lo
	s_wait_alu 0xfffe
	s_cvt_f32_u32 s2, s40
	s_cvt_f32_u32 s18, s41
	s_sub_nc_u64 s[44:45], 0, s[40:41]
	v_xor_b32_e32 v5, v5, v3
	v_xor_b32_e32 v8, v8, v3
	s_wait_alu 0xfffe
	s_fmamk_f32 s2, s18, 0x4f800000, s2
	v_xor_b32_e32 v3, s36, v3
	s_wait_alu 0xfffe
	s_delay_alu instid0(SALU_CYCLE_1) | instskip(NEXT) | instid1(TRANS32_DEP_1)
	v_s_rcp_f32 s2, s2
	s_mul_f32 s2, s2, 0x5f7ffffc
	s_wait_alu 0xfffe
	s_delay_alu instid0(SALU_CYCLE_2) | instskip(SKIP_1) | instid1(SALU_CYCLE_2)
	s_mul_f32 s18, s2, 0x2f800000
	s_wait_alu 0xfffe
	s_trunc_f32 s18, s18
	s_wait_alu 0xfffe
	s_delay_alu instid0(SALU_CYCLE_2) | instskip(SKIP_2) | instid1(SALU_CYCLE_1)
	s_fmamk_f32 s2, s18, 0xcf800000, s2
	s_cvt_u32_f32 s43, s18
	s_wait_alu 0xfffe
	s_cvt_u32_f32 s42, s2
	s_wait_alu 0xfffe
	s_delay_alu instid0(SALU_CYCLE_2)
	s_mul_u64 s[46:47], s[44:45], s[42:43]
	s_wait_alu 0xfffe
	s_mul_hi_u32 s49, s42, s47
	s_mul_i32 s48, s42, s47
	s_mul_hi_u32 s18, s42, s46
	s_mul_i32 s31, s43, s46
	s_wait_alu 0xfffe
	s_add_nc_u64 s[48:49], s[18:19], s[48:49]
	s_mul_hi_u32 s2, s43, s46
	s_mul_hi_u32 s35, s43, s47
	s_wait_alu 0xfffe
	s_add_co_u32 s18, s48, s31
	s_add_co_ci_u32 s18, s49, s2
	s_mul_i32 s46, s43, s47
	s_add_co_ci_u32 s47, s35, 0
	s_wait_alu 0xfffe
	s_add_nc_u64 s[46:47], s[18:19], s[46:47]
	s_wait_alu 0xfffe
	s_add_co_u32 s42, s42, s46
	s_cselect_b32 s2, -1, 0
	s_wait_alu 0xfffe
	s_cmp_lg_u32 s2, 0
	s_add_co_ci_u32 s43, s43, s47
	s_wait_alu 0xfffe
	s_mul_u64 s[44:45], s[44:45], s[42:43]
	s_wait_alu 0xfffe
	s_mul_hi_u32 s47, s42, s45
	s_mul_i32 s46, s42, s45
	s_mul_hi_u32 s18, s42, s44
	s_mul_i32 s31, s43, s44
	s_wait_alu 0xfffe
	s_add_nc_u64 s[46:47], s[18:19], s[46:47]
	s_mul_hi_u32 s2, s43, s44
	s_mul_hi_u32 s35, s43, s45
	s_wait_alu 0xfffe
	s_add_co_u32 s18, s46, s31
	s_add_co_ci_u32 s18, s47, s2
	s_mul_i32 s44, s43, s45
	s_add_co_ci_u32 s45, s35, 0
	s_wait_alu 0xfffe
	s_add_nc_u64 s[44:45], s[18:19], s[44:45]
	s_wait_alu 0xfffe
	s_add_co_u32 s2, s42, s44
	s_cselect_b32 s18, -1, 0
	s_wait_alu 0xfffe
	v_mul_hi_u32 v10, v5, s2
	s_cmp_lg_u32 s18, 0
	v_mad_co_u64_u32 v[14:15], null, v8, s2, 0
	s_add_co_ci_u32 s18, s43, s45
	s_wait_alu 0xfffe
	v_mad_co_u64_u32 v[12:13], null, v5, s18, 0
	v_mad_co_u64_u32 v[16:17], null, v8, s18, 0
	s_delay_alu instid0(VALU_DEP_2) | instskip(SKIP_1) | instid1(VALU_DEP_3)
	v_add_co_u32 v10, vcc_lo, v10, v12
	s_wait_alu 0xfffd
	v_add_co_ci_u32_e64 v12, null, 0, v13, vcc_lo
	s_delay_alu instid0(VALU_DEP_2) | instskip(SKIP_1) | instid1(VALU_DEP_2)
	v_add_co_u32 v10, vcc_lo, v10, v14
	s_wait_alu 0xfffd
	v_add_co_ci_u32_e32 v10, vcc_lo, v12, v15, vcc_lo
	s_wait_alu 0xfffd
	v_add_co_ci_u32_e32 v12, vcc_lo, 0, v17, vcc_lo
	s_delay_alu instid0(VALU_DEP_2) | instskip(SKIP_1) | instid1(VALU_DEP_2)
	v_add_co_u32 v10, vcc_lo, v10, v16
	s_wait_alu 0xfffd
	v_add_co_ci_u32_e64 v14, null, 0, v12, vcc_lo
	s_delay_alu instid0(VALU_DEP_2) | instskip(SKIP_1) | instid1(VALU_DEP_3)
	v_mul_lo_u32 v15, s41, v10
	v_mad_co_u64_u32 v[12:13], null, s40, v10, 0
	v_mul_lo_u32 v16, s40, v14
	s_delay_alu instid0(VALU_DEP_2) | instskip(NEXT) | instid1(VALU_DEP_2)
	v_sub_co_u32 v5, vcc_lo, v5, v12
	v_add3_u32 v13, v13, v16, v15
	s_delay_alu instid0(VALU_DEP_1) | instskip(SKIP_2) | instid1(VALU_DEP_2)
	v_sub_nc_u32_e32 v15, v8, v13
	s_wait_alu 0xfffd
	v_sub_co_ci_u32_e64 v8, null, v8, v13, vcc_lo
	v_subrev_co_ci_u32_e64 v12, null, s41, v15, vcc_lo
	v_add_co_u32 v15, s2, v10, 2
	s_wait_alu 0xf1ff
	v_add_co_ci_u32_e64 v16, null, 0, v14, s2
	v_sub_co_u32 v17, s2, v5, s40
	s_wait_alu 0xf1ff
	v_subrev_co_ci_u32_e64 v12, null, 0, v12, s2
	s_delay_alu instid0(VALU_DEP_2) | instskip(SKIP_2) | instid1(VALU_DEP_3)
	v_cmp_le_u32_e32 vcc_lo, s40, v17
	s_wait_alu 0xfffd
	v_cndmask_b32_e64 v13, 0, -1, vcc_lo
	v_cmp_le_u32_e32 vcc_lo, s41, v12
	s_wait_alu 0xfffd
	v_cndmask_b32_e64 v17, 0, -1, vcc_lo
	;; [unrolled: 3-line block ×4, first 2 shown]
	v_cmp_eq_u32_e32 vcc_lo, s41, v12
	s_wait_alu 0xfffd
	v_cndmask_b32_e32 v12, v17, v13, vcc_lo
	v_add_co_u32 v13, vcc_lo, v10, 1
	s_wait_alu 0xfffd
	v_add_co_ci_u32_e64 v17, null, 0, v14, vcc_lo
	v_cmp_eq_u32_e32 vcc_lo, s41, v8
	s_wait_alu 0xfffd
	v_cndmask_b32_e32 v5, v18, v5, vcc_lo
	v_cmp_ne_u32_e32 vcc_lo, 0, v12
	s_wait_alu 0xfffd
	v_cndmask_b32_e32 v8, v17, v16, vcc_lo
	s_delay_alu instid0(VALU_DEP_3) | instskip(SKIP_2) | instid1(VALU_DEP_2)
	v_cmp_ne_u32_e64 s2, 0, v5
	v_cndmask_b32_e32 v5, v13, v15, vcc_lo
	s_wait_alu 0xf1ff
	v_cndmask_b32_e64 v8, v14, v8, s2
	s_delay_alu instid0(VALU_DEP_2) | instskip(NEXT) | instid1(VALU_DEP_2)
	v_cndmask_b32_e64 v5, v10, v5, s2
	v_xor_b32_e32 v8, v8, v3
	s_delay_alu instid0(VALU_DEP_2) | instskip(NEXT) | instid1(VALU_DEP_1)
	v_xor_b32_e32 v5, v5, v3
	v_sub_co_u32 v13, vcc_lo, v5, v3
	s_wait_alu 0xfffd
	s_delay_alu instid0(VALU_DEP_3)
	v_sub_co_ci_u32_e64 v14, null, v8, v3, vcc_lo
.LBB12_32:                              ;   in Loop: Header=BB12_22 Depth=2
	s_wait_alu 0xfffe
	s_and_not1_saveexec_b32 s2, s27
	s_cbranch_execz .LBB12_34
; %bb.33:                               ;   in Loop: Header=BB12_22 Depth=2
	v_cvt_f32_u32_e32 v3, s34
	s_sub_co_i32 s18, 0, s34
	v_mov_b32_e32 v14, v2
	s_delay_alu instid0(VALU_DEP_2) | instskip(NEXT) | instid1(TRANS32_DEP_1)
	v_rcp_iflag_f32_e32 v3, v3
	v_mul_f32_e32 v3, 0x4f7ffffe, v3
	s_delay_alu instid0(VALU_DEP_1) | instskip(SKIP_1) | instid1(VALU_DEP_1)
	v_cvt_u32_f32_e32 v3, v3
	s_wait_alu 0xfffe
	v_mul_lo_u32 v5, s18, v3
	s_delay_alu instid0(VALU_DEP_1) | instskip(NEXT) | instid1(VALU_DEP_1)
	v_mul_hi_u32 v5, v3, v5
	v_add_nc_u32_e32 v3, v3, v5
	s_delay_alu instid0(VALU_DEP_1) | instskip(NEXT) | instid1(VALU_DEP_1)
	v_mul_hi_u32 v3, v11, v3
	v_mul_lo_u32 v5, v3, s34
	s_delay_alu instid0(VALU_DEP_1) | instskip(NEXT) | instid1(VALU_DEP_1)
	v_sub_nc_u32_e32 v5, v11, v5
	v_subrev_nc_u32_e32 v10, s34, v5
	v_cmp_le_u32_e32 vcc_lo, s34, v5
	s_wait_alu 0xfffd
	s_delay_alu instid0(VALU_DEP_2) | instskip(NEXT) | instid1(VALU_DEP_1)
	v_dual_cndmask_b32 v5, v5, v10 :: v_dual_add_nc_u32 v8, 1, v3
	v_cndmask_b32_e32 v3, v3, v8, vcc_lo
	s_delay_alu instid0(VALU_DEP_2) | instskip(NEXT) | instid1(VALU_DEP_2)
	v_cmp_le_u32_e32 vcc_lo, s34, v5
	v_add_nc_u32_e32 v8, 1, v3
	s_wait_alu 0xfffd
	s_delay_alu instid0(VALU_DEP_1)
	v_cndmask_b32_e32 v13, v3, v8, vcc_lo
.LBB12_34:                              ;   in Loop: Header=BB12_22 Depth=2
	s_wait_alu 0xfffe
	s_or_b32 exec_lo, exec_lo, s2
	s_add_co_i32 s18, s26, 4
	s_add_nc_u64 s[38:39], s[0:1], s[38:39]
	s_wait_alu 0xfffe
	s_lshl_b64 s[40:41], s[18:19], 2
                                        ; implicit-def: $vgpr15_vgpr16
	s_mov_b32 s2, exec_lo
	s_wait_alu 0xfffe
	s_add_nc_u64 s[36:37], s[10:11], s[40:41]
	s_clause 0x1
	s_load_b32 s31, s[38:39], 0x6c
	s_load_b32 s36, s[36:37], 0x8
	s_wait_kmcnt 0x0
	s_ashr_i32 s37, s36, 31
	s_wait_alu 0xfffe
	v_or_b32_e32 v3, s37, v14
	s_delay_alu instid0(VALU_DEP_1)
	v_cmpx_ne_u64_e32 0, v[2:3]
	s_xor_b32 s27, exec_lo, s2
	s_cbranch_execz .LBB12_36
; %bb.35:                               ;   in Loop: Header=BB12_22 Depth=2
	s_ashr_i32 s38, s37, 31
	v_ashrrev_i32_e32 v3, 31, v14
	s_wait_alu 0xfffe
	s_mov_b32 s39, s38
	s_wait_alu 0xfffe
	s_add_nc_u64 s[42:43], s[36:37], s[38:39]
	v_add_co_u32 v5, vcc_lo, v13, v3
	s_wait_alu 0xfffe
	s_xor_b64 s[42:43], s[42:43], s[38:39]
	s_wait_alu 0xfffd
	v_add_co_ci_u32_e64 v8, null, v14, v3, vcc_lo
	s_wait_alu 0xfffe
	s_cvt_f32_u32 s2, s42
	s_cvt_f32_u32 s18, s43
	s_sub_nc_u64 s[46:47], 0, s[42:43]
	v_xor_b32_e32 v5, v5, v3
	v_xor_b32_e32 v8, v8, v3
	s_wait_alu 0xfffe
	s_fmamk_f32 s2, s18, 0x4f800000, s2
	v_xor_b32_e32 v3, s38, v3
	s_wait_alu 0xfffe
	s_delay_alu instid0(SALU_CYCLE_1) | instskip(NEXT) | instid1(TRANS32_DEP_1)
	v_s_rcp_f32 s2, s2
	s_mul_f32 s2, s2, 0x5f7ffffc
	s_wait_alu 0xfffe
	s_delay_alu instid0(SALU_CYCLE_2) | instskip(SKIP_1) | instid1(SALU_CYCLE_2)
	s_mul_f32 s18, s2, 0x2f800000
	s_wait_alu 0xfffe
	s_trunc_f32 s18, s18
	s_wait_alu 0xfffe
	s_delay_alu instid0(SALU_CYCLE_2) | instskip(SKIP_2) | instid1(SALU_CYCLE_1)
	s_fmamk_f32 s2, s18, 0xcf800000, s2
	s_cvt_u32_f32 s45, s18
	s_wait_alu 0xfffe
	s_cvt_u32_f32 s44, s2
	s_wait_alu 0xfffe
	s_delay_alu instid0(SALU_CYCLE_2)
	s_mul_u64 s[48:49], s[46:47], s[44:45]
	s_wait_alu 0xfffe
	s_mul_hi_u32 s51, s44, s49
	s_mul_i32 s50, s44, s49
	s_mul_hi_u32 s18, s44, s48
	s_mul_i32 s35, s45, s48
	s_wait_alu 0xfffe
	s_add_nc_u64 s[50:51], s[18:19], s[50:51]
	s_mul_hi_u32 s2, s45, s48
	s_mul_hi_u32 s37, s45, s49
	s_wait_alu 0xfffe
	s_add_co_u32 s18, s50, s35
	s_add_co_ci_u32 s18, s51, s2
	s_mul_i32 s48, s45, s49
	s_add_co_ci_u32 s49, s37, 0
	s_wait_alu 0xfffe
	s_add_nc_u64 s[48:49], s[18:19], s[48:49]
	s_wait_alu 0xfffe
	s_add_co_u32 s44, s44, s48
	s_cselect_b32 s2, -1, 0
	s_wait_alu 0xfffe
	s_cmp_lg_u32 s2, 0
	s_add_co_ci_u32 s45, s45, s49
	s_wait_alu 0xfffe
	s_mul_u64 s[46:47], s[46:47], s[44:45]
	s_wait_alu 0xfffe
	s_mul_hi_u32 s49, s44, s47
	s_mul_i32 s48, s44, s47
	s_mul_hi_u32 s18, s44, s46
	s_mul_i32 s35, s45, s46
	s_wait_alu 0xfffe
	s_add_nc_u64 s[48:49], s[18:19], s[48:49]
	s_mul_hi_u32 s2, s45, s46
	s_mul_hi_u32 s37, s45, s47
	s_wait_alu 0xfffe
	s_add_co_u32 s18, s48, s35
	s_add_co_ci_u32 s18, s49, s2
	s_mul_i32 s46, s45, s47
	s_add_co_ci_u32 s47, s37, 0
	s_wait_alu 0xfffe
	s_add_nc_u64 s[46:47], s[18:19], s[46:47]
	s_wait_alu 0xfffe
	s_add_co_u32 s2, s44, s46
	s_cselect_b32 s18, -1, 0
	s_wait_alu 0xfffe
	v_mul_hi_u32 v10, v5, s2
	s_cmp_lg_u32 s18, 0
	v_mad_co_u64_u32 v[16:17], null, v8, s2, 0
	s_add_co_ci_u32 s18, s45, s47
	s_wait_alu 0xfffe
	v_mad_co_u64_u32 v[14:15], null, v5, s18, 0
	v_mad_co_u64_u32 v[18:19], null, v8, s18, 0
	s_delay_alu instid0(VALU_DEP_2) | instskip(SKIP_1) | instid1(VALU_DEP_3)
	v_add_co_u32 v10, vcc_lo, v10, v14
	s_wait_alu 0xfffd
	v_add_co_ci_u32_e64 v12, null, 0, v15, vcc_lo
	s_delay_alu instid0(VALU_DEP_2) | instskip(SKIP_1) | instid1(VALU_DEP_2)
	v_add_co_u32 v10, vcc_lo, v10, v16
	s_wait_alu 0xfffd
	v_add_co_ci_u32_e32 v10, vcc_lo, v12, v17, vcc_lo
	s_wait_alu 0xfffd
	v_add_co_ci_u32_e32 v12, vcc_lo, 0, v19, vcc_lo
	s_delay_alu instid0(VALU_DEP_2) | instskip(SKIP_1) | instid1(VALU_DEP_2)
	v_add_co_u32 v10, vcc_lo, v10, v18
	s_wait_alu 0xfffd
	v_add_co_ci_u32_e64 v12, null, 0, v12, vcc_lo
	s_delay_alu instid0(VALU_DEP_2) | instskip(SKIP_1) | instid1(VALU_DEP_3)
	v_mul_lo_u32 v16, s43, v10
	v_mad_co_u64_u32 v[14:15], null, s42, v10, 0
	v_mul_lo_u32 v17, s42, v12
	s_delay_alu instid0(VALU_DEP_2) | instskip(NEXT) | instid1(VALU_DEP_2)
	v_sub_co_u32 v5, vcc_lo, v5, v14
	v_add3_u32 v15, v15, v17, v16
	s_delay_alu instid0(VALU_DEP_1) | instskip(SKIP_2) | instid1(VALU_DEP_2)
	v_sub_nc_u32_e32 v16, v8, v15
	s_wait_alu 0xfffd
	v_sub_co_ci_u32_e64 v8, null, v8, v15, vcc_lo
	v_subrev_co_ci_u32_e64 v14, null, s43, v16, vcc_lo
	v_add_co_u32 v16, s2, v10, 2
	s_wait_alu 0xf1ff
	v_add_co_ci_u32_e64 v17, null, 0, v12, s2
	v_sub_co_u32 v18, s2, v5, s42
	s_wait_alu 0xf1ff
	v_subrev_co_ci_u32_e64 v14, null, 0, v14, s2
	s_delay_alu instid0(VALU_DEP_2) | instskip(SKIP_2) | instid1(VALU_DEP_3)
	v_cmp_le_u32_e32 vcc_lo, s42, v18
	s_wait_alu 0xfffd
	v_cndmask_b32_e64 v15, 0, -1, vcc_lo
	v_cmp_le_u32_e32 vcc_lo, s43, v14
	s_wait_alu 0xfffd
	v_cndmask_b32_e64 v18, 0, -1, vcc_lo
	;; [unrolled: 3-line block ×4, first 2 shown]
	v_cmp_eq_u32_e32 vcc_lo, s43, v14
	s_wait_alu 0xfffd
	v_cndmask_b32_e32 v14, v18, v15, vcc_lo
	v_add_co_u32 v15, vcc_lo, v10, 1
	s_wait_alu 0xfffd
	v_add_co_ci_u32_e64 v18, null, 0, v12, vcc_lo
	v_cmp_eq_u32_e32 vcc_lo, s43, v8
	s_wait_alu 0xfffd
	v_cndmask_b32_e32 v5, v19, v5, vcc_lo
	v_cmp_ne_u32_e32 vcc_lo, 0, v14
	s_delay_alu instid0(VALU_DEP_2) | instskip(SKIP_3) | instid1(VALU_DEP_1)
	v_cmp_ne_u32_e64 s2, 0, v5
	s_wait_alu 0xfffd
	v_dual_cndmask_b32 v8, v18, v17 :: v_dual_cndmask_b32 v5, v15, v16
	s_wait_alu 0xf1ff
	v_cndmask_b32_e64 v8, v12, v8, s2
	s_delay_alu instid0(VALU_DEP_2) | instskip(NEXT) | instid1(VALU_DEP_2)
	v_cndmask_b32_e64 v5, v10, v5, s2
	v_xor_b32_e32 v8, v8, v3
	s_delay_alu instid0(VALU_DEP_2) | instskip(NEXT) | instid1(VALU_DEP_1)
	v_xor_b32_e32 v5, v5, v3
	v_sub_co_u32 v15, vcc_lo, v5, v3
	s_wait_alu 0xfffd
	s_delay_alu instid0(VALU_DEP_3)
	v_sub_co_ci_u32_e64 v16, null, v8, v3, vcc_lo
.LBB12_36:                              ;   in Loop: Header=BB12_22 Depth=2
	s_wait_alu 0xfffe
	s_and_not1_saveexec_b32 s2, s27
	s_cbranch_execz .LBB12_38
; %bb.37:                               ;   in Loop: Header=BB12_22 Depth=2
	v_cvt_f32_u32_e32 v3, s36
	s_sub_co_i32 s18, 0, s36
	v_mov_b32_e32 v16, v2
	s_delay_alu instid0(VALU_DEP_2) | instskip(NEXT) | instid1(TRANS32_DEP_1)
	v_rcp_iflag_f32_e32 v3, v3
	v_mul_f32_e32 v3, 0x4f7ffffe, v3
	s_delay_alu instid0(VALU_DEP_1) | instskip(SKIP_1) | instid1(VALU_DEP_1)
	v_cvt_u32_f32_e32 v3, v3
	s_wait_alu 0xfffe
	v_mul_lo_u32 v5, s18, v3
	s_delay_alu instid0(VALU_DEP_1) | instskip(NEXT) | instid1(VALU_DEP_1)
	v_mul_hi_u32 v5, v3, v5
	v_add_nc_u32_e32 v3, v3, v5
	s_delay_alu instid0(VALU_DEP_1) | instskip(NEXT) | instid1(VALU_DEP_1)
	v_mul_hi_u32 v3, v13, v3
	v_mul_lo_u32 v5, v3, s36
	s_delay_alu instid0(VALU_DEP_1) | instskip(NEXT) | instid1(VALU_DEP_1)
	v_sub_nc_u32_e32 v5, v13, v5
	v_subrev_nc_u32_e32 v10, s36, v5
	v_cmp_le_u32_e32 vcc_lo, s36, v5
	s_wait_alu 0xfffd
	s_delay_alu instid0(VALU_DEP_2) | instskip(NEXT) | instid1(VALU_DEP_1)
	v_dual_cndmask_b32 v5, v5, v10 :: v_dual_add_nc_u32 v8, 1, v3
	v_cndmask_b32_e32 v3, v3, v8, vcc_lo
	s_delay_alu instid0(VALU_DEP_2) | instskip(NEXT) | instid1(VALU_DEP_2)
	v_cmp_le_u32_e32 vcc_lo, s36, v5
	v_add_nc_u32_e32 v8, 1, v3
	s_wait_alu 0xfffd
	s_delay_alu instid0(VALU_DEP_1)
	v_cndmask_b32_e32 v15, v3, v8, vcc_lo
.LBB12_38:                              ;   in Loop: Header=BB12_22 Depth=2
	s_wait_alu 0xfffe
	s_or_b32 exec_lo, exec_lo, s2
	s_add_co_i32 s18, s26, 3
	s_add_nc_u64 s[40:41], s[0:1], s[40:41]
	s_wait_alu 0xfffe
	s_lshl_b64 s[42:43], s[18:19], 2
                                        ; implicit-def: $vgpr17_vgpr18
	s_mov_b32 s2, exec_lo
	s_wait_alu 0xfffe
	s_add_nc_u64 s[38:39], s[10:11], s[42:43]
	s_clause 0x1
	s_load_b32 s35, s[40:41], 0x6c
	s_load_b32 s38, s[38:39], 0x8
	s_wait_kmcnt 0x0
	s_ashr_i32 s39, s38, 31
	s_wait_alu 0xfffe
	v_or_b32_e32 v3, s39, v16
	s_delay_alu instid0(VALU_DEP_1)
	v_cmpx_ne_u64_e32 0, v[2:3]
	s_xor_b32 s27, exec_lo, s2
	s_cbranch_execz .LBB12_40
; %bb.39:                               ;   in Loop: Header=BB12_22 Depth=2
	s_ashr_i32 s40, s39, 31
	v_ashrrev_i32_e32 v3, 31, v16
	s_wait_alu 0xfffe
	s_mov_b32 s41, s40
	s_wait_alu 0xfffe
	s_add_nc_u64 s[44:45], s[38:39], s[40:41]
	v_add_co_u32 v5, vcc_lo, v15, v3
	s_wait_alu 0xfffe
	s_xor_b64 s[44:45], s[44:45], s[40:41]
	s_wait_alu 0xfffd
	v_add_co_ci_u32_e64 v8, null, v16, v3, vcc_lo
	s_wait_alu 0xfffe
	s_cvt_f32_u32 s2, s44
	s_cvt_f32_u32 s18, s45
	s_sub_nc_u64 s[48:49], 0, s[44:45]
	v_xor_b32_e32 v5, v5, v3
	v_xor_b32_e32 v8, v8, v3
	s_wait_alu 0xfffe
	s_fmamk_f32 s2, s18, 0x4f800000, s2
	v_xor_b32_e32 v3, s40, v3
	s_wait_alu 0xfffe
	s_delay_alu instid0(SALU_CYCLE_1) | instskip(NEXT) | instid1(TRANS32_DEP_1)
	v_s_rcp_f32 s2, s2
	s_mul_f32 s2, s2, 0x5f7ffffc
	s_wait_alu 0xfffe
	s_delay_alu instid0(SALU_CYCLE_2) | instskip(SKIP_1) | instid1(SALU_CYCLE_2)
	s_mul_f32 s18, s2, 0x2f800000
	s_wait_alu 0xfffe
	s_trunc_f32 s18, s18
	s_wait_alu 0xfffe
	s_delay_alu instid0(SALU_CYCLE_2) | instskip(SKIP_2) | instid1(SALU_CYCLE_1)
	s_fmamk_f32 s2, s18, 0xcf800000, s2
	s_cvt_u32_f32 s47, s18
	s_wait_alu 0xfffe
	s_cvt_u32_f32 s46, s2
	s_wait_alu 0xfffe
	s_delay_alu instid0(SALU_CYCLE_2)
	s_mul_u64 s[50:51], s[48:49], s[46:47]
	s_wait_alu 0xfffe
	s_mul_hi_u32 s59, s46, s51
	s_mul_i32 s58, s46, s51
	s_mul_hi_u32 s18, s46, s50
	s_mul_i32 s37, s47, s50
	s_wait_alu 0xfffe
	s_add_nc_u64 s[58:59], s[18:19], s[58:59]
	s_mul_hi_u32 s2, s47, s50
	s_mul_hi_u32 s39, s47, s51
	s_add_co_u32 s18, s58, s37
	s_wait_alu 0xfffe
	s_add_co_ci_u32 s18, s59, s2
	s_mul_i32 s50, s47, s51
	s_add_co_ci_u32 s51, s39, 0
	s_wait_alu 0xfffe
	s_add_nc_u64 s[50:51], s[18:19], s[50:51]
	s_wait_alu 0xfffe
	s_add_co_u32 s46, s46, s50
	s_cselect_b32 s2, -1, 0
	s_wait_alu 0xfffe
	s_cmp_lg_u32 s2, 0
	s_add_co_ci_u32 s47, s47, s51
	s_wait_alu 0xfffe
	s_mul_u64 s[48:49], s[48:49], s[46:47]
	s_wait_alu 0xfffe
	s_mul_hi_u32 s51, s46, s49
	s_mul_i32 s50, s46, s49
	s_mul_hi_u32 s18, s46, s48
	s_mul_i32 s37, s47, s48
	s_wait_alu 0xfffe
	s_add_nc_u64 s[50:51], s[18:19], s[50:51]
	s_mul_hi_u32 s2, s47, s48
	s_mul_hi_u32 s39, s47, s49
	s_wait_alu 0xfffe
	s_add_co_u32 s18, s50, s37
	s_add_co_ci_u32 s18, s51, s2
	s_mul_i32 s48, s47, s49
	s_add_co_ci_u32 s49, s39, 0
	s_wait_alu 0xfffe
	s_add_nc_u64 s[48:49], s[18:19], s[48:49]
	s_wait_alu 0xfffe
	s_add_co_u32 s2, s46, s48
	s_cselect_b32 s18, -1, 0
	s_wait_alu 0xfffe
	v_mul_hi_u32 v10, v5, s2
	s_cmp_lg_u32 s18, 0
	v_mad_co_u64_u32 v[18:19], null, v8, s2, 0
	s_add_co_ci_u32 s18, s47, s49
	s_wait_alu 0xfffe
	v_mad_co_u64_u32 v[16:17], null, v5, s18, 0
	v_mad_co_u64_u32 v[20:21], null, v8, s18, 0
	s_delay_alu instid0(VALU_DEP_2) | instskip(SKIP_1) | instid1(VALU_DEP_3)
	v_add_co_u32 v10, vcc_lo, v10, v16
	s_wait_alu 0xfffd
	v_add_co_ci_u32_e64 v12, null, 0, v17, vcc_lo
	s_delay_alu instid0(VALU_DEP_2) | instskip(SKIP_1) | instid1(VALU_DEP_2)
	v_add_co_u32 v10, vcc_lo, v10, v18
	s_wait_alu 0xfffd
	v_add_co_ci_u32_e32 v10, vcc_lo, v12, v19, vcc_lo
	s_wait_alu 0xfffd
	v_add_co_ci_u32_e32 v12, vcc_lo, 0, v21, vcc_lo
	s_delay_alu instid0(VALU_DEP_2) | instskip(SKIP_1) | instid1(VALU_DEP_2)
	v_add_co_u32 v10, vcc_lo, v10, v20
	s_wait_alu 0xfffd
	v_add_co_ci_u32_e64 v12, null, 0, v12, vcc_lo
	s_delay_alu instid0(VALU_DEP_2) | instskip(SKIP_1) | instid1(VALU_DEP_3)
	v_mul_lo_u32 v14, s45, v10
	v_mad_co_u64_u32 v[16:17], null, s44, v10, 0
	v_mul_lo_u32 v18, s44, v12
	s_delay_alu instid0(VALU_DEP_2) | instskip(NEXT) | instid1(VALU_DEP_2)
	v_sub_co_u32 v5, vcc_lo, v5, v16
	v_add3_u32 v14, v17, v18, v14
	s_delay_alu instid0(VALU_DEP_1) | instskip(SKIP_2) | instid1(VALU_DEP_2)
	v_sub_nc_u32_e32 v17, v8, v14
	s_wait_alu 0xfffd
	v_sub_co_ci_u32_e64 v8, null, v8, v14, vcc_lo
	v_subrev_co_ci_u32_e64 v16, null, s45, v17, vcc_lo
	v_add_co_u32 v17, s2, v10, 2
	s_wait_alu 0xf1ff
	v_add_co_ci_u32_e64 v18, null, 0, v12, s2
	v_sub_co_u32 v19, s2, v5, s44
	s_wait_alu 0xf1ff
	v_subrev_co_ci_u32_e64 v16, null, 0, v16, s2
	s_delay_alu instid0(VALU_DEP_2) | instskip(SKIP_2) | instid1(VALU_DEP_3)
	v_cmp_le_u32_e32 vcc_lo, s44, v19
	s_wait_alu 0xfffd
	v_cndmask_b32_e64 v14, 0, -1, vcc_lo
	v_cmp_le_u32_e32 vcc_lo, s45, v16
	s_wait_alu 0xfffd
	v_cndmask_b32_e64 v19, 0, -1, vcc_lo
	;; [unrolled: 3-line block ×4, first 2 shown]
	v_cmp_eq_u32_e32 vcc_lo, s45, v16
	s_wait_alu 0xfffd
	v_cndmask_b32_e32 v14, v19, v14, vcc_lo
	v_add_co_u32 v16, vcc_lo, v10, 1
	s_wait_alu 0xfffd
	v_add_co_ci_u32_e64 v19, null, 0, v12, vcc_lo
	v_cmp_eq_u32_e32 vcc_lo, s45, v8
	s_wait_alu 0xfffd
	v_cndmask_b32_e32 v5, v20, v5, vcc_lo
	v_cmp_ne_u32_e32 vcc_lo, 0, v14
	s_delay_alu instid0(VALU_DEP_2) | instskip(SKIP_3) | instid1(VALU_DEP_1)
	v_cmp_ne_u32_e64 s2, 0, v5
	s_wait_alu 0xfffd
	v_dual_cndmask_b32 v8, v19, v18 :: v_dual_cndmask_b32 v5, v16, v17
	s_wait_alu 0xf1ff
	v_cndmask_b32_e64 v8, v12, v8, s2
	s_delay_alu instid0(VALU_DEP_2) | instskip(NEXT) | instid1(VALU_DEP_2)
	v_cndmask_b32_e64 v5, v10, v5, s2
	v_xor_b32_e32 v8, v8, v3
	s_delay_alu instid0(VALU_DEP_2) | instskip(NEXT) | instid1(VALU_DEP_1)
	v_xor_b32_e32 v5, v5, v3
	v_sub_co_u32 v17, vcc_lo, v5, v3
	s_wait_alu 0xfffd
	s_delay_alu instid0(VALU_DEP_3)
	v_sub_co_ci_u32_e64 v18, null, v8, v3, vcc_lo
.LBB12_40:                              ;   in Loop: Header=BB12_22 Depth=2
	s_wait_alu 0xfffe
	s_and_not1_saveexec_b32 s2, s27
	s_cbranch_execz .LBB12_42
; %bb.41:                               ;   in Loop: Header=BB12_22 Depth=2
	v_cvt_f32_u32_e32 v3, s38
	s_sub_co_i32 s18, 0, s38
	v_mov_b32_e32 v18, v2
	s_delay_alu instid0(VALU_DEP_2) | instskip(NEXT) | instid1(TRANS32_DEP_1)
	v_rcp_iflag_f32_e32 v3, v3
	v_mul_f32_e32 v3, 0x4f7ffffe, v3
	s_delay_alu instid0(VALU_DEP_1) | instskip(SKIP_1) | instid1(VALU_DEP_1)
	v_cvt_u32_f32_e32 v3, v3
	s_wait_alu 0xfffe
	v_mul_lo_u32 v5, s18, v3
	s_delay_alu instid0(VALU_DEP_1) | instskip(NEXT) | instid1(VALU_DEP_1)
	v_mul_hi_u32 v5, v3, v5
	v_add_nc_u32_e32 v3, v3, v5
	s_delay_alu instid0(VALU_DEP_1) | instskip(NEXT) | instid1(VALU_DEP_1)
	v_mul_hi_u32 v3, v15, v3
	v_mul_lo_u32 v5, v3, s38
	s_delay_alu instid0(VALU_DEP_1) | instskip(NEXT) | instid1(VALU_DEP_1)
	v_sub_nc_u32_e32 v5, v15, v5
	v_subrev_nc_u32_e32 v10, s38, v5
	v_cmp_le_u32_e32 vcc_lo, s38, v5
	s_wait_alu 0xfffd
	s_delay_alu instid0(VALU_DEP_2) | instskip(NEXT) | instid1(VALU_DEP_1)
	v_dual_cndmask_b32 v5, v5, v10 :: v_dual_add_nc_u32 v8, 1, v3
	v_cndmask_b32_e32 v3, v3, v8, vcc_lo
	s_delay_alu instid0(VALU_DEP_2) | instskip(NEXT) | instid1(VALU_DEP_2)
	v_cmp_le_u32_e32 vcc_lo, s38, v5
	v_add_nc_u32_e32 v8, 1, v3
	s_wait_alu 0xfffd
	s_delay_alu instid0(VALU_DEP_1)
	v_cndmask_b32_e32 v17, v3, v8, vcc_lo
.LBB12_42:                              ;   in Loop: Header=BB12_22 Depth=2
	s_wait_alu 0xfffe
	s_or_b32 exec_lo, exec_lo, s2
	s_add_co_i32 s18, s26, 2
	s_add_nc_u64 s[42:43], s[0:1], s[42:43]
	s_wait_alu 0xfffe
	s_lshl_b64 s[44:45], s[18:19], 2
                                        ; implicit-def: $vgpr19_vgpr20
	s_mov_b32 s2, exec_lo
	s_wait_alu 0xfffe
	s_add_nc_u64 s[40:41], s[10:11], s[44:45]
	s_clause 0x1
	s_load_b32 s37, s[42:43], 0x6c
	s_load_b32 s40, s[40:41], 0x8
	s_wait_kmcnt 0x0
	s_ashr_i32 s41, s40, 31
	s_wait_alu 0xfffe
	v_or_b32_e32 v3, s41, v18
	s_delay_alu instid0(VALU_DEP_1)
	v_cmpx_ne_u64_e32 0, v[2:3]
	s_xor_b32 s27, exec_lo, s2
	s_cbranch_execz .LBB12_44
; %bb.43:                               ;   in Loop: Header=BB12_22 Depth=2
	s_ashr_i32 s42, s41, 31
	v_ashrrev_i32_e32 v3, 31, v18
	s_wait_alu 0xfffe
	s_mov_b32 s43, s42
	s_wait_alu 0xfffe
	s_add_nc_u64 s[46:47], s[40:41], s[42:43]
	v_add_co_u32 v5, vcc_lo, v17, v3
	s_wait_alu 0xfffe
	s_xor_b64 s[46:47], s[46:47], s[42:43]
	s_wait_alu 0xfffd
	v_add_co_ci_u32_e64 v8, null, v18, v3, vcc_lo
	s_wait_alu 0xfffe
	s_cvt_f32_u32 s2, s46
	s_cvt_f32_u32 s18, s47
	s_sub_nc_u64 s[50:51], 0, s[46:47]
	v_xor_b32_e32 v5, v5, v3
	v_xor_b32_e32 v8, v8, v3
	s_wait_alu 0xfffe
	s_fmamk_f32 s2, s18, 0x4f800000, s2
	v_xor_b32_e32 v3, s42, v3
	s_wait_alu 0xfffe
	s_delay_alu instid0(SALU_CYCLE_1) | instskip(NEXT) | instid1(TRANS32_DEP_1)
	v_s_rcp_f32 s2, s2
	s_mul_f32 s2, s2, 0x5f7ffffc
	s_wait_alu 0xfffe
	s_delay_alu instid0(SALU_CYCLE_2) | instskip(SKIP_1) | instid1(SALU_CYCLE_2)
	s_mul_f32 s18, s2, 0x2f800000
	s_wait_alu 0xfffe
	s_trunc_f32 s18, s18
	s_wait_alu 0xfffe
	s_delay_alu instid0(SALU_CYCLE_2) | instskip(SKIP_2) | instid1(SALU_CYCLE_1)
	s_fmamk_f32 s2, s18, 0xcf800000, s2
	s_cvt_u32_f32 s49, s18
	s_wait_alu 0xfffe
	s_cvt_u32_f32 s48, s2
	s_wait_alu 0xfffe
	s_delay_alu instid0(SALU_CYCLE_2) | instskip(NEXT) | instid1(SALU_CYCLE_1)
	s_mul_u64 s[58:59], s[50:51], s[48:49]
	s_mul_hi_u32 s61, s48, s59
	s_mul_i32 s60, s48, s59
	s_mul_hi_u32 s18, s48, s58
	s_mul_i32 s39, s49, s58
	s_wait_alu 0xfffe
	s_add_nc_u64 s[60:61], s[18:19], s[60:61]
	s_mul_hi_u32 s2, s49, s58
	s_mul_hi_u32 s41, s49, s59
	s_add_co_u32 s18, s60, s39
	s_wait_alu 0xfffe
	s_add_co_ci_u32 s18, s61, s2
	s_mul_i32 s58, s49, s59
	s_add_co_ci_u32 s59, s41, 0
	s_wait_alu 0xfffe
	s_add_nc_u64 s[58:59], s[18:19], s[58:59]
	s_delay_alu instid0(SALU_CYCLE_1)
	s_add_co_u32 s48, s48, s58
	s_cselect_b32 s2, -1, 0
	s_wait_alu 0xfffe
	s_cmp_lg_u32 s2, 0
	s_add_co_ci_u32 s49, s49, s59
	s_wait_alu 0xfffe
	s_mul_u64 s[50:51], s[50:51], s[48:49]
	s_wait_alu 0xfffe
	s_mul_hi_u32 s59, s48, s51
	s_mul_i32 s58, s48, s51
	s_mul_hi_u32 s18, s48, s50
	s_mul_i32 s39, s49, s50
	s_wait_alu 0xfffe
	s_add_nc_u64 s[58:59], s[18:19], s[58:59]
	s_mul_hi_u32 s2, s49, s50
	s_mul_hi_u32 s41, s49, s51
	s_add_co_u32 s18, s58, s39
	s_wait_alu 0xfffe
	s_add_co_ci_u32 s18, s59, s2
	s_mul_i32 s50, s49, s51
	s_add_co_ci_u32 s51, s41, 0
	s_wait_alu 0xfffe
	s_add_nc_u64 s[50:51], s[18:19], s[50:51]
	s_wait_alu 0xfffe
	s_add_co_u32 s2, s48, s50
	s_cselect_b32 s18, -1, 0
	s_wait_alu 0xfffe
	v_mul_hi_u32 v10, v5, s2
	s_cmp_lg_u32 s18, 0
	v_mad_co_u64_u32 v[20:21], null, v8, s2, 0
	s_add_co_ci_u32 s18, s49, s51
	s_wait_alu 0xfffe
	v_mad_co_u64_u32 v[18:19], null, v5, s18, 0
	v_mad_co_u64_u32 v[22:23], null, v8, s18, 0
	s_delay_alu instid0(VALU_DEP_2) | instskip(SKIP_1) | instid1(VALU_DEP_3)
	v_add_co_u32 v10, vcc_lo, v10, v18
	s_wait_alu 0xfffd
	v_add_co_ci_u32_e64 v12, null, 0, v19, vcc_lo
	s_delay_alu instid0(VALU_DEP_2) | instskip(SKIP_1) | instid1(VALU_DEP_2)
	v_add_co_u32 v10, vcc_lo, v10, v20
	s_wait_alu 0xfffd
	v_add_co_ci_u32_e32 v10, vcc_lo, v12, v21, vcc_lo
	s_wait_alu 0xfffd
	v_add_co_ci_u32_e32 v12, vcc_lo, 0, v23, vcc_lo
	s_delay_alu instid0(VALU_DEP_2) | instskip(SKIP_1) | instid1(VALU_DEP_2)
	v_add_co_u32 v10, vcc_lo, v10, v22
	s_wait_alu 0xfffd
	v_add_co_ci_u32_e64 v12, null, 0, v12, vcc_lo
	s_delay_alu instid0(VALU_DEP_2) | instskip(SKIP_1) | instid1(VALU_DEP_3)
	v_mul_lo_u32 v14, s47, v10
	v_mad_co_u64_u32 v[18:19], null, s46, v10, 0
	v_mul_lo_u32 v16, s46, v12
	s_delay_alu instid0(VALU_DEP_2) | instskip(NEXT) | instid1(VALU_DEP_2)
	v_sub_co_u32 v5, vcc_lo, v5, v18
	v_add3_u32 v14, v19, v16, v14
	v_add_co_u32 v18, s2, v10, 2
	s_wait_alu 0xf1ff
	v_add_co_ci_u32_e64 v19, null, 0, v12, s2
	s_delay_alu instid0(VALU_DEP_3) | instskip(SKIP_3) | instid1(VALU_DEP_3)
	v_sub_nc_u32_e32 v16, v8, v14
	v_sub_co_u32 v20, s2, v5, s46
	s_wait_alu 0xfffd
	v_sub_co_ci_u32_e64 v8, null, v8, v14, vcc_lo
	v_subrev_co_ci_u32_e64 v16, null, s47, v16, vcc_lo
	s_delay_alu instid0(VALU_DEP_3) | instskip(SKIP_1) | instid1(VALU_DEP_2)
	v_cmp_le_u32_e32 vcc_lo, s46, v20
	s_wait_alu 0xf1ff
	v_subrev_co_ci_u32_e64 v16, null, 0, v16, s2
	s_wait_alu 0xfffd
	v_cndmask_b32_e64 v14, 0, -1, vcc_lo
	s_delay_alu instid0(VALU_DEP_2)
	v_cmp_le_u32_e32 vcc_lo, s47, v16
	s_wait_alu 0xfffd
	v_cndmask_b32_e64 v20, 0, -1, vcc_lo
	v_cmp_le_u32_e32 vcc_lo, s46, v5
	s_wait_alu 0xfffd
	v_cndmask_b32_e64 v5, 0, -1, vcc_lo
	;; [unrolled: 3-line block ×3, first 2 shown]
	v_cmp_eq_u32_e32 vcc_lo, s47, v16
	s_wait_alu 0xfffd
	v_cndmask_b32_e32 v14, v20, v14, vcc_lo
	v_add_co_u32 v16, vcc_lo, v10, 1
	s_wait_alu 0xfffd
	v_add_co_ci_u32_e64 v20, null, 0, v12, vcc_lo
	v_cmp_eq_u32_e32 vcc_lo, s47, v8
	s_wait_alu 0xfffd
	v_cndmask_b32_e32 v5, v21, v5, vcc_lo
	v_cmp_ne_u32_e32 vcc_lo, 0, v14
	s_delay_alu instid0(VALU_DEP_2) | instskip(SKIP_4) | instid1(VALU_DEP_2)
	v_cmp_ne_u32_e64 s2, 0, v5
	s_wait_alu 0xfffd
	v_cndmask_b32_e32 v5, v16, v18, vcc_lo
	v_cndmask_b32_e32 v8, v20, v19, vcc_lo
	s_wait_alu 0xf1ff
	v_cndmask_b32_e64 v5, v10, v5, s2
	s_delay_alu instid0(VALU_DEP_2) | instskip(NEXT) | instid1(VALU_DEP_2)
	v_cndmask_b32_e64 v8, v12, v8, s2
	v_xor_b32_e32 v5, v5, v3
	s_delay_alu instid0(VALU_DEP_2) | instskip(NEXT) | instid1(VALU_DEP_2)
	v_xor_b32_e32 v8, v8, v3
	v_sub_co_u32 v19, vcc_lo, v5, v3
	s_wait_alu 0xfffd
	s_delay_alu instid0(VALU_DEP_2)
	v_sub_co_ci_u32_e64 v20, null, v8, v3, vcc_lo
.LBB12_44:                              ;   in Loop: Header=BB12_22 Depth=2
	s_wait_alu 0xfffe
	s_and_not1_saveexec_b32 s2, s27
	s_cbranch_execz .LBB12_46
; %bb.45:                               ;   in Loop: Header=BB12_22 Depth=2
	v_cvt_f32_u32_e32 v3, s40
	s_sub_co_i32 s18, 0, s40
	v_mov_b32_e32 v20, v2
	s_delay_alu instid0(VALU_DEP_2) | instskip(NEXT) | instid1(TRANS32_DEP_1)
	v_rcp_iflag_f32_e32 v3, v3
	v_mul_f32_e32 v3, 0x4f7ffffe, v3
	s_delay_alu instid0(VALU_DEP_1) | instskip(SKIP_1) | instid1(VALU_DEP_1)
	v_cvt_u32_f32_e32 v3, v3
	s_wait_alu 0xfffe
	v_mul_lo_u32 v5, s18, v3
	s_delay_alu instid0(VALU_DEP_1) | instskip(NEXT) | instid1(VALU_DEP_1)
	v_mul_hi_u32 v5, v3, v5
	v_add_nc_u32_e32 v3, v3, v5
	s_delay_alu instid0(VALU_DEP_1) | instskip(NEXT) | instid1(VALU_DEP_1)
	v_mul_hi_u32 v3, v17, v3
	v_mul_lo_u32 v5, v3, s40
	s_delay_alu instid0(VALU_DEP_1) | instskip(NEXT) | instid1(VALU_DEP_1)
	v_sub_nc_u32_e32 v5, v17, v5
	v_subrev_nc_u32_e32 v10, s40, v5
	v_cmp_le_u32_e32 vcc_lo, s40, v5
	s_wait_alu 0xfffd
	s_delay_alu instid0(VALU_DEP_2) | instskip(NEXT) | instid1(VALU_DEP_1)
	v_dual_cndmask_b32 v5, v5, v10 :: v_dual_add_nc_u32 v8, 1, v3
	v_cndmask_b32_e32 v3, v3, v8, vcc_lo
	s_delay_alu instid0(VALU_DEP_2) | instskip(NEXT) | instid1(VALU_DEP_2)
	v_cmp_le_u32_e32 vcc_lo, s40, v5
	v_add_nc_u32_e32 v8, 1, v3
	s_wait_alu 0xfffd
	s_delay_alu instid0(VALU_DEP_1)
	v_cndmask_b32_e32 v19, v3, v8, vcc_lo
.LBB12_46:                              ;   in Loop: Header=BB12_22 Depth=2
	s_wait_alu 0xfffe
	s_or_b32 exec_lo, exec_lo, s2
	s_add_co_i32 s18, s26, 1
	s_add_nc_u64 s[44:45], s[0:1], s[44:45]
	s_wait_alu 0xfffe
	s_lshl_b64 s[48:49], s[18:19], 2
                                        ; implicit-def: $vgpr21_vgpr22
	s_mov_b32 s2, exec_lo
	s_wait_alu 0xfffe
	s_add_nc_u64 s[42:43], s[10:11], s[48:49]
	s_clause 0x1
	s_load_b32 s39, s[44:45], 0x6c
	s_load_b32 s42, s[42:43], 0x8
	s_wait_kmcnt 0x0
	s_ashr_i32 s43, s42, 31
	s_wait_alu 0xfffe
	v_or_b32_e32 v3, s43, v20
	s_delay_alu instid0(VALU_DEP_1)
	v_cmpx_ne_u64_e32 0, v[2:3]
	s_xor_b32 s27, exec_lo, s2
	s_cbranch_execz .LBB12_48
; %bb.47:                               ;   in Loop: Header=BB12_22 Depth=2
	s_ashr_i32 s44, s43, 31
	v_ashrrev_i32_e32 v3, 31, v20
	s_wait_alu 0xfffe
	s_mov_b32 s45, s44
	s_wait_alu 0xfffe
	s_add_nc_u64 s[46:47], s[42:43], s[44:45]
	v_add_co_u32 v5, vcc_lo, v19, v3
	s_wait_alu 0xfffe
	s_xor_b64 s[46:47], s[46:47], s[44:45]
	s_wait_alu 0xfffd
	v_add_co_ci_u32_e64 v8, null, v20, v3, vcc_lo
	s_wait_alu 0xfffe
	s_cvt_f32_u32 s2, s46
	s_cvt_f32_u32 s18, s47
	s_sub_nc_u64 s[58:59], 0, s[46:47]
	v_xor_b32_e32 v5, v5, v3
	v_xor_b32_e32 v8, v8, v3
	s_wait_alu 0xfffe
	s_fmamk_f32 s2, s18, 0x4f800000, s2
	v_xor_b32_e32 v3, s44, v3
	s_wait_alu 0xfffe
	s_delay_alu instid0(SALU_CYCLE_1) | instskip(NEXT) | instid1(TRANS32_DEP_1)
	v_s_rcp_f32 s2, s2
	s_mul_f32 s2, s2, 0x5f7ffffc
	s_wait_alu 0xfffe
	s_delay_alu instid0(SALU_CYCLE_2) | instskip(SKIP_1) | instid1(SALU_CYCLE_2)
	s_mul_f32 s18, s2, 0x2f800000
	s_wait_alu 0xfffe
	s_trunc_f32 s18, s18
	s_wait_alu 0xfffe
	s_delay_alu instid0(SALU_CYCLE_2) | instskip(SKIP_2) | instid1(SALU_CYCLE_1)
	s_fmamk_f32 s2, s18, 0xcf800000, s2
	s_cvt_u32_f32 s51, s18
	s_wait_alu 0xfffe
	s_cvt_u32_f32 s50, s2
	s_wait_alu 0xfffe
	s_delay_alu instid0(SALU_CYCLE_2) | instskip(NEXT) | instid1(SALU_CYCLE_1)
	s_mul_u64 s[60:61], s[58:59], s[50:51]
	s_mul_hi_u32 s63, s50, s61
	s_mul_i32 s62, s50, s61
	s_mul_hi_u32 s18, s50, s60
	s_mul_i32 s41, s51, s60
	s_wait_alu 0xfffe
	s_add_nc_u64 s[62:63], s[18:19], s[62:63]
	s_mul_hi_u32 s2, s51, s60
	s_mul_hi_u32 s43, s51, s61
	s_add_co_u32 s18, s62, s41
	s_wait_alu 0xfffe
	s_add_co_ci_u32 s18, s63, s2
	s_mul_i32 s60, s51, s61
	s_add_co_ci_u32 s61, s43, 0
	s_wait_alu 0xfffe
	s_add_nc_u64 s[60:61], s[18:19], s[60:61]
	s_delay_alu instid0(SALU_CYCLE_1)
	s_add_co_u32 s50, s50, s60
	s_cselect_b32 s2, -1, 0
	s_wait_alu 0xfffe
	s_cmp_lg_u32 s2, 0
	s_add_co_ci_u32 s51, s51, s61
	s_wait_alu 0xfffe
	s_mul_u64 s[58:59], s[58:59], s[50:51]
	s_delay_alu instid0(SALU_CYCLE_1)
	s_mul_hi_u32 s61, s50, s59
	s_mul_i32 s60, s50, s59
	s_mul_hi_u32 s18, s50, s58
	s_mul_i32 s41, s51, s58
	s_wait_alu 0xfffe
	s_add_nc_u64 s[60:61], s[18:19], s[60:61]
	s_mul_hi_u32 s2, s51, s58
	s_mul_hi_u32 s43, s51, s59
	s_add_co_u32 s18, s60, s41
	s_wait_alu 0xfffe
	s_add_co_ci_u32 s18, s61, s2
	s_mul_i32 s58, s51, s59
	s_add_co_ci_u32 s59, s43, 0
	s_wait_alu 0xfffe
	s_add_nc_u64 s[58:59], s[18:19], s[58:59]
	s_delay_alu instid0(SALU_CYCLE_1)
	s_add_co_u32 s2, s50, s58
	s_cselect_b32 s18, -1, 0
	s_wait_alu 0xfffe
	v_mul_hi_u32 v10, v5, s2
	s_cmp_lg_u32 s18, 0
	v_mad_co_u64_u32 v[22:23], null, v8, s2, 0
	s_add_co_ci_u32 s18, s51, s59
	s_wait_alu 0xfffe
	v_mad_co_u64_u32 v[20:21], null, v5, s18, 0
	v_mad_co_u64_u32 v[29:30], null, v8, s18, 0
	s_delay_alu instid0(VALU_DEP_2) | instskip(SKIP_1) | instid1(VALU_DEP_3)
	v_add_co_u32 v10, vcc_lo, v10, v20
	s_wait_alu 0xfffd
	v_add_co_ci_u32_e64 v12, null, 0, v21, vcc_lo
	s_delay_alu instid0(VALU_DEP_2) | instskip(SKIP_1) | instid1(VALU_DEP_2)
	v_add_co_u32 v10, vcc_lo, v10, v22
	s_wait_alu 0xfffd
	v_add_co_ci_u32_e32 v10, vcc_lo, v12, v23, vcc_lo
	s_wait_alu 0xfffd
	v_add_co_ci_u32_e32 v12, vcc_lo, 0, v30, vcc_lo
	s_delay_alu instid0(VALU_DEP_2) | instskip(SKIP_1) | instid1(VALU_DEP_2)
	v_add_co_u32 v10, vcc_lo, v10, v29
	s_wait_alu 0xfffd
	v_add_co_ci_u32_e64 v12, null, 0, v12, vcc_lo
	s_delay_alu instid0(VALU_DEP_2) | instskip(SKIP_1) | instid1(VALU_DEP_3)
	v_mul_lo_u32 v14, s47, v10
	v_mad_co_u64_u32 v[20:21], null, s46, v10, 0
	v_mul_lo_u32 v16, s46, v12
	v_add_co_u32 v18, s2, v10, 2
	s_delay_alu instid0(VALU_DEP_3) | instskip(NEXT) | instid1(VALU_DEP_3)
	v_sub_co_u32 v5, vcc_lo, v5, v20
	v_add3_u32 v14, v21, v16, v14
	s_wait_alu 0xf1ff
	v_add_co_ci_u32_e64 v20, null, 0, v12, s2
	s_delay_alu instid0(VALU_DEP_3) | instskip(NEXT) | instid1(VALU_DEP_3)
	v_sub_co_u32 v21, s2, v5, s46
	v_sub_nc_u32_e32 v16, v8, v14
	s_wait_alu 0xfffd
	v_sub_co_ci_u32_e64 v8, null, v8, v14, vcc_lo
	s_delay_alu instid0(VALU_DEP_2) | instskip(SKIP_2) | instid1(VALU_DEP_2)
	v_subrev_co_ci_u32_e64 v16, null, s47, v16, vcc_lo
	v_cmp_le_u32_e32 vcc_lo, s46, v21
	s_wait_alu 0xf1ff
	v_subrev_co_ci_u32_e64 v16, null, 0, v16, s2
	s_wait_alu 0xfffd
	v_cndmask_b32_e64 v14, 0, -1, vcc_lo
	s_delay_alu instid0(VALU_DEP_2)
	v_cmp_le_u32_e32 vcc_lo, s47, v16
	s_wait_alu 0xfffd
	v_cndmask_b32_e64 v21, 0, -1, vcc_lo
	v_cmp_le_u32_e32 vcc_lo, s46, v5
	s_wait_alu 0xfffd
	v_cndmask_b32_e64 v5, 0, -1, vcc_lo
	;; [unrolled: 3-line block ×3, first 2 shown]
	v_cmp_eq_u32_e32 vcc_lo, s47, v16
	s_wait_alu 0xfffd
	v_cndmask_b32_e32 v14, v21, v14, vcc_lo
	v_add_co_u32 v16, vcc_lo, v10, 1
	s_wait_alu 0xfffd
	v_add_co_ci_u32_e64 v21, null, 0, v12, vcc_lo
	v_cmp_eq_u32_e32 vcc_lo, s47, v8
	s_wait_alu 0xfffd
	v_cndmask_b32_e32 v5, v22, v5, vcc_lo
	v_cmp_ne_u32_e32 vcc_lo, 0, v14
	s_delay_alu instid0(VALU_DEP_2) | instskip(SKIP_3) | instid1(VALU_DEP_1)
	v_cmp_ne_u32_e64 s2, 0, v5
	s_wait_alu 0xfffd
	v_dual_cndmask_b32 v8, v21, v20 :: v_dual_cndmask_b32 v5, v16, v18
	s_wait_alu 0xf1ff
	v_cndmask_b32_e64 v8, v12, v8, s2
	s_delay_alu instid0(VALU_DEP_2) | instskip(NEXT) | instid1(VALU_DEP_2)
	v_cndmask_b32_e64 v5, v10, v5, s2
	v_xor_b32_e32 v8, v8, v3
	s_delay_alu instid0(VALU_DEP_2) | instskip(NEXT) | instid1(VALU_DEP_1)
	v_xor_b32_e32 v5, v5, v3
	v_sub_co_u32 v21, vcc_lo, v5, v3
	s_wait_alu 0xfffd
	s_delay_alu instid0(VALU_DEP_3)
	v_sub_co_ci_u32_e64 v22, null, v8, v3, vcc_lo
.LBB12_48:                              ;   in Loop: Header=BB12_22 Depth=2
	s_wait_alu 0xfffe
	s_and_not1_saveexec_b32 s2, s27
	s_cbranch_execz .LBB12_50
; %bb.49:                               ;   in Loop: Header=BB12_22 Depth=2
	v_cvt_f32_u32_e32 v3, s42
	s_sub_co_i32 s18, 0, s42
	v_mov_b32_e32 v22, v2
	s_delay_alu instid0(VALU_DEP_2) | instskip(NEXT) | instid1(TRANS32_DEP_1)
	v_rcp_iflag_f32_e32 v3, v3
	v_mul_f32_e32 v3, 0x4f7ffffe, v3
	s_delay_alu instid0(VALU_DEP_1) | instskip(SKIP_1) | instid1(VALU_DEP_1)
	v_cvt_u32_f32_e32 v3, v3
	s_wait_alu 0xfffe
	v_mul_lo_u32 v5, s18, v3
	s_delay_alu instid0(VALU_DEP_1) | instskip(NEXT) | instid1(VALU_DEP_1)
	v_mul_hi_u32 v5, v3, v5
	v_add_nc_u32_e32 v3, v3, v5
	s_delay_alu instid0(VALU_DEP_1) | instskip(NEXT) | instid1(VALU_DEP_1)
	v_mul_hi_u32 v3, v19, v3
	v_mul_lo_u32 v5, v3, s42
	s_delay_alu instid0(VALU_DEP_1) | instskip(NEXT) | instid1(VALU_DEP_1)
	v_sub_nc_u32_e32 v5, v19, v5
	v_subrev_nc_u32_e32 v10, s42, v5
	v_cmp_le_u32_e32 vcc_lo, s42, v5
	s_wait_alu 0xfffd
	s_delay_alu instid0(VALU_DEP_2) | instskip(NEXT) | instid1(VALU_DEP_1)
	v_dual_cndmask_b32 v5, v5, v10 :: v_dual_add_nc_u32 v8, 1, v3
	v_cndmask_b32_e32 v3, v3, v8, vcc_lo
	s_delay_alu instid0(VALU_DEP_2) | instskip(NEXT) | instid1(VALU_DEP_2)
	v_cmp_le_u32_e32 vcc_lo, s42, v5
	v_add_nc_u32_e32 v8, 1, v3
	s_wait_alu 0xfffd
	s_delay_alu instid0(VALU_DEP_1)
	v_cndmask_b32_e32 v21, v3, v8, vcc_lo
.LBB12_50:                              ;   in Loop: Header=BB12_22 Depth=2
	s_wait_alu 0xfffe
	s_or_b32 exec_lo, exec_lo, s2
	s_mov_b32 s27, s19
	s_add_nc_u64 s[48:49], s[0:1], s[48:49]
	s_wait_alu 0xfffe
	s_lshl_b64 s[46:47], s[26:27], 2
                                        ; implicit-def: $vgpr23_vgpr24
	s_mov_b32 s2, exec_lo
	s_wait_alu 0xfffe
	s_add_nc_u64 s[44:45], s[10:11], s[46:47]
	s_clause 0x1
	s_load_b32 s27, s[48:49], 0x6c
	s_load_b32 s44, s[44:45], 0x8
	s_wait_kmcnt 0x0
	s_ashr_i32 s45, s44, 31
	s_wait_alu 0xfffe
	v_or_b32_e32 v3, s45, v22
	s_delay_alu instid0(VALU_DEP_1)
	v_cmpx_ne_u64_e32 0, v[2:3]
	s_xor_b32 s41, exec_lo, s2
	s_cbranch_execz .LBB12_52
; %bb.51:                               ;   in Loop: Header=BB12_22 Depth=2
	s_ashr_i32 s48, s45, 31
	v_ashrrev_i32_e32 v3, 31, v22
	s_wait_alu 0xfffe
	s_mov_b32 s49, s48
	s_wait_alu 0xfffe
	s_add_nc_u64 s[50:51], s[44:45], s[48:49]
	v_add_co_u32 v5, vcc_lo, v21, v3
	s_wait_alu 0xfffe
	s_xor_b64 s[50:51], s[50:51], s[48:49]
	s_wait_alu 0xfffd
	v_add_co_ci_u32_e64 v8, null, v22, v3, vcc_lo
	s_wait_alu 0xfffe
	s_cvt_f32_u32 s2, s50
	s_cvt_f32_u32 s18, s51
	s_sub_nc_u64 s[60:61], 0, s[50:51]
	v_xor_b32_e32 v5, v5, v3
	v_xor_b32_e32 v8, v8, v3
	s_wait_alu 0xfffe
	s_fmamk_f32 s2, s18, 0x4f800000, s2
	v_xor_b32_e32 v3, s48, v3
	s_wait_alu 0xfffe
	s_delay_alu instid0(SALU_CYCLE_1) | instskip(NEXT) | instid1(TRANS32_DEP_1)
	v_s_rcp_f32 s2, s2
	s_mul_f32 s2, s2, 0x5f7ffffc
	s_wait_alu 0xfffe
	s_delay_alu instid0(SALU_CYCLE_2) | instskip(SKIP_1) | instid1(SALU_CYCLE_2)
	s_mul_f32 s18, s2, 0x2f800000
	s_wait_alu 0xfffe
	s_trunc_f32 s18, s18
	s_wait_alu 0xfffe
	s_delay_alu instid0(SALU_CYCLE_2) | instskip(SKIP_2) | instid1(SALU_CYCLE_1)
	s_fmamk_f32 s2, s18, 0xcf800000, s2
	s_cvt_u32_f32 s59, s18
	s_wait_alu 0xfffe
	s_cvt_u32_f32 s58, s2
	s_delay_alu instid0(SALU_CYCLE_3) | instskip(NEXT) | instid1(SALU_CYCLE_1)
	s_mul_u64 s[62:63], s[60:61], s[58:59]
	s_mul_hi_u32 s65, s58, s63
	s_mul_i32 s64, s58, s63
	s_mul_hi_u32 s18, s58, s62
	s_mul_i32 s43, s59, s62
	s_wait_alu 0xfffe
	s_add_nc_u64 s[64:65], s[18:19], s[64:65]
	s_mul_hi_u32 s2, s59, s62
	s_mul_hi_u32 s45, s59, s63
	s_add_co_u32 s18, s64, s43
	s_wait_alu 0xfffe
	s_add_co_ci_u32 s18, s65, s2
	s_mul_i32 s62, s59, s63
	s_add_co_ci_u32 s63, s45, 0
	s_wait_alu 0xfffe
	s_add_nc_u64 s[62:63], s[18:19], s[62:63]
	s_delay_alu instid0(SALU_CYCLE_1) | instskip(SKIP_4) | instid1(SALU_CYCLE_1)
	s_add_co_u32 s58, s58, s62
	s_cselect_b32 s2, -1, 0
	s_wait_alu 0xfffe
	s_cmp_lg_u32 s2, 0
	s_add_co_ci_u32 s59, s59, s63
	s_mul_u64 s[60:61], s[60:61], s[58:59]
	s_delay_alu instid0(SALU_CYCLE_1)
	s_mul_hi_u32 s63, s58, s61
	s_mul_i32 s62, s58, s61
	s_mul_hi_u32 s18, s58, s60
	s_mul_i32 s43, s59, s60
	s_wait_alu 0xfffe
	s_add_nc_u64 s[62:63], s[18:19], s[62:63]
	s_mul_hi_u32 s2, s59, s60
	s_mul_hi_u32 s45, s59, s61
	s_add_co_u32 s18, s62, s43
	s_wait_alu 0xfffe
	s_add_co_ci_u32 s18, s63, s2
	s_mul_i32 s60, s59, s61
	s_add_co_ci_u32 s61, s45, 0
	s_wait_alu 0xfffe
	s_add_nc_u64 s[60:61], s[18:19], s[60:61]
	s_delay_alu instid0(SALU_CYCLE_1)
	s_add_co_u32 s2, s58, s60
	s_cselect_b32 s18, -1, 0
	s_wait_alu 0xfffe
	v_mul_hi_u32 v10, v5, s2
	s_cmp_lg_u32 s18, 0
	v_mad_co_u64_u32 v[29:30], null, v8, s2, 0
	s_add_co_ci_u32 s18, s59, s61
	s_wait_alu 0xfffe
	v_mad_co_u64_u32 v[22:23], null, v5, s18, 0
	v_mad_co_u64_u32 v[31:32], null, v8, s18, 0
	s_delay_alu instid0(VALU_DEP_2) | instskip(SKIP_1) | instid1(VALU_DEP_3)
	v_add_co_u32 v10, vcc_lo, v10, v22
	s_wait_alu 0xfffd
	v_add_co_ci_u32_e64 v12, null, 0, v23, vcc_lo
	s_delay_alu instid0(VALU_DEP_2) | instskip(SKIP_1) | instid1(VALU_DEP_2)
	v_add_co_u32 v10, vcc_lo, v10, v29
	s_wait_alu 0xfffd
	v_add_co_ci_u32_e32 v10, vcc_lo, v12, v30, vcc_lo
	s_wait_alu 0xfffd
	v_add_co_ci_u32_e32 v12, vcc_lo, 0, v32, vcc_lo
	s_delay_alu instid0(VALU_DEP_2) | instskip(SKIP_1) | instid1(VALU_DEP_2)
	v_add_co_u32 v10, vcc_lo, v10, v31
	s_wait_alu 0xfffd
	v_add_co_ci_u32_e64 v12, null, 0, v12, vcc_lo
	s_delay_alu instid0(VALU_DEP_2) | instskip(SKIP_1) | instid1(VALU_DEP_3)
	v_mul_lo_u32 v14, s51, v10
	v_mad_co_u64_u32 v[22:23], null, s50, v10, 0
	v_mul_lo_u32 v16, s50, v12
	v_add_co_u32 v18, s2, v10, 2
	s_wait_alu 0xf1ff
	v_add_co_ci_u32_e64 v20, null, 0, v12, s2
	s_delay_alu instid0(VALU_DEP_4) | instskip(NEXT) | instid1(VALU_DEP_4)
	v_sub_co_u32 v5, vcc_lo, v5, v22
	v_add3_u32 v14, v23, v16, v14
	s_delay_alu instid0(VALU_DEP_2) | instskip(NEXT) | instid1(VALU_DEP_2)
	v_sub_co_u32 v22, s2, v5, s50
	v_sub_nc_u32_e32 v16, v8, v14
	s_wait_alu 0xfffd
	v_sub_co_ci_u32_e64 v8, null, v8, v14, vcc_lo
	s_delay_alu instid0(VALU_DEP_2) | instskip(SKIP_2) | instid1(VALU_DEP_2)
	v_subrev_co_ci_u32_e64 v16, null, s51, v16, vcc_lo
	v_cmp_le_u32_e32 vcc_lo, s50, v22
	s_wait_alu 0xf1ff
	v_subrev_co_ci_u32_e64 v16, null, 0, v16, s2
	s_wait_alu 0xfffd
	v_cndmask_b32_e64 v14, 0, -1, vcc_lo
	s_delay_alu instid0(VALU_DEP_2)
	v_cmp_le_u32_e32 vcc_lo, s51, v16
	s_wait_alu 0xfffd
	v_cndmask_b32_e64 v22, 0, -1, vcc_lo
	v_cmp_le_u32_e32 vcc_lo, s50, v5
	s_wait_alu 0xfffd
	v_cndmask_b32_e64 v5, 0, -1, vcc_lo
	;; [unrolled: 3-line block ×3, first 2 shown]
	v_cmp_eq_u32_e32 vcc_lo, s51, v16
	s_wait_alu 0xfffd
	v_cndmask_b32_e32 v14, v22, v14, vcc_lo
	v_add_co_u32 v16, vcc_lo, v10, 1
	s_wait_alu 0xfffd
	v_add_co_ci_u32_e64 v22, null, 0, v12, vcc_lo
	v_cmp_eq_u32_e32 vcc_lo, s51, v8
	s_wait_alu 0xfffd
	v_cndmask_b32_e32 v5, v23, v5, vcc_lo
	v_cmp_ne_u32_e32 vcc_lo, 0, v14
	s_delay_alu instid0(VALU_DEP_2) | instskip(SKIP_3) | instid1(VALU_DEP_1)
	v_cmp_ne_u32_e64 s2, 0, v5
	s_wait_alu 0xfffd
	v_dual_cndmask_b32 v8, v22, v20 :: v_dual_cndmask_b32 v5, v16, v18
	s_wait_alu 0xf1ff
	v_cndmask_b32_e64 v8, v12, v8, s2
	s_delay_alu instid0(VALU_DEP_2) | instskip(NEXT) | instid1(VALU_DEP_2)
	v_cndmask_b32_e64 v5, v10, v5, s2
	v_xor_b32_e32 v8, v8, v3
	s_delay_alu instid0(VALU_DEP_2) | instskip(NEXT) | instid1(VALU_DEP_1)
	v_xor_b32_e32 v5, v5, v3
	v_sub_co_u32 v23, vcc_lo, v5, v3
	s_wait_alu 0xfffd
	s_delay_alu instid0(VALU_DEP_3)
	v_sub_co_ci_u32_e64 v24, null, v8, v3, vcc_lo
.LBB12_52:                              ;   in Loop: Header=BB12_22 Depth=2
	s_wait_alu 0xfffe
	s_and_not1_saveexec_b32 s2, s41
	s_cbranch_execz .LBB12_54
; %bb.53:                               ;   in Loop: Header=BB12_22 Depth=2
	v_cvt_f32_u32_e32 v3, s44
	s_sub_co_i32 s18, 0, s44
	v_mov_b32_e32 v24, v2
	s_delay_alu instid0(VALU_DEP_2) | instskip(NEXT) | instid1(TRANS32_DEP_1)
	v_rcp_iflag_f32_e32 v3, v3
	v_mul_f32_e32 v3, 0x4f7ffffe, v3
	s_delay_alu instid0(VALU_DEP_1) | instskip(SKIP_1) | instid1(VALU_DEP_1)
	v_cvt_u32_f32_e32 v3, v3
	s_wait_alu 0xfffe
	v_mul_lo_u32 v5, s18, v3
	s_delay_alu instid0(VALU_DEP_1) | instskip(NEXT) | instid1(VALU_DEP_1)
	v_mul_hi_u32 v5, v3, v5
	v_add_nc_u32_e32 v3, v3, v5
	s_delay_alu instid0(VALU_DEP_1) | instskip(NEXT) | instid1(VALU_DEP_1)
	v_mul_hi_u32 v3, v21, v3
	v_mul_lo_u32 v5, v3, s44
	s_delay_alu instid0(VALU_DEP_1) | instskip(NEXT) | instid1(VALU_DEP_1)
	v_sub_nc_u32_e32 v5, v21, v5
	v_subrev_nc_u32_e32 v10, s44, v5
	v_cmp_le_u32_e32 vcc_lo, s44, v5
	s_wait_alu 0xfffd
	s_delay_alu instid0(VALU_DEP_2) | instskip(NEXT) | instid1(VALU_DEP_1)
	v_dual_cndmask_b32 v5, v5, v10 :: v_dual_add_nc_u32 v8, 1, v3
	v_cndmask_b32_e32 v3, v3, v8, vcc_lo
	s_delay_alu instid0(VALU_DEP_2) | instskip(NEXT) | instid1(VALU_DEP_2)
	v_cmp_le_u32_e32 vcc_lo, s44, v5
	v_add_nc_u32_e32 v8, 1, v3
	s_wait_alu 0xfffd
	s_delay_alu instid0(VALU_DEP_1)
	v_cndmask_b32_e32 v23, v3, v8, vcc_lo
.LBB12_54:                              ;   in Loop: Header=BB12_22 Depth=2
	s_wait_alu 0xfffe
	s_or_b32 exec_lo, exec_lo, s2
	v_mul_lo_u32 v3, v9, s28
	v_mul_lo_u32 v5, v11, s30
	;; [unrolled: 1-line block ×5, first 2 shown]
	s_add_nc_u64 s[40:41], s[0:1], s[46:47]
	v_mul_lo_u32 v12, v17, s38
	s_load_b32 s2, s[40:41], 0x6c
	v_sub_nc_u32_e32 v3, v7, v3
	v_sub_nc_u32_e32 v5, v9, v5
	;; [unrolled: 1-line block ×4, first 2 shown]
	v_mul_lo_u32 v9, v21, s42
	v_mul_lo_u32 v3, s25, v3
	v_mul_lo_u32 v5, s29, v5
	v_mul_lo_u32 v10, v23, s44
	v_sub_nc_u32_e32 v11, v15, v12
	v_sub_nc_u32_e32 v12, v17, v14
	v_mul_lo_u32 v7, s31, v7
	v_mul_lo_u32 v8, s35, v8
	s_add_co_i32 s26, s26, -8
	v_mul_lo_u32 v11, s37, v11
	v_add3_u32 v3, v3, v4, v5
	v_sub_nc_u32_e32 v4, v19, v9
	v_sub_nc_u32_e32 v5, v21, v10
	v_mul_lo_u32 v9, s39, v12
	s_wait_alu 0xfffe
	s_cmp_eq_u32 s26, -8
	v_add3_u32 v3, v7, v3, v8
	v_mul_lo_u32 v4, s27, v4
	s_wait_kmcnt 0x0
	v_mul_lo_u32 v5, s2, v5
	s_delay_alu instid0(VALU_DEP_3) | instskip(NEXT) | instid1(VALU_DEP_1)
	v_add3_u32 v3, v11, v3, v9
	v_add3_u32 v4, v4, v3, v5
	s_cbranch_scc1 .LBB12_56
; %bb.55:                               ;   in Loop: Header=BB12_22 Depth=2
	v_dual_mov_b32 v7, v23 :: v_dual_mov_b32 v8, v24
	s_branch .LBB12_22
.LBB12_56:                              ;   in Loop: Header=BB12_3 Depth=1
	s_load_b32 s2, s[12:13], 0x4
	s_wait_kmcnt 0x0
	v_cmp_gt_i32_e32 vcc_lo, s2, v28
	s_and_b32 exec_lo, exec_lo, vcc_lo
	s_cbranch_execz .LBB12_2
; %bb.57:                               ;   in Loop: Header=BB12_3 Depth=1
	v_ashrrev_i32_e32 v7, 31, v6
	s_mov_b32 s18, exec_lo
	s_delay_alu instid0(VALU_DEP_1)
	v_cmpx_lt_i64_e64 s[4:5], v[6:7]
	s_cbranch_execz .LBB12_59
; %bb.58:                               ;   in Loop: Header=BB12_3 Depth=1
	v_ashrrev_i32_e32 v5, 31, v4
	v_mov_b32_e32 v3, v2
	s_delay_alu instid0(VALU_DEP_2) | instskip(NEXT) | instid1(VALU_DEP_1)
	v_lshlrev_b64_e32 v[5:6], 3, v[4:5]
	v_add_co_u32 v5, vcc_lo, s16, v5
	s_wait_alu 0xfffd
	s_delay_alu instid0(VALU_DEP_2)
	v_add_co_ci_u32_e64 v6, null, s17, v6, vcc_lo
	global_store_b64 v[5:6], v[2:3], off
.LBB12_59:                              ;   in Loop: Header=BB12_3 Depth=1
	s_wait_alu 0xfffe
	s_or_b32 exec_lo, exec_lo, s18
	v_add_nc_u32_e32 v3, 1, v28
	s_delay_alu instid0(VALU_DEP_1)
	v_cmp_gt_i32_e32 vcc_lo, s2, v3
	s_and_b32 exec_lo, exec_lo, vcc_lo
	s_cbranch_execz .LBB12_2
; %bb.60:                               ;   in Loop: Header=BB12_3 Depth=1
	v_sub_nc_u32_e32 v5, v3, v27
	s_delay_alu instid0(VALU_DEP_1) | instskip(NEXT) | instid1(VALU_DEP_1)
	v_ashrrev_i32_e32 v6, 31, v5
	v_cmp_lt_i64_e32 vcc_lo, s[4:5], v[5:6]
	s_and_b32 exec_lo, exec_lo, vcc_lo
	s_cbranch_execz .LBB12_2
; %bb.61:                               ;   in Loop: Header=BB12_3 Depth=1
	v_add_nc_u32_e32 v3, s3, v4
	s_delay_alu instid0(VALU_DEP_1) | instskip(NEXT) | instid1(VALU_DEP_1)
	v_ashrrev_i32_e32 v4, 31, v3
	v_lshlrev_b64_e32 v[3:4], 3, v[3:4]
	s_delay_alu instid0(VALU_DEP_1) | instskip(SKIP_1) | instid1(VALU_DEP_2)
	v_add_co_u32 v5, vcc_lo, s16, v3
	s_wait_alu 0xfffd
	v_add_co_ci_u32_e64 v6, null, s17, v4, vcc_lo
	v_mov_b32_e32 v3, v2
	global_store_b64 v[5:6], v[2:3], off
	s_branch .LBB12_2
.LBB12_62:
	s_endpgm
	.section	.rodata,"a",@progbits
	.p2align	6, 0x0
	.amdhsa_kernel _ZN2at6native16triu_tril_kernelIliLb0ELi2ELb1EEEvNS_4cuda6detail10TensorInfoIT_T0_EENS4_IKS5_S6_EEllS6_
		.amdhsa_group_segment_fixed_size 0
		.amdhsa_private_segment_fixed_size 0
		.amdhsa_kernarg_size 712
		.amdhsa_user_sgpr_count 2
		.amdhsa_user_sgpr_dispatch_ptr 0
		.amdhsa_user_sgpr_queue_ptr 0
		.amdhsa_user_sgpr_kernarg_segment_ptr 1
		.amdhsa_user_sgpr_dispatch_id 0
		.amdhsa_user_sgpr_private_segment_size 0
		.amdhsa_wavefront_size32 1
		.amdhsa_uses_dynamic_stack 0
		.amdhsa_enable_private_segment 0
		.amdhsa_system_sgpr_workgroup_id_x 1
		.amdhsa_system_sgpr_workgroup_id_y 0
		.amdhsa_system_sgpr_workgroup_id_z 0
		.amdhsa_system_sgpr_workgroup_info 0
		.amdhsa_system_vgpr_workitem_id 0
		.amdhsa_next_free_vgpr 33
		.amdhsa_next_free_sgpr 66
		.amdhsa_reserve_vcc 1
		.amdhsa_float_round_mode_32 0
		.amdhsa_float_round_mode_16_64 0
		.amdhsa_float_denorm_mode_32 3
		.amdhsa_float_denorm_mode_16_64 3
		.amdhsa_fp16_overflow 0
		.amdhsa_workgroup_processor_mode 1
		.amdhsa_memory_ordered 1
		.amdhsa_forward_progress 1
		.amdhsa_inst_pref_size 96
		.amdhsa_round_robin_scheduling 0
		.amdhsa_exception_fp_ieee_invalid_op 0
		.amdhsa_exception_fp_denorm_src 0
		.amdhsa_exception_fp_ieee_div_zero 0
		.amdhsa_exception_fp_ieee_overflow 0
		.amdhsa_exception_fp_ieee_underflow 0
		.amdhsa_exception_fp_ieee_inexact 0
		.amdhsa_exception_int_div_zero 0
	.end_amdhsa_kernel
	.section	.text._ZN2at6native16triu_tril_kernelIliLb0ELi2ELb1EEEvNS_4cuda6detail10TensorInfoIT_T0_EENS4_IKS5_S6_EEllS6_,"axG",@progbits,_ZN2at6native16triu_tril_kernelIliLb0ELi2ELb1EEEvNS_4cuda6detail10TensorInfoIT_T0_EENS4_IKS5_S6_EEllS6_,comdat
.Lfunc_end12:
	.size	_ZN2at6native16triu_tril_kernelIliLb0ELi2ELb1EEEvNS_4cuda6detail10TensorInfoIT_T0_EENS4_IKS5_S6_EEllS6_, .Lfunc_end12-_ZN2at6native16triu_tril_kernelIliLb0ELi2ELb1EEEvNS_4cuda6detail10TensorInfoIT_T0_EENS4_IKS5_S6_EEllS6_
                                        ; -- End function
	.set _ZN2at6native16triu_tril_kernelIliLb0ELi2ELb1EEEvNS_4cuda6detail10TensorInfoIT_T0_EENS4_IKS5_S6_EEllS6_.num_vgpr, 33
	.set _ZN2at6native16triu_tril_kernelIliLb0ELi2ELb1EEEvNS_4cuda6detail10TensorInfoIT_T0_EENS4_IKS5_S6_EEllS6_.num_agpr, 0
	.set _ZN2at6native16triu_tril_kernelIliLb0ELi2ELb1EEEvNS_4cuda6detail10TensorInfoIT_T0_EENS4_IKS5_S6_EEllS6_.numbered_sgpr, 66
	.set _ZN2at6native16triu_tril_kernelIliLb0ELi2ELb1EEEvNS_4cuda6detail10TensorInfoIT_T0_EENS4_IKS5_S6_EEllS6_.num_named_barrier, 0
	.set _ZN2at6native16triu_tril_kernelIliLb0ELi2ELb1EEEvNS_4cuda6detail10TensorInfoIT_T0_EENS4_IKS5_S6_EEllS6_.private_seg_size, 0
	.set _ZN2at6native16triu_tril_kernelIliLb0ELi2ELb1EEEvNS_4cuda6detail10TensorInfoIT_T0_EENS4_IKS5_S6_EEllS6_.uses_vcc, 1
	.set _ZN2at6native16triu_tril_kernelIliLb0ELi2ELb1EEEvNS_4cuda6detail10TensorInfoIT_T0_EENS4_IKS5_S6_EEllS6_.uses_flat_scratch, 0
	.set _ZN2at6native16triu_tril_kernelIliLb0ELi2ELb1EEEvNS_4cuda6detail10TensorInfoIT_T0_EENS4_IKS5_S6_EEllS6_.has_dyn_sized_stack, 0
	.set _ZN2at6native16triu_tril_kernelIliLb0ELi2ELb1EEEvNS_4cuda6detail10TensorInfoIT_T0_EENS4_IKS5_S6_EEllS6_.has_recursion, 0
	.set _ZN2at6native16triu_tril_kernelIliLb0ELi2ELb1EEEvNS_4cuda6detail10TensorInfoIT_T0_EENS4_IKS5_S6_EEllS6_.has_indirect_call, 0
	.section	.AMDGPU.csdata,"",@progbits
; Kernel info:
; codeLenInByte = 12236
; TotalNumSgprs: 68
; NumVgprs: 33
; ScratchSize: 0
; MemoryBound: 0
; FloatMode: 240
; IeeeMode: 1
; LDSByteSize: 0 bytes/workgroup (compile time only)
; SGPRBlocks: 0
; VGPRBlocks: 4
; NumSGPRsForWavesPerEU: 68
; NumVGPRsForWavesPerEU: 33
; Occupancy: 16
; WaveLimiterHint : 0
; COMPUTE_PGM_RSRC2:SCRATCH_EN: 0
; COMPUTE_PGM_RSRC2:USER_SGPR: 2
; COMPUTE_PGM_RSRC2:TRAP_HANDLER: 0
; COMPUTE_PGM_RSRC2:TGID_X_EN: 1
; COMPUTE_PGM_RSRC2:TGID_Y_EN: 0
; COMPUTE_PGM_RSRC2:TGID_Z_EN: 0
; COMPUTE_PGM_RSRC2:TIDIG_COMP_CNT: 0
	.section	.text._ZN2at6native16triu_tril_kernelIliLb0ELi2ELb0EEEvNS_4cuda6detail10TensorInfoIT_T0_EENS4_IKS5_S6_EEllS6_,"axG",@progbits,_ZN2at6native16triu_tril_kernelIliLb0ELi2ELb0EEEvNS_4cuda6detail10TensorInfoIT_T0_EENS4_IKS5_S6_EEllS6_,comdat
	.protected	_ZN2at6native16triu_tril_kernelIliLb0ELi2ELb0EEEvNS_4cuda6detail10TensorInfoIT_T0_EENS4_IKS5_S6_EEllS6_ ; -- Begin function _ZN2at6native16triu_tril_kernelIliLb0ELi2ELb0EEEvNS_4cuda6detail10TensorInfoIT_T0_EENS4_IKS5_S6_EEllS6_
	.globl	_ZN2at6native16triu_tril_kernelIliLb0ELi2ELb0EEEvNS_4cuda6detail10TensorInfoIT_T0_EENS4_IKS5_S6_EEllS6_
	.p2align	8
	.type	_ZN2at6native16triu_tril_kernelIliLb0ELi2ELb0EEEvNS_4cuda6detail10TensorInfoIT_T0_EENS4_IKS5_S6_EEllS6_,@function
_ZN2at6native16triu_tril_kernelIliLb0ELi2ELb0EEEvNS_4cuda6detail10TensorInfoIT_T0_EENS4_IKS5_S6_EEllS6_: ; @_ZN2at6native16triu_tril_kernelIliLb0ELi2ELb0EEEvNS_4cuda6detail10TensorInfoIT_T0_EENS4_IKS5_S6_EEllS6_
; %bb.0:
	s_clause 0x1
	s_load_b32 s2, s[0:1], 0x1d4
	s_load_b128 s[4:7], s[0:1], 0x1b0
	v_mov_b32_e32 v2, 0
	s_delay_alu instid0(VALU_DEP_1) | instskip(SKIP_3) | instid1(VALU_DEP_1)
	v_mov_b32_e32 v1, v2
	s_wait_kmcnt 0x0
	s_and_b32 s21, s2, 0xffff
	s_mov_b32 s2, exec_lo
	v_mad_co_u64_u32 v[0:1], null, s21, ttmp9, v[0:1]
	s_delay_alu instid0(VALU_DEP_1) | instskip(NEXT) | instid1(VALU_DEP_1)
	v_lshlrev_b64_e32 v[0:1], 1, v[0:1]
	v_cmpx_gt_i64_e64 s[6:7], v[0:1]
	s_cbranch_execz .LBB13_47
; %bb.1:
	s_clause 0x2
	s_load_b32 s24, s[0:1], 0x1a8
	s_load_b32 s8, s[0:1], 0x1c0
	s_load_b64 s[10:11], s[0:1], 0xd8
	s_add_nc_u64 s[12:13], s[0:1], 0xd8
	s_add_nc_u64 s[14:15], s[0:1], 0x1c8
	s_load_b32 s26, s[14:15], 0x0
	s_load_b64 s[14:15], s[0:1], 0x0
	s_wait_kmcnt 0x0
	s_ashr_i32 s25, s24, 31
	v_cvt_f32_u32_e32 v3, s8
	s_lshl_b64 s[16:17], s[24:25], 2
	s_and_b32 s48, s24, 3
	s_add_nc_u64 s[18:19], s[12:13], s[16:17]
	s_add_nc_u64 s[22:23], s[0:1], s[16:17]
	s_load_b64 s[2:3], s[18:19], 0x0
	v_rcp_iflag_f32_e32 v3, v3
	s_clause 0x1
	s_load_b64 s[16:17], s[18:19], 0x64
	s_load_b64 s[18:19], s[22:23], 0x64
	s_mul_i32 s26, s26, s21
	s_ashr_i32 s9, s8, 31
	s_add_co_i32 s33, s24, -3
	s_lshl_b32 s50, s26, 1
	v_cmp_gt_i64_e64 s49, s[24:25], 2
	s_mov_b32 s23, 0
	v_mul_f32_e32 v3, 0x4f7ffffe, v3
	s_delay_alu instid0(VALU_DEP_1)
	v_cvt_u32_f32_e32 v18, v3
	s_wait_kmcnt 0x0
	s_mov_b32 s20, s2
	s_ashr_i32 s21, s2, 31
	s_wait_alu 0xfffe
	v_cvt_f32_u32_e32 v4, s20
	s_cmp_lg_u32 s48, 2
	s_mov_b32 s24, s17
	s_cselect_b32 s51, -1, 0
	s_cmp_gt_u32 s33, 2
	v_rcp_iflag_f32_e32 v4, v4
	s_cselect_b32 s52, -1, 0
	s_ashr_i32 s25, s17, 31
	s_ashr_i32 s27, s19, 31
	s_mov_b32 s26, s19
	s_ashr_i32 s28, s9, 31
	s_mov_b32 s17, 0
	s_delay_alu instid0(TRANS32_DEP_1) | instskip(NEXT) | instid1(VALU_DEP_1)
	v_mul_f32_e32 v3, 0x4f7ffffe, v4
	v_cvt_u32_f32_e32 v19, v3
	s_branch .LBB13_3
.LBB13_2:                               ;   in Loop: Header=BB13_3 Depth=1
	s_wait_alu 0xfffe
	s_or_b32 exec_lo, exec_lo, s2
	v_add_co_u32 v0, vcc_lo, v0, s50
	s_wait_alu 0xfffd
	v_add_co_ci_u32_e64 v1, null, 0, v1, vcc_lo
	s_delay_alu instid0(VALU_DEP_1)
	v_cmp_le_i64_e32 vcc_lo, s[6:7], v[0:1]
	s_or_b32 s17, vcc_lo, s17
	s_wait_alu 0xfffe
	s_and_not1_b32 exec_lo, exec_lo, s17
	s_cbranch_execz .LBB13_47
.LBB13_3:                               ; =>This Loop Header: Depth=1
                                        ;     Child Loop BB13_15 Depth 2
                                        ;     Child Loop BB13_20 Depth 2
	v_or_b32_e32 v3, s9, v1
                                        ; implicit-def: $vgpr4_vgpr5
	s_mov_b32 s2, exec_lo
	s_delay_alu instid0(VALU_DEP_1)
	v_cmpx_ne_u64_e32 0, v[2:3]
	s_wait_alu 0xfffe
	s_xor_b32 s19, exec_lo, s2
	s_cbranch_execz .LBB13_5
; %bb.4:                                ;   in Loop: Header=BB13_3 Depth=1
	s_mov_b32 s29, s28
	v_ashrrev_i32_e32 v9, 31, v1
	s_wait_alu 0xfffe
	s_add_nc_u64 s[30:31], s[8:9], s[28:29]
	s_wait_alu 0xfffe
	s_xor_b64 s[30:31], s[30:31], s[28:29]
	v_add_co_u32 v3, vcc_lo, v0, v9
	s_wait_alu 0xfffe
	s_cvt_f32_u32 s2, s30
	s_cvt_f32_u32 s22, s31
	s_sub_nc_u64 s[36:37], 0, s[30:31]
	s_wait_alu 0xfffd
	v_add_co_ci_u32_e64 v4, null, v1, v9, vcc_lo
	s_wait_alu 0xfffe
	s_fmamk_f32 s2, s22, 0x4f800000, s2
	v_xor_b32_e32 v10, v3, v9
	s_delay_alu instid0(VALU_DEP_2) | instskip(SKIP_2) | instid1(TRANS32_DEP_1)
	v_xor_b32_e32 v11, v4, v9
	s_wait_alu 0xfffe
	v_s_rcp_f32 s2, s2
	s_mul_f32 s2, s2, 0x5f7ffffc
	s_wait_alu 0xfffe
	s_delay_alu instid0(SALU_CYCLE_2) | instskip(SKIP_1) | instid1(SALU_CYCLE_2)
	s_mul_f32 s22, s2, 0x2f800000
	s_wait_alu 0xfffe
	s_trunc_f32 s22, s22
	s_wait_alu 0xfffe
	s_delay_alu instid0(SALU_CYCLE_2) | instskip(SKIP_2) | instid1(SALU_CYCLE_1)
	s_fmamk_f32 s2, s22, 0xcf800000, s2
	s_cvt_u32_f32 s35, s22
	s_wait_alu 0xfffe
	s_cvt_u32_f32 s34, s2
	s_wait_alu 0xfffe
	s_delay_alu instid0(SALU_CYCLE_2)
	s_mul_u64 s[38:39], s[36:37], s[34:35]
	s_wait_alu 0xfffe
	s_mul_hi_u32 s41, s34, s39
	s_mul_i32 s40, s34, s39
	s_mul_hi_u32 s22, s34, s38
	s_mul_i32 s29, s35, s38
	s_wait_alu 0xfffe
	s_add_nc_u64 s[40:41], s[22:23], s[40:41]
	s_mul_hi_u32 s2, s35, s38
	s_mul_hi_u32 s42, s35, s39
	s_wait_alu 0xfffe
	s_add_co_u32 s22, s40, s29
	s_add_co_ci_u32 s22, s41, s2
	s_mul_i32 s38, s35, s39
	s_add_co_ci_u32 s39, s42, 0
	s_wait_alu 0xfffe
	s_add_nc_u64 s[38:39], s[22:23], s[38:39]
	s_wait_alu 0xfffe
	s_add_co_u32 s34, s34, s38
	s_cselect_b32 s2, -1, 0
	s_wait_alu 0xfffe
	s_cmp_lg_u32 s2, 0
	s_add_co_ci_u32 s35, s35, s39
	s_wait_alu 0xfffe
	s_mul_u64 s[36:37], s[36:37], s[34:35]
	s_wait_alu 0xfffe
	s_mul_hi_u32 s39, s34, s37
	s_mul_i32 s38, s34, s37
	s_mul_hi_u32 s22, s34, s36
	s_mul_i32 s29, s35, s36
	s_wait_alu 0xfffe
	s_add_nc_u64 s[38:39], s[22:23], s[38:39]
	s_mul_hi_u32 s2, s35, s36
	s_mul_hi_u32 s40, s35, s37
	s_wait_alu 0xfffe
	s_add_co_u32 s22, s38, s29
	s_add_co_ci_u32 s22, s39, s2
	s_mul_i32 s36, s35, s37
	s_add_co_ci_u32 s37, s40, 0
	s_wait_alu 0xfffe
	s_add_nc_u64 s[36:37], s[22:23], s[36:37]
	s_wait_alu 0xfffe
	s_add_co_u32 s2, s34, s36
	s_cselect_b32 s22, -1, 0
	s_wait_alu 0xfffe
	v_mul_hi_u32 v12, v10, s2
	s_cmp_lg_u32 s22, 0
	v_mad_co_u64_u32 v[5:6], null, v11, s2, 0
	s_add_co_ci_u32 s22, s35, s37
	s_wait_alu 0xfffe
	v_mad_co_u64_u32 v[3:4], null, v10, s22, 0
	v_mad_co_u64_u32 v[7:8], null, v11, s22, 0
	s_delay_alu instid0(VALU_DEP_2) | instskip(SKIP_1) | instid1(VALU_DEP_3)
	v_add_co_u32 v3, vcc_lo, v12, v3
	s_wait_alu 0xfffd
	v_add_co_ci_u32_e64 v4, null, 0, v4, vcc_lo
	s_delay_alu instid0(VALU_DEP_2) | instskip(SKIP_1) | instid1(VALU_DEP_2)
	v_add_co_u32 v3, vcc_lo, v3, v5
	s_wait_alu 0xfffd
	v_add_co_ci_u32_e32 v3, vcc_lo, v4, v6, vcc_lo
	s_wait_alu 0xfffd
	v_add_co_ci_u32_e32 v4, vcc_lo, 0, v8, vcc_lo
	s_delay_alu instid0(VALU_DEP_2) | instskip(SKIP_1) | instid1(VALU_DEP_2)
	v_add_co_u32 v5, vcc_lo, v3, v7
	s_wait_alu 0xfffd
	v_add_co_ci_u32_e64 v6, null, 0, v4, vcc_lo
	s_delay_alu instid0(VALU_DEP_2) | instskip(SKIP_1) | instid1(VALU_DEP_3)
	v_mul_lo_u32 v7, s31, v5
	v_mad_co_u64_u32 v[3:4], null, s30, v5, 0
	v_mul_lo_u32 v8, s30, v6
	s_delay_alu instid0(VALU_DEP_2) | instskip(NEXT) | instid1(VALU_DEP_2)
	v_sub_co_u32 v3, vcc_lo, v10, v3
	v_add3_u32 v4, v4, v8, v7
	v_add_co_u32 v8, s2, v5, 2
	s_wait_alu 0xf1ff
	v_add_co_ci_u32_e64 v10, null, 0, v6, s2
	s_delay_alu instid0(VALU_DEP_3) | instskip(SKIP_3) | instid1(VALU_DEP_3)
	v_sub_nc_u32_e32 v7, v11, v4
	v_sub_co_u32 v12, s2, v3, s30
	s_wait_alu 0xfffd
	v_sub_co_ci_u32_e64 v4, null, v11, v4, vcc_lo
	v_subrev_co_ci_u32_e64 v7, null, s31, v7, vcc_lo
	s_delay_alu instid0(VALU_DEP_3) | instskip(SKIP_1) | instid1(VALU_DEP_2)
	v_cmp_le_u32_e32 vcc_lo, s30, v12
	s_wait_alu 0xf1ff
	v_subrev_co_ci_u32_e64 v7, null, 0, v7, s2
	s_wait_alu 0xfffd
	v_cndmask_b32_e64 v11, 0, -1, vcc_lo
	s_delay_alu instid0(VALU_DEP_2)
	v_cmp_le_u32_e32 vcc_lo, s31, v7
	s_wait_alu 0xfffd
	v_cndmask_b32_e64 v12, 0, -1, vcc_lo
	v_cmp_le_u32_e32 vcc_lo, s30, v3
	s_wait_alu 0xfffd
	v_cndmask_b32_e64 v3, 0, -1, vcc_lo
	;; [unrolled: 3-line block ×3, first 2 shown]
	v_cmp_eq_u32_e32 vcc_lo, s31, v7
	s_wait_alu 0xfffd
	v_cndmask_b32_e32 v7, v12, v11, vcc_lo
	v_add_co_u32 v11, vcc_lo, v5, 1
	s_wait_alu 0xfffd
	v_add_co_ci_u32_e64 v12, null, 0, v6, vcc_lo
	v_cmp_eq_u32_e32 vcc_lo, s31, v4
	s_wait_alu 0xfffd
	v_cndmask_b32_e32 v3, v13, v3, vcc_lo
	v_cmp_ne_u32_e32 vcc_lo, 0, v7
	v_xor_b32_e32 v7, s28, v9
	s_wait_alu 0xfffd
	v_cndmask_b32_e32 v4, v12, v10, vcc_lo
	v_cmp_ne_u32_e64 s2, 0, v3
	v_cndmask_b32_e32 v3, v11, v8, vcc_lo
	s_wait_alu 0xf1ff
	s_delay_alu instid0(VALU_DEP_2) | instskip(NEXT) | instid1(VALU_DEP_2)
	v_cndmask_b32_e64 v4, v6, v4, s2
	v_cndmask_b32_e64 v3, v5, v3, s2
	s_delay_alu instid0(VALU_DEP_2) | instskip(NEXT) | instid1(VALU_DEP_2)
	v_xor_b32_e32 v5, v4, v7
	v_xor_b32_e32 v3, v3, v7
	s_delay_alu instid0(VALU_DEP_1) | instskip(SKIP_1) | instid1(VALU_DEP_3)
	v_sub_co_u32 v4, vcc_lo, v3, v7
	s_wait_alu 0xfffd
	v_sub_co_ci_u32_e64 v5, null, v5, v7, vcc_lo
.LBB13_5:                               ;   in Loop: Header=BB13_3 Depth=1
	s_wait_alu 0xfffe
	s_and_not1_saveexec_b32 s2, s19
	s_cbranch_execz .LBB13_7
; %bb.6:                                ;   in Loop: Header=BB13_3 Depth=1
	s_sub_co_i32 s19, 0, s8
	s_wait_alu 0xfffe
	v_mul_lo_u32 v3, s19, v18
	s_delay_alu instid0(VALU_DEP_1) | instskip(NEXT) | instid1(VALU_DEP_1)
	v_mul_hi_u32 v3, v18, v3
	v_add_nc_u32_e32 v3, v18, v3
	s_delay_alu instid0(VALU_DEP_1) | instskip(NEXT) | instid1(VALU_DEP_1)
	v_mul_hi_u32 v3, v0, v3
	v_mul_lo_u32 v4, v3, s8
	v_add_nc_u32_e32 v5, 1, v3
	s_delay_alu instid0(VALU_DEP_2) | instskip(NEXT) | instid1(VALU_DEP_1)
	v_sub_nc_u32_e32 v4, v0, v4
	v_subrev_nc_u32_e32 v6, s8, v4
	v_cmp_le_u32_e32 vcc_lo, s8, v4
	s_wait_alu 0xfffd
	s_delay_alu instid0(VALU_DEP_2) | instskip(NEXT) | instid1(VALU_DEP_1)
	v_dual_cndmask_b32 v4, v4, v6 :: v_dual_cndmask_b32 v3, v3, v5
	v_cmp_le_u32_e32 vcc_lo, s8, v4
	s_delay_alu instid0(VALU_DEP_2) | instskip(SKIP_1) | instid1(VALU_DEP_1)
	v_add_nc_u32_e32 v5, 1, v3
	s_wait_alu 0xfffd
	v_dual_cndmask_b32 v4, v3, v5 :: v_dual_mov_b32 v5, v2
.LBB13_7:                               ;   in Loop: Header=BB13_3 Depth=1
	s_wait_alu 0xfffe
	s_or_b32 exec_lo, exec_lo, s2
	s_delay_alu instid0(VALU_DEP_1) | instskip(SKIP_1) | instid1(VALU_DEP_1)
	v_or_b32_e32 v3, s21, v5
                                        ; implicit-def: $vgpr8_vgpr9
	s_mov_b32 s2, exec_lo
	v_cmpx_ne_u64_e32 0, v[2:3]
	s_wait_alu 0xfffe
	s_xor_b32 s19, exec_lo, s2
	s_cbranch_execz .LBB13_9
; %bb.8:                                ;   in Loop: Header=BB13_3 Depth=1
	s_ashr_i32 s30, s21, 31
	v_ashrrev_i32_e32 v3, 31, v5
	s_wait_alu 0xfffe
	s_mov_b32 s31, s30
	s_wait_alu 0xfffe
	s_add_nc_u64 s[34:35], s[20:21], s[30:31]
	v_add_co_u32 v6, vcc_lo, v4, v3
	s_wait_alu 0xfffe
	s_xor_b64 s[34:35], s[34:35], s[30:31]
	s_wait_alu 0xfffd
	v_add_co_ci_u32_e64 v5, null, v5, v3, vcc_lo
	s_wait_alu 0xfffe
	s_cvt_f32_u32 s2, s34
	s_cvt_f32_u32 s22, s35
	s_sub_nc_u64 s[38:39], 0, s[34:35]
	v_xor_b32_e32 v11, v6, v3
	v_xor_b32_e32 v12, v5, v3
	s_wait_alu 0xfffe
	s_fmamk_f32 s2, s22, 0x4f800000, s2
	v_xor_b32_e32 v3, s30, v3
	s_wait_alu 0xfffe
	s_delay_alu instid0(SALU_CYCLE_1) | instskip(NEXT) | instid1(TRANS32_DEP_1)
	v_s_rcp_f32 s2, s2
	s_mul_f32 s2, s2, 0x5f7ffffc
	s_wait_alu 0xfffe
	s_delay_alu instid0(SALU_CYCLE_2) | instskip(SKIP_1) | instid1(SALU_CYCLE_2)
	s_mul_f32 s22, s2, 0x2f800000
	s_wait_alu 0xfffe
	s_trunc_f32 s22, s22
	s_wait_alu 0xfffe
	s_delay_alu instid0(SALU_CYCLE_2) | instskip(SKIP_2) | instid1(SALU_CYCLE_1)
	s_fmamk_f32 s2, s22, 0xcf800000, s2
	s_cvt_u32_f32 s37, s22
	s_wait_alu 0xfffe
	s_cvt_u32_f32 s36, s2
	s_wait_alu 0xfffe
	s_delay_alu instid0(SALU_CYCLE_2)
	s_mul_u64 s[40:41], s[38:39], s[36:37]
	s_wait_alu 0xfffe
	s_mul_hi_u32 s43, s36, s41
	s_mul_i32 s42, s36, s41
	s_mul_hi_u32 s22, s36, s40
	s_mul_i32 s29, s37, s40
	s_wait_alu 0xfffe
	s_add_nc_u64 s[42:43], s[22:23], s[42:43]
	s_mul_hi_u32 s2, s37, s40
	s_mul_hi_u32 s31, s37, s41
	s_wait_alu 0xfffe
	s_add_co_u32 s22, s42, s29
	s_add_co_ci_u32 s22, s43, s2
	s_mul_i32 s40, s37, s41
	s_add_co_ci_u32 s41, s31, 0
	s_wait_alu 0xfffe
	s_add_nc_u64 s[40:41], s[22:23], s[40:41]
	s_wait_alu 0xfffe
	s_add_co_u32 s36, s36, s40
	s_cselect_b32 s2, -1, 0
	s_wait_alu 0xfffe
	s_cmp_lg_u32 s2, 0
	s_add_co_ci_u32 s37, s37, s41
	s_wait_alu 0xfffe
	s_mul_u64 s[38:39], s[38:39], s[36:37]
	s_wait_alu 0xfffe
	s_mul_hi_u32 s41, s36, s39
	s_mul_i32 s40, s36, s39
	s_mul_hi_u32 s22, s36, s38
	s_mul_i32 s29, s37, s38
	s_wait_alu 0xfffe
	s_add_nc_u64 s[40:41], s[22:23], s[40:41]
	s_mul_hi_u32 s2, s37, s38
	s_mul_hi_u32 s31, s37, s39
	s_wait_alu 0xfffe
	s_add_co_u32 s22, s40, s29
	s_add_co_ci_u32 s22, s41, s2
	s_mul_i32 s38, s37, s39
	s_add_co_ci_u32 s39, s31, 0
	s_wait_alu 0xfffe
	s_add_nc_u64 s[38:39], s[22:23], s[38:39]
	s_wait_alu 0xfffe
	s_add_co_u32 s2, s36, s38
	s_cselect_b32 s22, -1, 0
	s_wait_alu 0xfffe
	v_mul_hi_u32 v13, v11, s2
	s_cmp_lg_u32 s22, 0
	v_mad_co_u64_u32 v[7:8], null, v12, s2, 0
	s_add_co_ci_u32 s22, s37, s39
	s_wait_alu 0xfffe
	v_mad_co_u64_u32 v[5:6], null, v11, s22, 0
	v_mad_co_u64_u32 v[9:10], null, v12, s22, 0
	s_delay_alu instid0(VALU_DEP_2) | instskip(SKIP_1) | instid1(VALU_DEP_3)
	v_add_co_u32 v5, vcc_lo, v13, v5
	s_wait_alu 0xfffd
	v_add_co_ci_u32_e64 v6, null, 0, v6, vcc_lo
	s_delay_alu instid0(VALU_DEP_2) | instskip(SKIP_1) | instid1(VALU_DEP_2)
	v_add_co_u32 v5, vcc_lo, v5, v7
	s_wait_alu 0xfffd
	v_add_co_ci_u32_e32 v5, vcc_lo, v6, v8, vcc_lo
	s_wait_alu 0xfffd
	v_add_co_ci_u32_e32 v6, vcc_lo, 0, v10, vcc_lo
	s_delay_alu instid0(VALU_DEP_2) | instskip(SKIP_1) | instid1(VALU_DEP_2)
	v_add_co_u32 v7, vcc_lo, v5, v9
	s_wait_alu 0xfffd
	v_add_co_ci_u32_e64 v8, null, 0, v6, vcc_lo
	s_delay_alu instid0(VALU_DEP_2) | instskip(SKIP_1) | instid1(VALU_DEP_3)
	v_mul_lo_u32 v9, s35, v7
	v_mad_co_u64_u32 v[5:6], null, s34, v7, 0
	v_mul_lo_u32 v10, s34, v8
	s_delay_alu instid0(VALU_DEP_2) | instskip(NEXT) | instid1(VALU_DEP_2)
	v_sub_co_u32 v5, vcc_lo, v11, v5
	v_add3_u32 v6, v6, v10, v9
	v_add_co_u32 v10, s2, v7, 2
	s_wait_alu 0xf1ff
	v_add_co_ci_u32_e64 v11, null, 0, v8, s2
	s_delay_alu instid0(VALU_DEP_3) | instskip(SKIP_3) | instid1(VALU_DEP_3)
	v_sub_nc_u32_e32 v9, v12, v6
	v_sub_co_u32 v13, s2, v5, s34
	s_wait_alu 0xfffd
	v_sub_co_ci_u32_e64 v6, null, v12, v6, vcc_lo
	v_subrev_co_ci_u32_e64 v9, null, s35, v9, vcc_lo
	s_delay_alu instid0(VALU_DEP_3) | instskip(SKIP_1) | instid1(VALU_DEP_2)
	v_cmp_le_u32_e32 vcc_lo, s34, v13
	s_wait_alu 0xf1ff
	v_subrev_co_ci_u32_e64 v9, null, 0, v9, s2
	s_wait_alu 0xfffd
	v_cndmask_b32_e64 v12, 0, -1, vcc_lo
	s_delay_alu instid0(VALU_DEP_2)
	v_cmp_le_u32_e32 vcc_lo, s35, v9
	s_wait_alu 0xfffd
	v_cndmask_b32_e64 v13, 0, -1, vcc_lo
	v_cmp_le_u32_e32 vcc_lo, s34, v5
	s_wait_alu 0xfffd
	v_cndmask_b32_e64 v5, 0, -1, vcc_lo
	;; [unrolled: 3-line block ×3, first 2 shown]
	v_cmp_eq_u32_e32 vcc_lo, s35, v9
	s_wait_alu 0xfffd
	v_cndmask_b32_e32 v9, v13, v12, vcc_lo
	v_add_co_u32 v12, vcc_lo, v7, 1
	s_wait_alu 0xfffd
	v_add_co_ci_u32_e64 v13, null, 0, v8, vcc_lo
	v_cmp_eq_u32_e32 vcc_lo, s35, v6
	s_wait_alu 0xfffd
	v_cndmask_b32_e32 v5, v14, v5, vcc_lo
	v_cmp_ne_u32_e32 vcc_lo, 0, v9
	s_wait_alu 0xfffd
	v_cndmask_b32_e32 v6, v13, v11, vcc_lo
	s_delay_alu instid0(VALU_DEP_3) | instskip(SKIP_2) | instid1(VALU_DEP_2)
	v_cmp_ne_u32_e64 s2, 0, v5
	v_cndmask_b32_e32 v5, v12, v10, vcc_lo
	s_wait_alu 0xf1ff
	v_cndmask_b32_e64 v6, v8, v6, s2
	s_delay_alu instid0(VALU_DEP_2) | instskip(NEXT) | instid1(VALU_DEP_2)
	v_cndmask_b32_e64 v5, v7, v5, s2
	v_xor_b32_e32 v6, v6, v3
	s_delay_alu instid0(VALU_DEP_2) | instskip(NEXT) | instid1(VALU_DEP_1)
	v_xor_b32_e32 v5, v5, v3
	v_sub_co_u32 v8, vcc_lo, v5, v3
	s_wait_alu 0xfffd
	s_delay_alu instid0(VALU_DEP_3)
	v_sub_co_ci_u32_e64 v9, null, v6, v3, vcc_lo
.LBB13_9:                               ;   in Loop: Header=BB13_3 Depth=1
	s_wait_alu 0xfffe
	s_and_not1_saveexec_b32 s2, s19
	s_cbranch_execz .LBB13_11
; %bb.10:                               ;   in Loop: Header=BB13_3 Depth=1
	s_sub_co_i32 s19, 0, s20
	v_mov_b32_e32 v9, v2
	s_wait_alu 0xfffe
	v_mul_lo_u32 v3, s19, v19
	s_delay_alu instid0(VALU_DEP_1) | instskip(NEXT) | instid1(VALU_DEP_1)
	v_mul_hi_u32 v3, v19, v3
	v_add_nc_u32_e32 v3, v19, v3
	s_delay_alu instid0(VALU_DEP_1) | instskip(NEXT) | instid1(VALU_DEP_1)
	v_mul_hi_u32 v3, v4, v3
	v_mul_lo_u32 v5, v3, s20
	v_add_nc_u32_e32 v6, 1, v3
	s_delay_alu instid0(VALU_DEP_2) | instskip(NEXT) | instid1(VALU_DEP_1)
	v_sub_nc_u32_e32 v5, v4, v5
	v_cmp_le_u32_e32 vcc_lo, s20, v5
	v_subrev_nc_u32_e32 v7, s20, v5
	s_wait_alu 0xfffd
	v_cndmask_b32_e32 v3, v3, v6, vcc_lo
	s_delay_alu instid0(VALU_DEP_1) | instskip(NEXT) | instid1(VALU_DEP_3)
	v_add_nc_u32_e32 v6, 1, v3
	v_cndmask_b32_e32 v5, v5, v7, vcc_lo
	s_delay_alu instid0(VALU_DEP_1) | instskip(SKIP_1) | instid1(VALU_DEP_3)
	v_cmp_le_u32_e32 vcc_lo, s20, v5
	s_wait_alu 0xfffd
	v_cndmask_b32_e32 v8, v3, v6, vcc_lo
.LBB13_11:                              ;   in Loop: Header=BB13_3 Depth=1
	s_wait_alu 0xfffe
	s_or_b32 exec_lo, exec_lo, s2
	v_mad_co_u64_u32 v[5:6], null, v4, s8, 0
	s_delay_alu instid0(VALU_DEP_2) | instskip(SKIP_3) | instid1(VALU_DEP_2)
	v_mad_co_u64_u32 v[6:7], null, v8, s20, 0
	s_and_not1_b32 vcc_lo, exec_lo, s49
	v_sub_co_u32 v20, null, v0, v5
	v_sub_co_u32 v21, null, v4, v6
	v_mul_lo_u32 v3, s24, v20
	v_mul_lo_u32 v5, s26, v20
	s_delay_alu instid0(VALU_DEP_2) | instskip(NEXT) | instid1(VALU_DEP_1)
	v_mad_co_u64_u32 v[6:7], null, s16, v21, v[3:4]
	v_mad_co_u64_u32 v[4:5], null, s18, v21, v[5:6]
	s_wait_alu 0xfffe
	s_cbranch_vccnz .LBB13_38
; %bb.12:                               ;   in Loop: Header=BB13_3 Depth=1
	s_mov_b32 s19, 1
	s_and_not1_b32 vcc_lo, exec_lo, s51
	s_mov_b32 s22, s33
	s_mov_b32 s2, s33
	s_wait_alu 0xfffe
	s_cbranch_vccz .LBB13_15
; %bb.13:                               ;   in Loop: Header=BB13_3 Depth=1
	s_and_b32 vcc_lo, exec_lo, s52
	s_mov_b32 s22, s2
	s_wait_alu 0xfffe
	s_cbranch_vccnz .LBB13_20
	s_branch .LBB13_38
.LBB13_14:                              ;   in Loop: Header=BB13_15 Depth=2
	s_wait_alu 0xfffe
	s_or_b32 exec_lo, exec_lo, s2
	s_add_nc_u64 s[36:37], s[0:1], s[36:37]
	s_clause 0x1
	s_load_b32 s2, s[34:35], 0x6c
	s_load_b32 s29, s[36:37], 0x6c
	v_mul_lo_u32 v3, v10, s30
	s_add_co_i32 s22, s22, -1
	s_delay_alu instid0(VALU_DEP_1) | instskip(SKIP_2) | instid1(VALU_DEP_2)
	v_sub_nc_u32_e32 v3, v8, v3
	v_dual_mov_b32 v8, v10 :: v_dual_mov_b32 v9, v11
	s_wait_kmcnt 0x0
	v_mad_co_u64_u32 v[6:7], null, s2, v3, v[6:7]
	v_mad_co_u64_u32 v[4:5], null, s29, v3, v[4:5]
	s_xor_b32 s2, s48, s19
	s_add_co_i32 s19, s19, 1
	s_wait_alu 0xfffe
	s_cmp_lg_u32 s2, 2
	s_cbranch_scc0 .LBB13_19
.LBB13_15:                              ;   Parent Loop BB13_3 Depth=1
                                        ; =>  This Inner Loop Header: Depth=2
	s_lshl_b64 s[36:37], s[22:23], 2
                                        ; implicit-def: $vgpr10_vgpr11
	s_mov_b32 s2, exec_lo
	s_wait_alu 0xfffe
	s_add_nc_u64 s[34:35], s[12:13], s[36:37]
	s_load_b32 s30, s[34:35], 0x8
	s_wait_kmcnt 0x0
	s_ashr_i32 s31, s30, 31
	s_wait_alu 0xfffe
	v_or_b32_e32 v3, s31, v9
	s_delay_alu instid0(VALU_DEP_1)
	v_cmpx_ne_u64_e32 0, v[2:3]
	s_xor_b32 s29, exec_lo, s2
	s_cbranch_execz .LBB13_17
; %bb.16:                               ;   in Loop: Header=BB13_15 Depth=2
	s_ashr_i32 s38, s31, 31
	s_mov_b32 s47, s23
	s_wait_alu 0xfffe
	s_mov_b32 s39, s38
	s_mov_b32 s57, s23
	s_wait_alu 0xfffe
	s_add_nc_u64 s[40:41], s[30:31], s[38:39]
	v_ashrrev_i32_e32 v3, 31, v9
	s_wait_alu 0xfffe
	s_xor_b64 s[40:41], s[40:41], s[38:39]
	s_wait_alu 0xfffe
	s_cvt_f32_u32 s2, s40
	s_cvt_f32_u32 s31, s41
	s_sub_nc_u64 s[44:45], 0, s[40:41]
	v_add_co_u32 v5, vcc_lo, v8, v3
	s_wait_alu 0xfffe
	s_fmamk_f32 s2, s31, 0x4f800000, s2
	s_wait_alu 0xfffd
	v_add_co_ci_u32_e64 v7, null, v9, v3, vcc_lo
	v_xor_b32_e32 v5, v5, v3
	s_wait_alu 0xfffe
	v_s_rcp_f32 s2, s2
	s_delay_alu instid0(VALU_DEP_2) | instskip(SKIP_1) | instid1(TRANS32_DEP_1)
	v_xor_b32_e32 v7, v7, v3
	v_xor_b32_e32 v3, s38, v3
	s_mul_f32 s2, s2, 0x5f7ffffc
	s_wait_alu 0xfffe
	s_delay_alu instid0(SALU_CYCLE_2) | instskip(SKIP_1) | instid1(SALU_CYCLE_2)
	s_mul_f32 s31, s2, 0x2f800000
	s_wait_alu 0xfffe
	s_trunc_f32 s31, s31
	s_wait_alu 0xfffe
	s_delay_alu instid0(SALU_CYCLE_2) | instskip(SKIP_2) | instid1(SALU_CYCLE_1)
	s_fmamk_f32 s2, s31, 0xcf800000, s2
	s_cvt_u32_f32 s43, s31
	s_wait_alu 0xfffe
	s_cvt_u32_f32 s42, s2
	s_wait_alu 0xfffe
	s_delay_alu instid0(SALU_CYCLE_2) | instskip(NEXT) | instid1(SALU_CYCLE_1)
	s_mul_u64 s[54:55], s[44:45], s[42:43]
	s_mul_hi_u32 s59, s42, s55
	s_mul_i32 s58, s42, s55
	s_mul_hi_u32 s46, s42, s54
	s_mul_i32 s31, s43, s54
	s_wait_alu 0xfffe
	s_add_nc_u64 s[46:47], s[46:47], s[58:59]
	s_mul_hi_u32 s2, s43, s54
	s_mul_hi_u32 s39, s43, s55
	s_wait_alu 0xfffe
	s_add_co_u32 s31, s46, s31
	s_add_co_ci_u32 s56, s47, s2
	s_mul_i32 s54, s43, s55
	s_add_co_ci_u32 s55, s39, 0
	s_delay_alu instid0(SALU_CYCLE_1)
	s_add_nc_u64 s[46:47], s[56:57], s[54:55]
	s_mov_b32 s55, s23
	s_wait_alu 0xfffe
	s_add_co_u32 s42, s42, s46
	s_cselect_b32 s2, -1, 0
	s_wait_alu 0xfffe
	s_cmp_lg_u32 s2, 0
	s_add_co_ci_u32 s43, s43, s47
	s_mov_b32 s47, s23
	s_wait_alu 0xfffe
	s_mul_u64 s[44:45], s[44:45], s[42:43]
	s_wait_alu 0xfffe
	s_mul_hi_u32 s57, s42, s45
	s_mul_i32 s56, s42, s45
	s_mul_hi_u32 s54, s42, s44
	s_mul_i32 s31, s43, s44
	s_add_nc_u64 s[54:55], s[54:55], s[56:57]
	s_mul_hi_u32 s2, s43, s44
	s_mul_hi_u32 s39, s43, s45
	s_wait_alu 0xfffe
	s_add_co_u32 s31, s54, s31
	s_add_co_ci_u32 s46, s55, s2
	s_mul_i32 s44, s43, s45
	s_add_co_ci_u32 s45, s39, 0
	s_wait_alu 0xfffe
	s_add_nc_u64 s[44:45], s[46:47], s[44:45]
	s_wait_alu 0xfffe
	s_add_co_u32 s2, s42, s44
	s_cselect_b32 s31, -1, 0
	s_wait_alu 0xfffe
	v_mul_hi_u32 v15, v5, s2
	s_cmp_lg_u32 s31, 0
	v_mad_co_u64_u32 v[11:12], null, v7, s2, 0
	s_add_co_ci_u32 s31, s43, s45
	s_wait_alu 0xfffe
	v_mad_co_u64_u32 v[9:10], null, v5, s31, 0
	v_mad_co_u64_u32 v[13:14], null, v7, s31, 0
	s_delay_alu instid0(VALU_DEP_2) | instskip(SKIP_1) | instid1(VALU_DEP_3)
	v_add_co_u32 v9, vcc_lo, v15, v9
	s_wait_alu 0xfffd
	v_add_co_ci_u32_e64 v10, null, 0, v10, vcc_lo
	s_delay_alu instid0(VALU_DEP_2) | instskip(SKIP_1) | instid1(VALU_DEP_2)
	v_add_co_u32 v9, vcc_lo, v9, v11
	s_wait_alu 0xfffd
	v_add_co_ci_u32_e32 v9, vcc_lo, v10, v12, vcc_lo
	s_wait_alu 0xfffd
	v_add_co_ci_u32_e32 v10, vcc_lo, 0, v14, vcc_lo
	s_delay_alu instid0(VALU_DEP_2) | instskip(SKIP_1) | instid1(VALU_DEP_2)
	v_add_co_u32 v11, vcc_lo, v9, v13
	s_wait_alu 0xfffd
	v_add_co_ci_u32_e64 v12, null, 0, v10, vcc_lo
	s_delay_alu instid0(VALU_DEP_2) | instskip(SKIP_1) | instid1(VALU_DEP_3)
	v_mul_lo_u32 v13, s41, v11
	v_mad_co_u64_u32 v[9:10], null, s40, v11, 0
	v_mul_lo_u32 v14, s40, v12
	s_delay_alu instid0(VALU_DEP_2) | instskip(NEXT) | instid1(VALU_DEP_2)
	v_sub_co_u32 v5, vcc_lo, v5, v9
	v_add3_u32 v10, v10, v14, v13
	s_delay_alu instid0(VALU_DEP_1) | instskip(SKIP_2) | instid1(VALU_DEP_2)
	v_sub_nc_u32_e32 v13, v7, v10
	s_wait_alu 0xfffd
	v_sub_co_ci_u32_e64 v7, null, v7, v10, vcc_lo
	v_subrev_co_ci_u32_e64 v9, null, s41, v13, vcc_lo
	v_add_co_u32 v13, s2, v11, 2
	s_wait_alu 0xf1ff
	v_add_co_ci_u32_e64 v14, null, 0, v12, s2
	v_sub_co_u32 v15, s2, v5, s40
	s_wait_alu 0xf1ff
	v_subrev_co_ci_u32_e64 v9, null, 0, v9, s2
	s_delay_alu instid0(VALU_DEP_2) | instskip(SKIP_2) | instid1(VALU_DEP_3)
	v_cmp_le_u32_e32 vcc_lo, s40, v15
	s_wait_alu 0xfffd
	v_cndmask_b32_e64 v10, 0, -1, vcc_lo
	v_cmp_le_u32_e32 vcc_lo, s41, v9
	s_wait_alu 0xfffd
	v_cndmask_b32_e64 v15, 0, -1, vcc_lo
	;; [unrolled: 3-line block ×4, first 2 shown]
	v_cmp_eq_u32_e32 vcc_lo, s41, v9
	s_wait_alu 0xfffd
	v_cndmask_b32_e32 v9, v15, v10, vcc_lo
	v_add_co_u32 v10, vcc_lo, v11, 1
	s_wait_alu 0xfffd
	v_add_co_ci_u32_e64 v15, null, 0, v12, vcc_lo
	v_cmp_eq_u32_e32 vcc_lo, s41, v7
	s_wait_alu 0xfffd
	v_cndmask_b32_e32 v5, v16, v5, vcc_lo
	v_cmp_ne_u32_e32 vcc_lo, 0, v9
	s_delay_alu instid0(VALU_DEP_2) | instskip(SKIP_4) | instid1(VALU_DEP_2)
	v_cmp_ne_u32_e64 s2, 0, v5
	s_wait_alu 0xfffd
	v_cndmask_b32_e32 v5, v10, v13, vcc_lo
	v_cndmask_b32_e32 v7, v15, v14, vcc_lo
	s_wait_alu 0xf1ff
	v_cndmask_b32_e64 v5, v11, v5, s2
	s_delay_alu instid0(VALU_DEP_2) | instskip(NEXT) | instid1(VALU_DEP_2)
	v_cndmask_b32_e64 v7, v12, v7, s2
	v_xor_b32_e32 v5, v5, v3
	s_delay_alu instid0(VALU_DEP_2) | instskip(NEXT) | instid1(VALU_DEP_2)
	v_xor_b32_e32 v7, v7, v3
	v_sub_co_u32 v10, vcc_lo, v5, v3
	s_wait_alu 0xfffd
	s_delay_alu instid0(VALU_DEP_2)
	v_sub_co_ci_u32_e64 v11, null, v7, v3, vcc_lo
.LBB13_17:                              ;   in Loop: Header=BB13_15 Depth=2
	s_wait_alu 0xfffe
	s_and_not1_saveexec_b32 s2, s29
	s_cbranch_execz .LBB13_14
; %bb.18:                               ;   in Loop: Header=BB13_15 Depth=2
	v_cvt_f32_u32_e32 v3, s30
	s_sub_co_i32 s29, 0, s30
	v_mov_b32_e32 v11, v2
	s_delay_alu instid0(VALU_DEP_2) | instskip(NEXT) | instid1(TRANS32_DEP_1)
	v_rcp_iflag_f32_e32 v3, v3
	v_mul_f32_e32 v3, 0x4f7ffffe, v3
	s_delay_alu instid0(VALU_DEP_1) | instskip(SKIP_1) | instid1(VALU_DEP_1)
	v_cvt_u32_f32_e32 v3, v3
	s_wait_alu 0xfffe
	v_mul_lo_u32 v5, s29, v3
	s_delay_alu instid0(VALU_DEP_1) | instskip(NEXT) | instid1(VALU_DEP_1)
	v_mul_hi_u32 v5, v3, v5
	v_add_nc_u32_e32 v3, v3, v5
	s_delay_alu instid0(VALU_DEP_1) | instskip(NEXT) | instid1(VALU_DEP_1)
	v_mul_hi_u32 v3, v8, v3
	v_mul_lo_u32 v5, v3, s30
	v_add_nc_u32_e32 v7, 1, v3
	s_delay_alu instid0(VALU_DEP_2) | instskip(NEXT) | instid1(VALU_DEP_1)
	v_sub_nc_u32_e32 v5, v8, v5
	v_cmp_le_u32_e32 vcc_lo, s30, v5
	v_subrev_nc_u32_e32 v9, s30, v5
	s_wait_alu 0xfffd
	v_cndmask_b32_e32 v3, v3, v7, vcc_lo
	s_delay_alu instid0(VALU_DEP_1) | instskip(NEXT) | instid1(VALU_DEP_3)
	v_add_nc_u32_e32 v7, 1, v3
	v_cndmask_b32_e32 v5, v5, v9, vcc_lo
	s_delay_alu instid0(VALU_DEP_1) | instskip(SKIP_1) | instid1(VALU_DEP_3)
	v_cmp_le_u32_e32 vcc_lo, s30, v5
	s_wait_alu 0xfffd
	v_cndmask_b32_e32 v10, v3, v7, vcc_lo
	s_branch .LBB13_14
.LBB13_19:                              ;   in Loop: Header=BB13_3 Depth=1
	s_mov_b32 s2, s22
	s_and_b32 vcc_lo, exec_lo, s52
	s_wait_alu 0xfffe
	s_mov_b32 s22, s2
	s_cbranch_vccz .LBB13_38
.LBB13_20:                              ;   Parent Loop BB13_3 Depth=1
                                        ; =>  This Inner Loop Header: Depth=2
	s_wait_alu 0xfffe
	s_lshl_b64 s[42:43], s[22:23], 2
                                        ; implicit-def: $vgpr10_vgpr11
	s_mov_b32 s2, exec_lo
	s_wait_alu 0xfffe
	s_add_nc_u64 s[36:37], s[12:13], s[42:43]
	s_load_b32 s30, s[36:37], 0x8
	s_wait_kmcnt 0x0
	s_ashr_i32 s31, s30, 31
	s_wait_alu 0xfffe
	v_or_b32_e32 v3, s31, v9
	s_delay_alu instid0(VALU_DEP_1)
	v_cmpx_ne_u64_e32 0, v[2:3]
	s_xor_b32 s19, exec_lo, s2
	s_cbranch_execz .LBB13_22
; %bb.21:                               ;   in Loop: Header=BB13_20 Depth=2
	s_ashr_i32 s34, s31, 31
	s_mov_b32 s47, s23
	s_wait_alu 0xfffe
	s_mov_b32 s35, s34
	s_mov_b32 s57, s23
	s_wait_alu 0xfffe
	s_add_nc_u64 s[38:39], s[30:31], s[34:35]
	v_ashrrev_i32_e32 v3, 31, v9
	s_wait_alu 0xfffe
	s_xor_b64 s[38:39], s[38:39], s[34:35]
	s_wait_alu 0xfffe
	s_cvt_f32_u32 s2, s38
	s_cvt_f32_u32 s29, s39
	s_sub_nc_u64 s[44:45], 0, s[38:39]
	v_add_co_u32 v5, vcc_lo, v8, v3
	s_wait_alu 0xfffe
	s_fmamk_f32 s2, s29, 0x4f800000, s2
	s_wait_alu 0xfffd
	v_add_co_ci_u32_e64 v7, null, v9, v3, vcc_lo
	v_xor_b32_e32 v5, v5, v3
	s_wait_alu 0xfffe
	v_s_rcp_f32 s2, s2
	s_delay_alu instid0(VALU_DEP_2) | instskip(SKIP_1) | instid1(TRANS32_DEP_1)
	v_xor_b32_e32 v7, v7, v3
	v_xor_b32_e32 v3, s34, v3
	s_mul_f32 s2, s2, 0x5f7ffffc
	s_wait_alu 0xfffe
	s_delay_alu instid0(SALU_CYCLE_2) | instskip(SKIP_1) | instid1(SALU_CYCLE_2)
	s_mul_f32 s29, s2, 0x2f800000
	s_wait_alu 0xfffe
	s_trunc_f32 s29, s29
	s_wait_alu 0xfffe
	s_delay_alu instid0(SALU_CYCLE_2) | instskip(SKIP_2) | instid1(SALU_CYCLE_1)
	s_fmamk_f32 s2, s29, 0xcf800000, s2
	s_cvt_u32_f32 s41, s29
	s_wait_alu 0xfffe
	s_cvt_u32_f32 s40, s2
	s_wait_alu 0xfffe
	s_delay_alu instid0(SALU_CYCLE_2) | instskip(NEXT) | instid1(SALU_CYCLE_1)
	s_mul_u64 s[54:55], s[44:45], s[40:41]
	s_mul_hi_u32 s59, s40, s55
	s_mul_i32 s58, s40, s55
	s_mul_hi_u32 s46, s40, s54
	s_mul_i32 s29, s41, s54
	s_wait_alu 0xfffe
	s_add_nc_u64 s[46:47], s[46:47], s[58:59]
	s_mul_hi_u32 s2, s41, s54
	s_mul_hi_u32 s31, s41, s55
	s_wait_alu 0xfffe
	s_add_co_u32 s29, s46, s29
	s_add_co_ci_u32 s56, s47, s2
	s_mul_i32 s54, s41, s55
	s_add_co_ci_u32 s55, s31, 0
	s_delay_alu instid0(SALU_CYCLE_1)
	s_add_nc_u64 s[46:47], s[56:57], s[54:55]
	s_mov_b32 s55, s23
	s_wait_alu 0xfffe
	s_add_co_u32 s40, s40, s46
	s_cselect_b32 s2, -1, 0
	s_wait_alu 0xfffe
	s_cmp_lg_u32 s2, 0
	s_add_co_ci_u32 s41, s41, s47
	s_mov_b32 s47, s23
	s_wait_alu 0xfffe
	s_mul_u64 s[44:45], s[44:45], s[40:41]
	s_wait_alu 0xfffe
	s_mul_hi_u32 s57, s40, s45
	s_mul_i32 s56, s40, s45
	s_mul_hi_u32 s54, s40, s44
	s_mul_i32 s29, s41, s44
	s_add_nc_u64 s[54:55], s[54:55], s[56:57]
	s_mul_hi_u32 s2, s41, s44
	s_mul_hi_u32 s31, s41, s45
	s_wait_alu 0xfffe
	s_add_co_u32 s29, s54, s29
	s_add_co_ci_u32 s46, s55, s2
	s_mul_i32 s44, s41, s45
	s_add_co_ci_u32 s45, s31, 0
	s_wait_alu 0xfffe
	s_add_nc_u64 s[44:45], s[46:47], s[44:45]
	s_wait_alu 0xfffe
	s_add_co_u32 s2, s40, s44
	s_cselect_b32 s29, -1, 0
	s_wait_alu 0xfffe
	v_mul_hi_u32 v15, v5, s2
	s_cmp_lg_u32 s29, 0
	v_mad_co_u64_u32 v[11:12], null, v7, s2, 0
	s_add_co_ci_u32 s29, s41, s45
	s_wait_alu 0xfffe
	v_mad_co_u64_u32 v[9:10], null, v5, s29, 0
	v_mad_co_u64_u32 v[13:14], null, v7, s29, 0
	s_delay_alu instid0(VALU_DEP_2) | instskip(SKIP_1) | instid1(VALU_DEP_3)
	v_add_co_u32 v9, vcc_lo, v15, v9
	s_wait_alu 0xfffd
	v_add_co_ci_u32_e64 v10, null, 0, v10, vcc_lo
	s_delay_alu instid0(VALU_DEP_2) | instskip(SKIP_1) | instid1(VALU_DEP_2)
	v_add_co_u32 v9, vcc_lo, v9, v11
	s_wait_alu 0xfffd
	v_add_co_ci_u32_e32 v9, vcc_lo, v10, v12, vcc_lo
	s_wait_alu 0xfffd
	v_add_co_ci_u32_e32 v10, vcc_lo, 0, v14, vcc_lo
	s_delay_alu instid0(VALU_DEP_2) | instskip(SKIP_1) | instid1(VALU_DEP_2)
	v_add_co_u32 v11, vcc_lo, v9, v13
	s_wait_alu 0xfffd
	v_add_co_ci_u32_e64 v12, null, 0, v10, vcc_lo
	s_delay_alu instid0(VALU_DEP_2) | instskip(SKIP_1) | instid1(VALU_DEP_3)
	v_mul_lo_u32 v13, s39, v11
	v_mad_co_u64_u32 v[9:10], null, s38, v11, 0
	v_mul_lo_u32 v14, s38, v12
	s_delay_alu instid0(VALU_DEP_2) | instskip(NEXT) | instid1(VALU_DEP_2)
	v_sub_co_u32 v5, vcc_lo, v5, v9
	v_add3_u32 v10, v10, v14, v13
	s_delay_alu instid0(VALU_DEP_1) | instskip(SKIP_2) | instid1(VALU_DEP_2)
	v_sub_nc_u32_e32 v13, v7, v10
	s_wait_alu 0xfffd
	v_sub_co_ci_u32_e64 v7, null, v7, v10, vcc_lo
	v_subrev_co_ci_u32_e64 v9, null, s39, v13, vcc_lo
	v_add_co_u32 v13, s2, v11, 2
	s_wait_alu 0xf1ff
	v_add_co_ci_u32_e64 v14, null, 0, v12, s2
	v_sub_co_u32 v15, s2, v5, s38
	s_wait_alu 0xf1ff
	v_subrev_co_ci_u32_e64 v9, null, 0, v9, s2
	s_delay_alu instid0(VALU_DEP_2) | instskip(SKIP_2) | instid1(VALU_DEP_3)
	v_cmp_le_u32_e32 vcc_lo, s38, v15
	s_wait_alu 0xfffd
	v_cndmask_b32_e64 v10, 0, -1, vcc_lo
	v_cmp_le_u32_e32 vcc_lo, s39, v9
	s_wait_alu 0xfffd
	v_cndmask_b32_e64 v15, 0, -1, vcc_lo
	;; [unrolled: 3-line block ×4, first 2 shown]
	v_cmp_eq_u32_e32 vcc_lo, s39, v9
	s_wait_alu 0xfffd
	v_cndmask_b32_e32 v9, v15, v10, vcc_lo
	v_add_co_u32 v10, vcc_lo, v11, 1
	s_wait_alu 0xfffd
	v_add_co_ci_u32_e64 v15, null, 0, v12, vcc_lo
	v_cmp_eq_u32_e32 vcc_lo, s39, v7
	s_wait_alu 0xfffd
	v_cndmask_b32_e32 v5, v16, v5, vcc_lo
	v_cmp_ne_u32_e32 vcc_lo, 0, v9
	s_delay_alu instid0(VALU_DEP_2) | instskip(SKIP_4) | instid1(VALU_DEP_2)
	v_cmp_ne_u32_e64 s2, 0, v5
	s_wait_alu 0xfffd
	v_cndmask_b32_e32 v5, v10, v13, vcc_lo
	v_cndmask_b32_e32 v7, v15, v14, vcc_lo
	s_wait_alu 0xf1ff
	v_cndmask_b32_e64 v5, v11, v5, s2
	s_delay_alu instid0(VALU_DEP_2) | instskip(NEXT) | instid1(VALU_DEP_2)
	v_cndmask_b32_e64 v7, v12, v7, s2
	v_xor_b32_e32 v5, v5, v3
	s_delay_alu instid0(VALU_DEP_2) | instskip(NEXT) | instid1(VALU_DEP_2)
	v_xor_b32_e32 v7, v7, v3
	v_sub_co_u32 v10, vcc_lo, v5, v3
	s_wait_alu 0xfffd
	s_delay_alu instid0(VALU_DEP_2)
	v_sub_co_ci_u32_e64 v11, null, v7, v3, vcc_lo
.LBB13_22:                              ;   in Loop: Header=BB13_20 Depth=2
	s_wait_alu 0xfffe
	s_and_not1_saveexec_b32 s2, s19
	s_cbranch_execz .LBB13_24
; %bb.23:                               ;   in Loop: Header=BB13_20 Depth=2
	v_cvt_f32_u32_e32 v3, s30
	s_sub_co_i32 s19, 0, s30
	v_mov_b32_e32 v11, v2
	s_delay_alu instid0(VALU_DEP_2) | instskip(NEXT) | instid1(TRANS32_DEP_1)
	v_rcp_iflag_f32_e32 v3, v3
	v_mul_f32_e32 v3, 0x4f7ffffe, v3
	s_delay_alu instid0(VALU_DEP_1) | instskip(SKIP_1) | instid1(VALU_DEP_1)
	v_cvt_u32_f32_e32 v3, v3
	s_wait_alu 0xfffe
	v_mul_lo_u32 v5, s19, v3
	s_delay_alu instid0(VALU_DEP_1) | instskip(NEXT) | instid1(VALU_DEP_1)
	v_mul_hi_u32 v5, v3, v5
	v_add_nc_u32_e32 v3, v3, v5
	s_delay_alu instid0(VALU_DEP_1) | instskip(NEXT) | instid1(VALU_DEP_1)
	v_mul_hi_u32 v3, v8, v3
	v_mul_lo_u32 v5, v3, s30
	v_add_nc_u32_e32 v7, 1, v3
	s_delay_alu instid0(VALU_DEP_2) | instskip(NEXT) | instid1(VALU_DEP_1)
	v_sub_nc_u32_e32 v5, v8, v5
	v_cmp_le_u32_e32 vcc_lo, s30, v5
	v_subrev_nc_u32_e32 v9, s30, v5
	s_wait_alu 0xfffd
	v_cndmask_b32_e32 v3, v3, v7, vcc_lo
	s_delay_alu instid0(VALU_DEP_1) | instskip(NEXT) | instid1(VALU_DEP_3)
	v_add_nc_u32_e32 v7, 1, v3
	v_cndmask_b32_e32 v5, v5, v9, vcc_lo
	s_delay_alu instid0(VALU_DEP_1) | instskip(SKIP_1) | instid1(VALU_DEP_3)
	v_cmp_le_u32_e32 vcc_lo, s30, v5
	s_wait_alu 0xfffd
	v_cndmask_b32_e32 v10, v3, v7, vcc_lo
.LBB13_24:                              ;   in Loop: Header=BB13_20 Depth=2
	s_wait_alu 0xfffe
	s_or_b32 exec_lo, exec_lo, s2
	s_add_co_i32 s34, s22, -1
	s_mov_b32 s35, s23
	s_add_nc_u64 s[42:43], s[0:1], s[42:43]
	s_wait_alu 0xfffe
	s_lshl_b64 s[40:41], s[34:35], 2
                                        ; implicit-def: $vgpr12_vgpr13
	s_mov_b32 s2, exec_lo
	s_wait_alu 0xfffe
	s_add_nc_u64 s[38:39], s[12:13], s[40:41]
	s_clause 0x2
	s_load_b32 s34, s[38:39], 0x8
	s_load_b32 s19, s[36:37], 0x6c
	;; [unrolled: 1-line block ×3, first 2 shown]
	s_wait_kmcnt 0x0
	s_ashr_i32 s35, s34, 31
	s_wait_alu 0xfffe
	v_or_b32_e32 v3, s35, v11
	s_delay_alu instid0(VALU_DEP_1)
	v_cmpx_ne_u64_e32 0, v[2:3]
	s_xor_b32 s31, exec_lo, s2
	s_cbranch_execz .LBB13_26
; %bb.25:                               ;   in Loop: Header=BB13_20 Depth=2
	s_ashr_i32 s36, s35, 31
	s_mov_b32 s55, s23
	s_wait_alu 0xfffe
	s_mov_b32 s37, s36
	s_mov_b32 s59, s23
	s_wait_alu 0xfffe
	s_add_nc_u64 s[42:43], s[34:35], s[36:37]
	v_ashrrev_i32_e32 v3, 31, v11
	s_wait_alu 0xfffe
	s_xor_b64 s[42:43], s[42:43], s[36:37]
	s_wait_alu 0xfffe
	s_cvt_f32_u32 s2, s42
	s_cvt_f32_u32 s35, s43
	s_sub_nc_u64 s[46:47], 0, s[42:43]
	v_add_co_u32 v5, vcc_lo, v10, v3
	s_wait_alu 0xfffe
	s_fmamk_f32 s2, s35, 0x4f800000, s2
	s_wait_alu 0xfffd
	v_add_co_ci_u32_e64 v7, null, v11, v3, vcc_lo
	v_xor_b32_e32 v5, v5, v3
	s_wait_alu 0xfffe
	v_s_rcp_f32 s2, s2
	s_delay_alu instid0(VALU_DEP_2) | instskip(SKIP_1) | instid1(TRANS32_DEP_1)
	v_xor_b32_e32 v7, v7, v3
	v_xor_b32_e32 v3, s36, v3
	s_mul_f32 s2, s2, 0x5f7ffffc
	s_wait_alu 0xfffe
	s_delay_alu instid0(SALU_CYCLE_2) | instskip(SKIP_1) | instid1(SALU_CYCLE_2)
	s_mul_f32 s35, s2, 0x2f800000
	s_wait_alu 0xfffe
	s_trunc_f32 s35, s35
	s_wait_alu 0xfffe
	s_delay_alu instid0(SALU_CYCLE_2) | instskip(SKIP_2) | instid1(SALU_CYCLE_1)
	s_fmamk_f32 s2, s35, 0xcf800000, s2
	s_cvt_u32_f32 s45, s35
	s_wait_alu 0xfffe
	s_cvt_u32_f32 s44, s2
	s_wait_alu 0xfffe
	s_delay_alu instid0(SALU_CYCLE_2) | instskip(NEXT) | instid1(SALU_CYCLE_1)
	s_mul_u64 s[56:57], s[46:47], s[44:45]
	s_mul_hi_u32 s61, s44, s57
	s_mul_i32 s60, s44, s57
	s_mul_hi_u32 s54, s44, s56
	s_mul_i32 s35, s45, s56
	s_add_nc_u64 s[54:55], s[54:55], s[60:61]
	s_mul_hi_u32 s2, s45, s56
	s_mul_hi_u32 s37, s45, s57
	s_wait_alu 0xfffe
	s_add_co_u32 s35, s54, s35
	s_add_co_ci_u32 s58, s55, s2
	s_mul_i32 s56, s45, s57
	s_add_co_ci_u32 s57, s37, 0
	s_delay_alu instid0(SALU_CYCLE_1)
	s_add_nc_u64 s[54:55], s[58:59], s[56:57]
	s_mov_b32 s57, s23
	s_add_co_u32 s44, s44, s54
	s_cselect_b32 s2, -1, 0
	s_wait_alu 0xfffe
	s_cmp_lg_u32 s2, 0
	s_add_co_ci_u32 s45, s45, s55
	s_mov_b32 s55, s23
	s_wait_alu 0xfffe
	s_mul_u64 s[46:47], s[46:47], s[44:45]
	s_wait_alu 0xfffe
	s_mul_hi_u32 s59, s44, s47
	s_mul_i32 s58, s44, s47
	s_mul_hi_u32 s56, s44, s46
	s_mul_i32 s35, s45, s46
	s_add_nc_u64 s[56:57], s[56:57], s[58:59]
	s_mul_hi_u32 s2, s45, s46
	s_mul_hi_u32 s37, s45, s47
	s_wait_alu 0xfffe
	s_add_co_u32 s35, s56, s35
	s_add_co_ci_u32 s54, s57, s2
	s_mul_i32 s46, s45, s47
	s_add_co_ci_u32 s47, s37, 0
	s_wait_alu 0xfffe
	s_add_nc_u64 s[46:47], s[54:55], s[46:47]
	s_wait_alu 0xfffe
	s_add_co_u32 s2, s44, s46
	s_cselect_b32 s35, -1, 0
	s_wait_alu 0xfffe
	v_mul_hi_u32 v9, v5, s2
	s_cmp_lg_u32 s35, 0
	v_mad_co_u64_u32 v[13:14], null, v7, s2, 0
	s_add_co_ci_u32 s35, s45, s47
	s_wait_alu 0xfffe
	v_mad_co_u64_u32 v[11:12], null, v5, s35, 0
	v_mad_co_u64_u32 v[15:16], null, v7, s35, 0
	s_delay_alu instid0(VALU_DEP_2) | instskip(SKIP_1) | instid1(VALU_DEP_3)
	v_add_co_u32 v9, vcc_lo, v9, v11
	s_wait_alu 0xfffd
	v_add_co_ci_u32_e64 v11, null, 0, v12, vcc_lo
	s_delay_alu instid0(VALU_DEP_2) | instskip(SKIP_1) | instid1(VALU_DEP_2)
	v_add_co_u32 v9, vcc_lo, v9, v13
	s_wait_alu 0xfffd
	v_add_co_ci_u32_e32 v9, vcc_lo, v11, v14, vcc_lo
	s_wait_alu 0xfffd
	v_add_co_ci_u32_e32 v11, vcc_lo, 0, v16, vcc_lo
	s_delay_alu instid0(VALU_DEP_2) | instskip(SKIP_1) | instid1(VALU_DEP_2)
	v_add_co_u32 v9, vcc_lo, v9, v15
	s_wait_alu 0xfffd
	v_add_co_ci_u32_e64 v13, null, 0, v11, vcc_lo
	s_delay_alu instid0(VALU_DEP_2) | instskip(SKIP_1) | instid1(VALU_DEP_3)
	v_mul_lo_u32 v14, s43, v9
	v_mad_co_u64_u32 v[11:12], null, s42, v9, 0
	v_mul_lo_u32 v15, s42, v13
	s_delay_alu instid0(VALU_DEP_2) | instskip(NEXT) | instid1(VALU_DEP_2)
	v_sub_co_u32 v5, vcc_lo, v5, v11
	v_add3_u32 v12, v12, v15, v14
	s_delay_alu instid0(VALU_DEP_1) | instskip(SKIP_2) | instid1(VALU_DEP_2)
	v_sub_nc_u32_e32 v14, v7, v12
	s_wait_alu 0xfffd
	v_sub_co_ci_u32_e64 v7, null, v7, v12, vcc_lo
	v_subrev_co_ci_u32_e64 v11, null, s43, v14, vcc_lo
	v_add_co_u32 v14, s2, v9, 2
	s_wait_alu 0xf1ff
	v_add_co_ci_u32_e64 v15, null, 0, v13, s2
	v_sub_co_u32 v16, s2, v5, s42
	s_wait_alu 0xf1ff
	v_subrev_co_ci_u32_e64 v11, null, 0, v11, s2
	s_delay_alu instid0(VALU_DEP_2) | instskip(SKIP_2) | instid1(VALU_DEP_3)
	v_cmp_le_u32_e32 vcc_lo, s42, v16
	s_wait_alu 0xfffd
	v_cndmask_b32_e64 v12, 0, -1, vcc_lo
	v_cmp_le_u32_e32 vcc_lo, s43, v11
	s_wait_alu 0xfffd
	v_cndmask_b32_e64 v16, 0, -1, vcc_lo
	;; [unrolled: 3-line block ×4, first 2 shown]
	v_cmp_eq_u32_e32 vcc_lo, s43, v11
	s_wait_alu 0xfffd
	v_cndmask_b32_e32 v11, v16, v12, vcc_lo
	v_add_co_u32 v12, vcc_lo, v9, 1
	s_wait_alu 0xfffd
	v_add_co_ci_u32_e64 v16, null, 0, v13, vcc_lo
	v_cmp_eq_u32_e32 vcc_lo, s43, v7
	s_wait_alu 0xfffd
	v_cndmask_b32_e32 v5, v17, v5, vcc_lo
	v_cmp_ne_u32_e32 vcc_lo, 0, v11
	s_delay_alu instid0(VALU_DEP_2) | instskip(SKIP_4) | instid1(VALU_DEP_2)
	v_cmp_ne_u32_e64 s2, 0, v5
	s_wait_alu 0xfffd
	v_cndmask_b32_e32 v5, v12, v14, vcc_lo
	v_cndmask_b32_e32 v7, v16, v15, vcc_lo
	s_wait_alu 0xf1ff
	v_cndmask_b32_e64 v5, v9, v5, s2
	s_delay_alu instid0(VALU_DEP_2) | instskip(NEXT) | instid1(VALU_DEP_2)
	v_cndmask_b32_e64 v7, v13, v7, s2
	v_xor_b32_e32 v5, v5, v3
	s_delay_alu instid0(VALU_DEP_2) | instskip(NEXT) | instid1(VALU_DEP_2)
	v_xor_b32_e32 v7, v7, v3
	v_sub_co_u32 v12, vcc_lo, v5, v3
	s_wait_alu 0xfffd
	s_delay_alu instid0(VALU_DEP_2)
	v_sub_co_ci_u32_e64 v13, null, v7, v3, vcc_lo
.LBB13_26:                              ;   in Loop: Header=BB13_20 Depth=2
	s_wait_alu 0xfffe
	s_and_not1_saveexec_b32 s2, s31
	s_cbranch_execz .LBB13_28
; %bb.27:                               ;   in Loop: Header=BB13_20 Depth=2
	v_cvt_f32_u32_e32 v3, s34
	s_sub_co_i32 s31, 0, s34
	v_mov_b32_e32 v13, v2
	s_delay_alu instid0(VALU_DEP_2) | instskip(NEXT) | instid1(TRANS32_DEP_1)
	v_rcp_iflag_f32_e32 v3, v3
	v_mul_f32_e32 v3, 0x4f7ffffe, v3
	s_delay_alu instid0(VALU_DEP_1) | instskip(SKIP_1) | instid1(VALU_DEP_1)
	v_cvt_u32_f32_e32 v3, v3
	s_wait_alu 0xfffe
	v_mul_lo_u32 v5, s31, v3
	s_delay_alu instid0(VALU_DEP_1) | instskip(NEXT) | instid1(VALU_DEP_1)
	v_mul_hi_u32 v5, v3, v5
	v_add_nc_u32_e32 v3, v3, v5
	s_delay_alu instid0(VALU_DEP_1) | instskip(NEXT) | instid1(VALU_DEP_1)
	v_mul_hi_u32 v3, v10, v3
	v_mul_lo_u32 v5, v3, s34
	v_add_nc_u32_e32 v7, 1, v3
	s_delay_alu instid0(VALU_DEP_2) | instskip(NEXT) | instid1(VALU_DEP_1)
	v_sub_nc_u32_e32 v5, v10, v5
	v_cmp_le_u32_e32 vcc_lo, s34, v5
	v_subrev_nc_u32_e32 v9, s34, v5
	s_wait_alu 0xfffd
	v_cndmask_b32_e32 v3, v3, v7, vcc_lo
	s_delay_alu instid0(VALU_DEP_1) | instskip(NEXT) | instid1(VALU_DEP_3)
	v_add_nc_u32_e32 v7, 1, v3
	v_cndmask_b32_e32 v5, v5, v9, vcc_lo
	s_delay_alu instid0(VALU_DEP_1) | instskip(SKIP_1) | instid1(VALU_DEP_3)
	v_cmp_le_u32_e32 vcc_lo, s34, v5
	s_wait_alu 0xfffd
	v_cndmask_b32_e32 v12, v3, v7, vcc_lo
.LBB13_28:                              ;   in Loop: Header=BB13_20 Depth=2
	s_wait_alu 0xfffe
	s_or_b32 exec_lo, exec_lo, s2
	s_add_co_i32 s36, s22, -2
	s_mov_b32 s37, s23
	s_add_nc_u64 s[40:41], s[0:1], s[40:41]
	s_wait_alu 0xfffe
	s_lshl_b64 s[46:47], s[36:37], 2
                                        ; implicit-def: $vgpr14_vgpr15
	s_mov_b32 s2, exec_lo
	s_wait_alu 0xfffe
	s_add_nc_u64 s[44:45], s[12:13], s[46:47]
	s_clause 0x2
	s_load_b32 s36, s[44:45], 0x8
	s_load_b32 s31, s[38:39], 0x6c
	;; [unrolled: 1-line block ×3, first 2 shown]
	s_wait_kmcnt 0x0
	s_ashr_i32 s37, s36, 31
	s_wait_alu 0xfffe
	v_or_b32_e32 v3, s37, v13
	s_delay_alu instid0(VALU_DEP_1)
	v_cmpx_ne_u64_e32 0, v[2:3]
	s_xor_b32 s42, exec_lo, s2
	s_cbranch_execz .LBB13_30
; %bb.29:                               ;   in Loop: Header=BB13_20 Depth=2
	s_ashr_i32 s38, s37, 31
	s_mov_b32 s59, s23
	s_wait_alu 0xfffe
	s_mov_b32 s39, s38
	s_mov_b32 s63, s23
	s_wait_alu 0xfffe
	s_add_nc_u64 s[40:41], s[36:37], s[38:39]
	v_ashrrev_i32_e32 v3, 31, v13
	s_wait_alu 0xfffe
	s_xor_b64 s[40:41], s[40:41], s[38:39]
	s_wait_alu 0xfffe
	s_cvt_f32_u32 s2, s40
	s_cvt_f32_u32 s37, s41
	s_sub_nc_u64 s[56:57], 0, s[40:41]
	v_add_co_u32 v5, vcc_lo, v12, v3
	s_wait_alu 0xfffe
	s_fmamk_f32 s2, s37, 0x4f800000, s2
	s_wait_alu 0xfffd
	v_add_co_ci_u32_e64 v7, null, v13, v3, vcc_lo
	v_xor_b32_e32 v5, v5, v3
	s_wait_alu 0xfffe
	v_s_rcp_f32 s2, s2
	s_delay_alu instid0(VALU_DEP_2) | instskip(SKIP_1) | instid1(TRANS32_DEP_1)
	v_xor_b32_e32 v7, v7, v3
	v_xor_b32_e32 v3, s38, v3
	s_mul_f32 s2, s2, 0x5f7ffffc
	s_wait_alu 0xfffe
	s_delay_alu instid0(SALU_CYCLE_2) | instskip(SKIP_1) | instid1(SALU_CYCLE_2)
	s_mul_f32 s37, s2, 0x2f800000
	s_wait_alu 0xfffe
	s_trunc_f32 s37, s37
	s_wait_alu 0xfffe
	s_delay_alu instid0(SALU_CYCLE_2) | instskip(SKIP_2) | instid1(SALU_CYCLE_1)
	s_fmamk_f32 s2, s37, 0xcf800000, s2
	s_cvt_u32_f32 s55, s37
	s_wait_alu 0xfffe
	s_cvt_u32_f32 s54, s2
	s_delay_alu instid0(SALU_CYCLE_3) | instskip(NEXT) | instid1(SALU_CYCLE_1)
	s_mul_u64 s[60:61], s[56:57], s[54:55]
	s_mul_hi_u32 s65, s54, s61
	s_mul_i32 s64, s54, s61
	s_mul_hi_u32 s58, s54, s60
	s_mul_i32 s37, s55, s60
	s_add_nc_u64 s[58:59], s[58:59], s[64:65]
	s_mul_hi_u32 s2, s55, s60
	s_mul_hi_u32 s39, s55, s61
	s_wait_alu 0xfffe
	s_add_co_u32 s37, s58, s37
	s_add_co_ci_u32 s62, s59, s2
	s_mul_i32 s60, s55, s61
	s_add_co_ci_u32 s61, s39, 0
	s_delay_alu instid0(SALU_CYCLE_1)
	s_add_nc_u64 s[58:59], s[62:63], s[60:61]
	s_mov_b32 s61, s23
	s_add_co_u32 s54, s54, s58
	s_cselect_b32 s2, -1, 0
	s_wait_alu 0xfffe
	s_cmp_lg_u32 s2, 0
	s_add_co_ci_u32 s55, s55, s59
	s_mov_b32 s59, s23
	s_mul_u64 s[56:57], s[56:57], s[54:55]
	s_delay_alu instid0(SALU_CYCLE_1)
	s_mul_hi_u32 s63, s54, s57
	s_mul_i32 s62, s54, s57
	s_mul_hi_u32 s60, s54, s56
	s_mul_i32 s37, s55, s56
	s_add_nc_u64 s[60:61], s[60:61], s[62:63]
	s_mul_hi_u32 s2, s55, s56
	s_mul_hi_u32 s39, s55, s57
	s_wait_alu 0xfffe
	s_add_co_u32 s37, s60, s37
	s_add_co_ci_u32 s58, s61, s2
	s_mul_i32 s56, s55, s57
	s_add_co_ci_u32 s57, s39, 0
	s_delay_alu instid0(SALU_CYCLE_1) | instskip(NEXT) | instid1(SALU_CYCLE_1)
	s_add_nc_u64 s[56:57], s[58:59], s[56:57]
	s_add_co_u32 s2, s54, s56
	s_cselect_b32 s37, -1, 0
	s_wait_alu 0xfffe
	v_mul_hi_u32 v9, v5, s2
	s_cmp_lg_u32 s37, 0
	v_mad_co_u64_u32 v[15:16], null, v7, s2, 0
	s_add_co_ci_u32 s37, s55, s57
	s_wait_alu 0xfffe
	v_mad_co_u64_u32 v[13:14], null, v5, s37, 0
	v_mad_co_u64_u32 v[22:23], null, v7, s37, 0
	s_delay_alu instid0(VALU_DEP_2) | instskip(SKIP_1) | instid1(VALU_DEP_3)
	v_add_co_u32 v9, vcc_lo, v9, v13
	s_wait_alu 0xfffd
	v_add_co_ci_u32_e64 v11, null, 0, v14, vcc_lo
	s_delay_alu instid0(VALU_DEP_2) | instskip(SKIP_1) | instid1(VALU_DEP_2)
	v_add_co_u32 v9, vcc_lo, v9, v15
	s_wait_alu 0xfffd
	v_add_co_ci_u32_e32 v9, vcc_lo, v11, v16, vcc_lo
	s_wait_alu 0xfffd
	v_add_co_ci_u32_e32 v11, vcc_lo, 0, v23, vcc_lo
	s_delay_alu instid0(VALU_DEP_2) | instskip(SKIP_1) | instid1(VALU_DEP_2)
	v_add_co_u32 v9, vcc_lo, v9, v22
	s_wait_alu 0xfffd
	v_add_co_ci_u32_e64 v11, null, 0, v11, vcc_lo
	s_delay_alu instid0(VALU_DEP_2) | instskip(SKIP_1) | instid1(VALU_DEP_3)
	v_mul_lo_u32 v15, s41, v9
	v_mad_co_u64_u32 v[13:14], null, s40, v9, 0
	v_mul_lo_u32 v16, s40, v11
	s_delay_alu instid0(VALU_DEP_2) | instskip(NEXT) | instid1(VALU_DEP_2)
	v_sub_co_u32 v5, vcc_lo, v5, v13
	v_add3_u32 v14, v14, v16, v15
	s_delay_alu instid0(VALU_DEP_1) | instskip(SKIP_2) | instid1(VALU_DEP_2)
	v_sub_nc_u32_e32 v15, v7, v14
	s_wait_alu 0xfffd
	v_sub_co_ci_u32_e64 v7, null, v7, v14, vcc_lo
	v_subrev_co_ci_u32_e64 v13, null, s41, v15, vcc_lo
	v_add_co_u32 v15, s2, v9, 2
	s_wait_alu 0xf1ff
	v_add_co_ci_u32_e64 v16, null, 0, v11, s2
	v_sub_co_u32 v17, s2, v5, s40
	s_wait_alu 0xf1ff
	v_subrev_co_ci_u32_e64 v13, null, 0, v13, s2
	s_delay_alu instid0(VALU_DEP_2) | instskip(SKIP_2) | instid1(VALU_DEP_3)
	v_cmp_le_u32_e32 vcc_lo, s40, v17
	s_wait_alu 0xfffd
	v_cndmask_b32_e64 v14, 0, -1, vcc_lo
	v_cmp_le_u32_e32 vcc_lo, s41, v13
	s_wait_alu 0xfffd
	v_cndmask_b32_e64 v17, 0, -1, vcc_lo
	;; [unrolled: 3-line block ×4, first 2 shown]
	v_cmp_eq_u32_e32 vcc_lo, s41, v13
	s_wait_alu 0xfffd
	v_cndmask_b32_e32 v13, v17, v14, vcc_lo
	v_add_co_u32 v14, vcc_lo, v9, 1
	s_wait_alu 0xfffd
	v_add_co_ci_u32_e64 v17, null, 0, v11, vcc_lo
	v_cmp_eq_u32_e32 vcc_lo, s41, v7
	s_wait_alu 0xfffd
	v_cndmask_b32_e32 v5, v22, v5, vcc_lo
	v_cmp_ne_u32_e32 vcc_lo, 0, v13
	s_delay_alu instid0(VALU_DEP_2) | instskip(SKIP_4) | instid1(VALU_DEP_2)
	v_cmp_ne_u32_e64 s2, 0, v5
	s_wait_alu 0xfffd
	v_cndmask_b32_e32 v5, v14, v15, vcc_lo
	v_cndmask_b32_e32 v7, v17, v16, vcc_lo
	s_wait_alu 0xf1ff
	v_cndmask_b32_e64 v5, v9, v5, s2
	s_delay_alu instid0(VALU_DEP_2) | instskip(NEXT) | instid1(VALU_DEP_2)
	v_cndmask_b32_e64 v7, v11, v7, s2
	v_xor_b32_e32 v5, v5, v3
	s_delay_alu instid0(VALU_DEP_2) | instskip(NEXT) | instid1(VALU_DEP_2)
	v_xor_b32_e32 v7, v7, v3
	v_sub_co_u32 v14, vcc_lo, v5, v3
	s_wait_alu 0xfffd
	s_delay_alu instid0(VALU_DEP_2)
	v_sub_co_ci_u32_e64 v15, null, v7, v3, vcc_lo
.LBB13_30:                              ;   in Loop: Header=BB13_20 Depth=2
	s_wait_alu 0xfffe
	s_and_not1_saveexec_b32 s2, s42
	s_cbranch_execz .LBB13_32
; %bb.31:                               ;   in Loop: Header=BB13_20 Depth=2
	v_cvt_f32_u32_e32 v3, s36
	s_sub_co_i32 s37, 0, s36
	v_mov_b32_e32 v15, v2
	s_delay_alu instid0(VALU_DEP_2) | instskip(NEXT) | instid1(TRANS32_DEP_1)
	v_rcp_iflag_f32_e32 v3, v3
	v_mul_f32_e32 v3, 0x4f7ffffe, v3
	s_delay_alu instid0(VALU_DEP_1) | instskip(SKIP_1) | instid1(VALU_DEP_1)
	v_cvt_u32_f32_e32 v3, v3
	s_wait_alu 0xfffe
	v_mul_lo_u32 v5, s37, v3
	s_delay_alu instid0(VALU_DEP_1) | instskip(NEXT) | instid1(VALU_DEP_1)
	v_mul_hi_u32 v5, v3, v5
	v_add_nc_u32_e32 v3, v3, v5
	s_delay_alu instid0(VALU_DEP_1) | instskip(NEXT) | instid1(VALU_DEP_1)
	v_mul_hi_u32 v3, v12, v3
	v_mul_lo_u32 v5, v3, s36
	v_add_nc_u32_e32 v7, 1, v3
	s_delay_alu instid0(VALU_DEP_2) | instskip(NEXT) | instid1(VALU_DEP_1)
	v_sub_nc_u32_e32 v5, v12, v5
	v_cmp_le_u32_e32 vcc_lo, s36, v5
	v_subrev_nc_u32_e32 v9, s36, v5
	s_wait_alu 0xfffd
	v_cndmask_b32_e32 v3, v3, v7, vcc_lo
	s_delay_alu instid0(VALU_DEP_1) | instskip(NEXT) | instid1(VALU_DEP_3)
	v_add_nc_u32_e32 v7, 1, v3
	v_cndmask_b32_e32 v5, v5, v9, vcc_lo
	s_delay_alu instid0(VALU_DEP_1) | instskip(SKIP_1) | instid1(VALU_DEP_3)
	v_cmp_le_u32_e32 vcc_lo, s36, v5
	s_wait_alu 0xfffd
	v_cndmask_b32_e32 v14, v3, v7, vcc_lo
.LBB13_32:                              ;   in Loop: Header=BB13_20 Depth=2
	s_wait_alu 0xfffe
	s_or_b32 exec_lo, exec_lo, s2
	s_add_co_i32 s38, s22, -3
	s_mov_b32 s39, s23
	s_add_nc_u64 s[46:47], s[0:1], s[46:47]
	s_wait_alu 0xfffe
	s_lshl_b64 s[42:43], s[38:39], 2
                                        ; implicit-def: $vgpr16_vgpr17
	s_mov_b32 s2, exec_lo
	s_wait_alu 0xfffe
	s_add_nc_u64 s[40:41], s[12:13], s[42:43]
	s_clause 0x2
	s_load_b32 s38, s[40:41], 0x8
	s_load_b32 s37, s[44:45], 0x6c
	;; [unrolled: 1-line block ×3, first 2 shown]
	s_wait_kmcnt 0x0
	s_ashr_i32 s39, s38, 31
	s_wait_alu 0xfffe
	v_or_b32_e32 v3, s39, v15
	s_delay_alu instid0(VALU_DEP_1)
	v_cmpx_ne_u64_e32 0, v[2:3]
	s_xor_b32 s54, exec_lo, s2
	s_cbranch_execz .LBB13_34
; %bb.33:                               ;   in Loop: Header=BB13_20 Depth=2
	s_ashr_i32 s44, s39, 31
	s_mov_b32 s61, s23
	s_wait_alu 0xfffe
	s_mov_b32 s45, s44
	s_mov_b32 s65, s23
	s_wait_alu 0xfffe
	s_add_nc_u64 s[46:47], s[38:39], s[44:45]
	v_ashrrev_i32_e32 v3, 31, v15
	s_wait_alu 0xfffe
	s_xor_b64 s[46:47], s[46:47], s[44:45]
	s_wait_alu 0xfffe
	s_cvt_f32_u32 s2, s46
	s_cvt_f32_u32 s39, s47
	s_sub_nc_u64 s[58:59], 0, s[46:47]
	v_add_co_u32 v5, vcc_lo, v14, v3
	s_wait_alu 0xfffe
	s_fmamk_f32 s2, s39, 0x4f800000, s2
	s_wait_alu 0xfffd
	v_add_co_ci_u32_e64 v7, null, v15, v3, vcc_lo
	v_xor_b32_e32 v5, v5, v3
	s_wait_alu 0xfffe
	v_s_rcp_f32 s2, s2
	s_delay_alu instid0(VALU_DEP_2) | instskip(SKIP_1) | instid1(TRANS32_DEP_1)
	v_xor_b32_e32 v7, v7, v3
	v_xor_b32_e32 v3, s44, v3
	s_mul_f32 s2, s2, 0x5f7ffffc
	s_wait_alu 0xfffe
	s_delay_alu instid0(SALU_CYCLE_2) | instskip(SKIP_1) | instid1(SALU_CYCLE_2)
	s_mul_f32 s39, s2, 0x2f800000
	s_wait_alu 0xfffe
	s_trunc_f32 s39, s39
	s_wait_alu 0xfffe
	s_delay_alu instid0(SALU_CYCLE_2) | instskip(SKIP_2) | instid1(SALU_CYCLE_1)
	s_fmamk_f32 s2, s39, 0xcf800000, s2
	s_cvt_u32_f32 s57, s39
	s_wait_alu 0xfffe
	s_cvt_u32_f32 s56, s2
	s_delay_alu instid0(SALU_CYCLE_3) | instskip(NEXT) | instid1(SALU_CYCLE_1)
	s_mul_u64 s[62:63], s[58:59], s[56:57]
	s_mul_hi_u32 s67, s56, s63
	s_mul_i32 s66, s56, s63
	s_mul_hi_u32 s60, s56, s62
	s_mul_i32 s39, s57, s62
	s_add_nc_u64 s[60:61], s[60:61], s[66:67]
	s_mul_hi_u32 s2, s57, s62
	s_mul_hi_u32 s45, s57, s63
	s_wait_alu 0xfffe
	s_add_co_u32 s39, s60, s39
	s_add_co_ci_u32 s64, s61, s2
	s_mul_i32 s62, s57, s63
	s_add_co_ci_u32 s63, s45, 0
	s_delay_alu instid0(SALU_CYCLE_1)
	s_add_nc_u64 s[60:61], s[64:65], s[62:63]
	s_mov_b32 s63, s23
	s_add_co_u32 s56, s56, s60
	s_cselect_b32 s2, -1, 0
	s_wait_alu 0xfffe
	s_cmp_lg_u32 s2, 0
	s_add_co_ci_u32 s57, s57, s61
	s_mov_b32 s61, s23
	s_mul_u64 s[58:59], s[58:59], s[56:57]
	s_delay_alu instid0(SALU_CYCLE_1)
	s_mul_hi_u32 s65, s56, s59
	s_mul_i32 s64, s56, s59
	s_mul_hi_u32 s62, s56, s58
	s_mul_i32 s39, s57, s58
	s_add_nc_u64 s[62:63], s[62:63], s[64:65]
	s_mul_hi_u32 s2, s57, s58
	s_mul_hi_u32 s45, s57, s59
	s_wait_alu 0xfffe
	s_add_co_u32 s39, s62, s39
	s_add_co_ci_u32 s60, s63, s2
	s_mul_i32 s58, s57, s59
	s_add_co_ci_u32 s59, s45, 0
	s_delay_alu instid0(SALU_CYCLE_1) | instskip(NEXT) | instid1(SALU_CYCLE_1)
	s_add_nc_u64 s[58:59], s[60:61], s[58:59]
	s_add_co_u32 s2, s56, s58
	s_cselect_b32 s39, -1, 0
	s_wait_alu 0xfffe
	v_mul_hi_u32 v9, v5, s2
	s_cmp_lg_u32 s39, 0
	v_mad_co_u64_u32 v[22:23], null, v7, s2, 0
	s_add_co_ci_u32 s39, s57, s59
	s_wait_alu 0xfffe
	v_mad_co_u64_u32 v[15:16], null, v5, s39, 0
	v_mad_co_u64_u32 v[24:25], null, v7, s39, 0
	s_delay_alu instid0(VALU_DEP_2) | instskip(SKIP_1) | instid1(VALU_DEP_3)
	v_add_co_u32 v9, vcc_lo, v9, v15
	s_wait_alu 0xfffd
	v_add_co_ci_u32_e64 v11, null, 0, v16, vcc_lo
	s_delay_alu instid0(VALU_DEP_2) | instskip(SKIP_1) | instid1(VALU_DEP_2)
	v_add_co_u32 v9, vcc_lo, v9, v22
	s_wait_alu 0xfffd
	v_add_co_ci_u32_e32 v9, vcc_lo, v11, v23, vcc_lo
	s_wait_alu 0xfffd
	v_add_co_ci_u32_e32 v11, vcc_lo, 0, v25, vcc_lo
	s_delay_alu instid0(VALU_DEP_2) | instskip(SKIP_1) | instid1(VALU_DEP_2)
	v_add_co_u32 v9, vcc_lo, v9, v24
	s_wait_alu 0xfffd
	v_add_co_ci_u32_e64 v11, null, 0, v11, vcc_lo
	s_delay_alu instid0(VALU_DEP_2) | instskip(SKIP_1) | instid1(VALU_DEP_3)
	v_mul_lo_u32 v13, s47, v9
	v_mad_co_u64_u32 v[15:16], null, s46, v9, 0
	v_mul_lo_u32 v17, s46, v11
	s_delay_alu instid0(VALU_DEP_2) | instskip(NEXT) | instid1(VALU_DEP_2)
	v_sub_co_u32 v5, vcc_lo, v5, v15
	v_add3_u32 v13, v16, v17, v13
	s_delay_alu instid0(VALU_DEP_1) | instskip(SKIP_2) | instid1(VALU_DEP_2)
	v_sub_nc_u32_e32 v16, v7, v13
	s_wait_alu 0xfffd
	v_sub_co_ci_u32_e64 v7, null, v7, v13, vcc_lo
	v_subrev_co_ci_u32_e64 v15, null, s47, v16, vcc_lo
	v_add_co_u32 v16, s2, v9, 2
	s_wait_alu 0xf1ff
	v_add_co_ci_u32_e64 v17, null, 0, v11, s2
	v_sub_co_u32 v22, s2, v5, s46
	s_wait_alu 0xf1ff
	v_subrev_co_ci_u32_e64 v15, null, 0, v15, s2
	s_delay_alu instid0(VALU_DEP_2) | instskip(SKIP_2) | instid1(VALU_DEP_3)
	v_cmp_le_u32_e32 vcc_lo, s46, v22
	s_wait_alu 0xfffd
	v_cndmask_b32_e64 v13, 0, -1, vcc_lo
	v_cmp_le_u32_e32 vcc_lo, s47, v15
	s_wait_alu 0xfffd
	v_cndmask_b32_e64 v22, 0, -1, vcc_lo
	;; [unrolled: 3-line block ×4, first 2 shown]
	v_cmp_eq_u32_e32 vcc_lo, s47, v15
	s_wait_alu 0xfffd
	v_cndmask_b32_e32 v13, v22, v13, vcc_lo
	v_add_co_u32 v15, vcc_lo, v9, 1
	s_wait_alu 0xfffd
	v_add_co_ci_u32_e64 v22, null, 0, v11, vcc_lo
	v_cmp_eq_u32_e32 vcc_lo, s47, v7
	s_wait_alu 0xfffd
	v_cndmask_b32_e32 v5, v23, v5, vcc_lo
	v_cmp_ne_u32_e32 vcc_lo, 0, v13
	s_delay_alu instid0(VALU_DEP_2) | instskip(SKIP_4) | instid1(VALU_DEP_2)
	v_cmp_ne_u32_e64 s2, 0, v5
	s_wait_alu 0xfffd
	v_cndmask_b32_e32 v5, v15, v16, vcc_lo
	v_cndmask_b32_e32 v7, v22, v17, vcc_lo
	s_wait_alu 0xf1ff
	v_cndmask_b32_e64 v5, v9, v5, s2
	s_delay_alu instid0(VALU_DEP_2) | instskip(NEXT) | instid1(VALU_DEP_2)
	v_cndmask_b32_e64 v7, v11, v7, s2
	v_xor_b32_e32 v5, v5, v3
	s_delay_alu instid0(VALU_DEP_2) | instskip(NEXT) | instid1(VALU_DEP_2)
	v_xor_b32_e32 v7, v7, v3
	v_sub_co_u32 v16, vcc_lo, v5, v3
	s_wait_alu 0xfffd
	s_delay_alu instid0(VALU_DEP_2)
	v_sub_co_ci_u32_e64 v17, null, v7, v3, vcc_lo
.LBB13_34:                              ;   in Loop: Header=BB13_20 Depth=2
	s_and_not1_saveexec_b32 s2, s54
	s_cbranch_execz .LBB13_36
; %bb.35:                               ;   in Loop: Header=BB13_20 Depth=2
	v_cvt_f32_u32_e32 v3, s38
	s_sub_co_i32 s39, 0, s38
	v_mov_b32_e32 v17, v2
	s_delay_alu instid0(VALU_DEP_2) | instskip(NEXT) | instid1(TRANS32_DEP_1)
	v_rcp_iflag_f32_e32 v3, v3
	v_mul_f32_e32 v3, 0x4f7ffffe, v3
	s_delay_alu instid0(VALU_DEP_1) | instskip(SKIP_1) | instid1(VALU_DEP_1)
	v_cvt_u32_f32_e32 v3, v3
	s_wait_alu 0xfffe
	v_mul_lo_u32 v5, s39, v3
	s_delay_alu instid0(VALU_DEP_1) | instskip(NEXT) | instid1(VALU_DEP_1)
	v_mul_hi_u32 v5, v3, v5
	v_add_nc_u32_e32 v3, v3, v5
	s_delay_alu instid0(VALU_DEP_1) | instskip(NEXT) | instid1(VALU_DEP_1)
	v_mul_hi_u32 v3, v14, v3
	v_mul_lo_u32 v5, v3, s38
	v_add_nc_u32_e32 v7, 1, v3
	s_delay_alu instid0(VALU_DEP_2) | instskip(NEXT) | instid1(VALU_DEP_1)
	v_sub_nc_u32_e32 v5, v14, v5
	v_cmp_le_u32_e32 vcc_lo, s38, v5
	v_subrev_nc_u32_e32 v9, s38, v5
	s_wait_alu 0xfffd
	v_cndmask_b32_e32 v3, v3, v7, vcc_lo
	s_delay_alu instid0(VALU_DEP_1) | instskip(NEXT) | instid1(VALU_DEP_3)
	v_add_nc_u32_e32 v7, 1, v3
	v_cndmask_b32_e32 v5, v5, v9, vcc_lo
	s_delay_alu instid0(VALU_DEP_1) | instskip(SKIP_1) | instid1(VALU_DEP_3)
	v_cmp_le_u32_e32 vcc_lo, s38, v5
	s_wait_alu 0xfffd
	v_cndmask_b32_e32 v16, v3, v7, vcc_lo
.LBB13_36:                              ;   in Loop: Header=BB13_20 Depth=2
	s_wait_alu 0xfffe
	s_or_b32 exec_lo, exec_lo, s2
	s_add_nc_u64 s[42:43], s[0:1], s[42:43]
	v_mul_lo_u32 v3, v10, s30
	s_clause 0x1
	s_load_b32 s2, s[40:41], 0x6c
	s_load_b32 s30, s[42:43], 0x6c
	v_mul_lo_u32 v5, v12, s34
	v_mul_lo_u32 v7, v14, s36
	;; [unrolled: 1-line block ×3, first 2 shown]
	s_add_co_i32 s22, s22, -4
	s_wait_alu 0xfffe
	s_cmp_eq_u32 s22, -1
	v_sub_nc_u32_e32 v3, v8, v3
	s_delay_alu instid0(VALU_DEP_4) | instskip(NEXT) | instid1(VALU_DEP_4)
	v_sub_nc_u32_e32 v5, v10, v5
	v_sub_nc_u32_e32 v7, v12, v7
	s_delay_alu instid0(VALU_DEP_4) | instskip(NEXT) | instid1(VALU_DEP_4)
	v_sub_nc_u32_e32 v8, v14, v9
	v_mul_lo_u32 v9, s19, v3
	v_mul_lo_u32 v3, s29, v3
	;; [unrolled: 1-line block ×6, first 2 shown]
	s_wait_kmcnt 0x0
	v_mul_lo_u32 v12, s2, v8
	v_mul_lo_u32 v8, s30, v8
	v_add3_u32 v6, v9, v6, v10
	v_add3_u32 v3, v3, v4, v5
	s_delay_alu instid0(VALU_DEP_2) | instskip(NEXT) | instid1(VALU_DEP_2)
	v_add3_u32 v6, v11, v6, v12
	v_add3_u32 v4, v7, v3, v8
	s_cbranch_scc1 .LBB13_38
; %bb.37:                               ;   in Loop: Header=BB13_20 Depth=2
	v_dual_mov_b32 v8, v16 :: v_dual_mov_b32 v9, v17
	s_branch .LBB13_20
.LBB13_38:                              ;   in Loop: Header=BB13_3 Depth=1
	v_sub_nc_u32_e32 v8, v20, v21
	v_mov_b32_e32 v10, 0
	v_dual_mov_b32 v11, 0 :: v_dual_mov_b32 v14, 0
	v_mov_b32_e32 v15, 0
	s_delay_alu instid0(VALU_DEP_4) | instskip(SKIP_1) | instid1(VALU_DEP_1)
	v_ashrrev_i32_e32 v9, 31, v8
	s_mov_b32 s19, exec_lo
	v_cmpx_ge_i64_e64 s[4:5], v[8:9]
	s_cbranch_execz .LBB13_44
; %bb.39:                               ;   in Loop: Header=BB13_3 Depth=1
	v_mov_b32_e32 v10, 0
	v_dual_mov_b32 v11, 0 :: v_dual_mov_b32 v12, 0
	v_mov_b32_e32 v13, 0
	s_mov_b32 s2, exec_lo
	v_cmpx_gt_i32_e64 s3, v20
	s_cbranch_execz .LBB13_43
; %bb.40:                               ;   in Loop: Header=BB13_3 Depth=1
	v_ashrrev_i32_e32 v7, 31, v6
	v_dual_mov_b32 v12, 0 :: v_dual_add_nc_u32 v3, 1, v20
	v_mov_b32_e32 v13, 0
	s_mov_b32 s22, exec_lo
	s_delay_alu instid0(VALU_DEP_3) | instskip(NEXT) | instid1(VALU_DEP_1)
	v_lshlrev_b64_e32 v[5:6], 3, v[6:7]
	v_add_co_u32 v5, vcc_lo, s10, v5
	s_wait_alu 0xfffd
	s_delay_alu instid0(VALU_DEP_2)
	v_add_co_ci_u32_e64 v6, null, s11, v6, vcc_lo
	global_load_b64 v[10:11], v[5:6], off
	v_cmpx_gt_i32_e64 s3, v3
	s_wait_alu 0xfffe
	s_xor_b32 s22, exec_lo, s22
	s_cbranch_execz .LBB13_42
; %bb.41:                               ;   in Loop: Header=BB13_3 Depth=1
	s_lshl_b64 s[30:31], s[24:25], 3
	s_wait_alu 0xfffe
	v_add_co_u32 v5, vcc_lo, v5, s30
	s_wait_alu 0xfffd
	v_add_co_ci_u32_e64 v6, null, s31, v6, vcc_lo
	global_load_b64 v[12:13], v[5:6], off
.LBB13_42:                              ;   in Loop: Header=BB13_3 Depth=1
	s_wait_alu 0xfffe
	s_or_b32 exec_lo, exec_lo, s22
.LBB13_43:                              ;   in Loop: Header=BB13_3 Depth=1
	s_wait_alu 0xfffe
	s_or_b32 exec_lo, exec_lo, s2
	v_cmp_ge_i64_e32 vcc_lo, s[4:5], v[8:9]
	s_wait_loadcnt 0x0
	s_wait_alu 0xfffd
	v_dual_cndmask_b32 v14, 0, v10 :: v_dual_add_nc_u32 v5, 1, v8
	s_delay_alu instid0(VALU_DEP_1) | instskip(SKIP_1) | instid1(VALU_DEP_2)
	v_ashrrev_i32_e32 v6, 31, v5
	v_cndmask_b32_e32 v15, 0, v11, vcc_lo
	v_cmp_ge_i64_e64 s2, s[4:5], v[5:6]
	s_wait_alu 0xf1ff
	s_delay_alu instid0(VALU_DEP_1)
	v_cndmask_b32_e64 v11, 0, v13, s2
	v_cndmask_b32_e64 v10, 0, v12, s2
.LBB13_44:                              ;   in Loop: Header=BB13_3 Depth=1
	s_wait_alu 0xfffe
	s_or_b32 exec_lo, exec_lo, s19
	s_delay_alu instid0(SALU_CYCLE_1)
	s_mov_b32 s2, exec_lo
	v_cmpx_gt_i32_e64 s3, v20
	s_cbranch_execz .LBB13_2
; %bb.45:                               ;   in Loop: Header=BB13_3 Depth=1
	v_ashrrev_i32_e32 v5, 31, v4
	s_mov_b32 s19, exec_lo
	s_delay_alu instid0(VALU_DEP_1) | instskip(SKIP_1) | instid1(VALU_DEP_2)
	v_lshlrev_b64_e32 v[3:4], 3, v[4:5]
	v_add_nc_u32_e32 v5, 1, v20
	v_add_co_u32 v3, vcc_lo, s14, v3
	s_wait_alu 0xfffd
	s_delay_alu instid0(VALU_DEP_3)
	v_add_co_ci_u32_e64 v4, null, s15, v4, vcc_lo
	global_store_b64 v[3:4], v[14:15], off
	v_cmpx_gt_i32_e64 s3, v5
	s_wait_alu 0xfffe
	s_xor_b32 s19, exec_lo, s19
	s_cbranch_execz .LBB13_2
; %bb.46:                               ;   in Loop: Header=BB13_3 Depth=1
	s_lshl_b64 s[30:31], s[26:27], 3
	s_wait_alu 0xfffe
	v_add_co_u32 v3, vcc_lo, v3, s30
	s_wait_alu 0xfffd
	v_add_co_ci_u32_e64 v4, null, s31, v4, vcc_lo
	global_store_b64 v[3:4], v[10:11], off
	s_branch .LBB13_2
.LBB13_47:
	s_endpgm
	.section	.rodata,"a",@progbits
	.p2align	6, 0x0
	.amdhsa_kernel _ZN2at6native16triu_tril_kernelIliLb0ELi2ELb0EEEvNS_4cuda6detail10TensorInfoIT_T0_EENS4_IKS5_S6_EEllS6_
		.amdhsa_group_segment_fixed_size 0
		.amdhsa_private_segment_fixed_size 0
		.amdhsa_kernarg_size 712
		.amdhsa_user_sgpr_count 2
		.amdhsa_user_sgpr_dispatch_ptr 0
		.amdhsa_user_sgpr_queue_ptr 0
		.amdhsa_user_sgpr_kernarg_segment_ptr 1
		.amdhsa_user_sgpr_dispatch_id 0
		.amdhsa_user_sgpr_private_segment_size 0
		.amdhsa_wavefront_size32 1
		.amdhsa_uses_dynamic_stack 0
		.amdhsa_enable_private_segment 0
		.amdhsa_system_sgpr_workgroup_id_x 1
		.amdhsa_system_sgpr_workgroup_id_y 0
		.amdhsa_system_sgpr_workgroup_id_z 0
		.amdhsa_system_sgpr_workgroup_info 0
		.amdhsa_system_vgpr_workitem_id 0
		.amdhsa_next_free_vgpr 26
		.amdhsa_next_free_sgpr 68
		.amdhsa_reserve_vcc 1
		.amdhsa_float_round_mode_32 0
		.amdhsa_float_round_mode_16_64 0
		.amdhsa_float_denorm_mode_32 3
		.amdhsa_float_denorm_mode_16_64 3
		.amdhsa_fp16_overflow 0
		.amdhsa_workgroup_processor_mode 1
		.amdhsa_memory_ordered 1
		.amdhsa_forward_progress 1
		.amdhsa_inst_pref_size 65
		.amdhsa_round_robin_scheduling 0
		.amdhsa_exception_fp_ieee_invalid_op 0
		.amdhsa_exception_fp_denorm_src 0
		.amdhsa_exception_fp_ieee_div_zero 0
		.amdhsa_exception_fp_ieee_overflow 0
		.amdhsa_exception_fp_ieee_underflow 0
		.amdhsa_exception_fp_ieee_inexact 0
		.amdhsa_exception_int_div_zero 0
	.end_amdhsa_kernel
	.section	.text._ZN2at6native16triu_tril_kernelIliLb0ELi2ELb0EEEvNS_4cuda6detail10TensorInfoIT_T0_EENS4_IKS5_S6_EEllS6_,"axG",@progbits,_ZN2at6native16triu_tril_kernelIliLb0ELi2ELb0EEEvNS_4cuda6detail10TensorInfoIT_T0_EENS4_IKS5_S6_EEllS6_,comdat
.Lfunc_end13:
	.size	_ZN2at6native16triu_tril_kernelIliLb0ELi2ELb0EEEvNS_4cuda6detail10TensorInfoIT_T0_EENS4_IKS5_S6_EEllS6_, .Lfunc_end13-_ZN2at6native16triu_tril_kernelIliLb0ELi2ELb0EEEvNS_4cuda6detail10TensorInfoIT_T0_EENS4_IKS5_S6_EEllS6_
                                        ; -- End function
	.set _ZN2at6native16triu_tril_kernelIliLb0ELi2ELb0EEEvNS_4cuda6detail10TensorInfoIT_T0_EENS4_IKS5_S6_EEllS6_.num_vgpr, 26
	.set _ZN2at6native16triu_tril_kernelIliLb0ELi2ELb0EEEvNS_4cuda6detail10TensorInfoIT_T0_EENS4_IKS5_S6_EEllS6_.num_agpr, 0
	.set _ZN2at6native16triu_tril_kernelIliLb0ELi2ELb0EEEvNS_4cuda6detail10TensorInfoIT_T0_EENS4_IKS5_S6_EEllS6_.numbered_sgpr, 68
	.set _ZN2at6native16triu_tril_kernelIliLb0ELi2ELb0EEEvNS_4cuda6detail10TensorInfoIT_T0_EENS4_IKS5_S6_EEllS6_.num_named_barrier, 0
	.set _ZN2at6native16triu_tril_kernelIliLb0ELi2ELb0EEEvNS_4cuda6detail10TensorInfoIT_T0_EENS4_IKS5_S6_EEllS6_.private_seg_size, 0
	.set _ZN2at6native16triu_tril_kernelIliLb0ELi2ELb0EEEvNS_4cuda6detail10TensorInfoIT_T0_EENS4_IKS5_S6_EEllS6_.uses_vcc, 1
	.set _ZN2at6native16triu_tril_kernelIliLb0ELi2ELb0EEEvNS_4cuda6detail10TensorInfoIT_T0_EENS4_IKS5_S6_EEllS6_.uses_flat_scratch, 0
	.set _ZN2at6native16triu_tril_kernelIliLb0ELi2ELb0EEEvNS_4cuda6detail10TensorInfoIT_T0_EENS4_IKS5_S6_EEllS6_.has_dyn_sized_stack, 0
	.set _ZN2at6native16triu_tril_kernelIliLb0ELi2ELb0EEEvNS_4cuda6detail10TensorInfoIT_T0_EENS4_IKS5_S6_EEllS6_.has_recursion, 0
	.set _ZN2at6native16triu_tril_kernelIliLb0ELi2ELb0EEEvNS_4cuda6detail10TensorInfoIT_T0_EENS4_IKS5_S6_EEllS6_.has_indirect_call, 0
	.section	.AMDGPU.csdata,"",@progbits
; Kernel info:
; codeLenInByte = 8304
; TotalNumSgprs: 70
; NumVgprs: 26
; ScratchSize: 0
; MemoryBound: 0
; FloatMode: 240
; IeeeMode: 1
; LDSByteSize: 0 bytes/workgroup (compile time only)
; SGPRBlocks: 0
; VGPRBlocks: 3
; NumSGPRsForWavesPerEU: 70
; NumVGPRsForWavesPerEU: 26
; Occupancy: 16
; WaveLimiterHint : 1
; COMPUTE_PGM_RSRC2:SCRATCH_EN: 0
; COMPUTE_PGM_RSRC2:USER_SGPR: 2
; COMPUTE_PGM_RSRC2:TRAP_HANDLER: 0
; COMPUTE_PGM_RSRC2:TGID_X_EN: 1
; COMPUTE_PGM_RSRC2:TGID_Y_EN: 0
; COMPUTE_PGM_RSRC2:TGID_Z_EN: 0
; COMPUTE_PGM_RSRC2:TIDIG_COMP_CNT: 0
	.section	.text._ZN2at6native16triu_tril_kernelIllLb0ELi2ELb1EEEvNS_4cuda6detail10TensorInfoIT_T0_EENS4_IKS5_S6_EEllS6_,"axG",@progbits,_ZN2at6native16triu_tril_kernelIllLb0ELi2ELb1EEEvNS_4cuda6detail10TensorInfoIT_T0_EENS4_IKS5_S6_EEllS6_,comdat
	.protected	_ZN2at6native16triu_tril_kernelIllLb0ELi2ELb1EEEvNS_4cuda6detail10TensorInfoIT_T0_EENS4_IKS5_S6_EEllS6_ ; -- Begin function _ZN2at6native16triu_tril_kernelIllLb0ELi2ELb1EEEvNS_4cuda6detail10TensorInfoIT_T0_EENS4_IKS5_S6_EEllS6_
	.globl	_ZN2at6native16triu_tril_kernelIllLb0ELi2ELb1EEEvNS_4cuda6detail10TensorInfoIT_T0_EENS4_IKS5_S6_EEllS6_
	.p2align	8
	.type	_ZN2at6native16triu_tril_kernelIllLb0ELi2ELb1EEEvNS_4cuda6detail10TensorInfoIT_T0_EENS4_IKS5_S6_EEllS6_,@function
_ZN2at6native16triu_tril_kernelIllLb0ELi2ELb1EEEvNS_4cuda6detail10TensorInfoIT_T0_EENS4_IKS5_S6_EEllS6_: ; @_ZN2at6native16triu_tril_kernelIllLb0ELi2ELb1EEEvNS_4cuda6detail10TensorInfoIT_T0_EENS4_IKS5_S6_EEllS6_
; %bb.0:
	s_clause 0x1
	s_load_b32 s2, s[0:1], 0x364
	s_load_b128 s[4:7], s[0:1], 0x340
	v_mov_b32_e32 v2, 0
	s_mov_b32 s3, exec_lo
	s_delay_alu instid0(VALU_DEP_1)
	v_mov_b32_e32 v1, v2
	s_wait_kmcnt 0x0
	s_and_b32 s2, s2, 0xffff
	s_delay_alu instid0(VALU_DEP_1) | instid1(SALU_CYCLE_1)
	v_mad_co_u64_u32 v[0:1], null, s2, ttmp9, v[0:1]
	s_delay_alu instid0(VALU_DEP_1) | instskip(NEXT) | instid1(VALU_DEP_1)
	v_lshlrev_b64_e32 v[0:1], 1, v[0:1]
	v_cmpx_gt_i64_e64 s[6:7], v[0:1]
	s_cbranch_execz .LBB14_43
; %bb.1:
	s_load_b32 s22, s[0:1], 0x338
	s_add_nc_u64 s[12:13], s[0:1], 0x358
	s_clause 0x1
	s_load_b64 s[8:9], s[0:1], 0x350
	s_load_b64 s[10:11], s[0:1], 0x0
	s_add_nc_u64 s[28:29], s[0:1], 0x1a0
	s_load_b32 s3, s[12:13], 0x0
	s_movk_i32 s18, 0xffe0
	s_add_nc_u64 s[16:17], s[0:1], 0xb8
	s_mov_b32 s19, -1
	s_add_nc_u64 s[34:35], s[0:1], 0x190
	s_mov_b32 s65, 0
	s_wait_kmcnt 0x0
	s_add_co_i32 s14, s22, -2
	v_cvt_f32_u32_e32 v3, s8
	s_ashr_i32 s15, s14, 31
	s_add_co_i32 s20, s22, -3
	s_lshl_b64 s[12:13], s[14:15], 3
	s_ashr_i32 s23, s22, 31
	s_add_nc_u64 s[12:13], s[28:29], s[12:13]
	v_rcp_iflag_f32_e32 v3, v3
	s_load_b64 s[12:13], s[12:13], 0x8
	s_mul_i32 s24, s3, s2
	s_and_b32 s25, s20, 3
	s_lshl_b64 s[2:3], s[22:23], 3
	s_ashr_i32 s21, s20, 31
	s_and_b32 s14, s14, 3
	s_lshl_b32 s62, s24, 1
	s_cmp_lg_u32 s25, 3
	v_cmp_gt_i64_e64 s33, s[22:23], 2
	s_cselect_b32 s63, -1, 0
	s_cmp_gt_u32 s20, 2
	s_wait_alu 0xfffe
	s_add_nc_u64 s[22:23], s[0:1], s[2:3]
	s_add_nc_u64 s[24:25], s[28:29], s[2:3]
	s_cselect_b32 s64, -1, 0
	s_lshl_b64 s[2:3], s[20:21], 3
	s_mov_b32 s15, 0
	s_wait_alu 0xfffe
	s_add_nc_u64 s[30:31], s[0:1], s[2:3]
	s_add_nc_u64 s[2:3], s[28:29], s[2:3]
	s_mov_b64 s[26:27], s[14:15]
	s_add_nc_u64 s[28:29], s[30:31], 0xd0
	s_wait_kmcnt 0x0
	v_cvt_f32_u32_e32 v4, s12
	s_wait_alu 0xfffe
	s_add_nc_u64 s[30:31], s[2:3], 8
	s_ashr_i32 s36, s9, 31
	s_delay_alu instid0(VALU_DEP_1) | instskip(NEXT) | instid1(TRANS32_DEP_1)
	v_rcp_iflag_f32_e32 v4, v4
	v_dual_mul_f32 v3, 0x4f7ffffe, v3 :: v_dual_mul_f32 v4, 0x4f7ffffe, v4
	s_delay_alu instid0(VALU_DEP_1) | instskip(NEXT) | instid1(VALU_DEP_2)
	v_cvt_u32_f32_e32 v20, v3
	v_cvt_u32_f32_e32 v21, v4
	s_branch .LBB14_3
.LBB14_2:                               ;   in Loop: Header=BB14_3 Depth=1
	s_wait_alu 0xfffe
	s_or_b32 exec_lo, exec_lo, s37
	v_add_co_u32 v0, vcc_lo, v0, s62
	s_wait_alu 0xfffd
	v_add_co_ci_u32_e64 v1, null, 0, v1, vcc_lo
	s_delay_alu instid0(VALU_DEP_1) | instskip(SKIP_1) | instid1(SALU_CYCLE_1)
	v_cmp_le_i64_e32 vcc_lo, s[6:7], v[0:1]
	s_or_b32 s65, vcc_lo, s65
	s_and_not1_b32 exec_lo, exec_lo, s65
	s_cbranch_execz .LBB14_43
.LBB14_3:                               ; =>This Loop Header: Depth=1
                                        ;     Child Loop BB14_17 Depth 2
                                        ;     Child Loop BB14_22 Depth 2
	v_or_b32_e32 v3, s9, v1
                                        ; implicit-def: $vgpr6_vgpr7
	s_mov_b32 s0, exec_lo
	s_delay_alu instid0(VALU_DEP_1)
	v_cmpx_ne_u64_e32 0, v[2:3]
	s_wait_alu 0xfffe
	s_xor_b32 s1, exec_lo, s0
	s_cbranch_execz .LBB14_5
; %bb.4:                                ;   in Loop: Header=BB14_3 Depth=1
	s_mov_b32 s37, s36
	v_ashrrev_i32_e32 v9, 31, v1
	s_wait_alu 0xfffe
	s_add_nc_u64 s[2:3], s[8:9], s[36:37]
	s_wait_alu 0xfffe
	s_xor_b64 s[2:3], s[2:3], s[36:37]
	v_add_co_u32 v3, vcc_lo, v0, v9
	s_wait_alu 0xfffe
	s_cvt_f32_u32 s0, s2
	s_cvt_f32_u32 s14, s3
	s_sub_nc_u64 s[40:41], 0, s[2:3]
	s_wait_alu 0xfffd
	v_add_co_ci_u32_e64 v4, null, v1, v9, vcc_lo
	s_wait_alu 0xfffe
	s_fmamk_f32 s0, s14, 0x4f800000, s0
	v_xor_b32_e32 v10, v3, v9
	s_delay_alu instid0(VALU_DEP_2) | instskip(SKIP_2) | instid1(TRANS32_DEP_1)
	v_xor_b32_e32 v11, v4, v9
	s_wait_alu 0xfffe
	v_s_rcp_f32 s0, s0
	s_mul_f32 s0, s0, 0x5f7ffffc
	s_wait_alu 0xfffe
	s_delay_alu instid0(SALU_CYCLE_2) | instskip(SKIP_1) | instid1(SALU_CYCLE_2)
	s_mul_f32 s14, s0, 0x2f800000
	s_wait_alu 0xfffe
	s_trunc_f32 s14, s14
	s_wait_alu 0xfffe
	s_delay_alu instid0(SALU_CYCLE_2) | instskip(SKIP_2) | instid1(SALU_CYCLE_1)
	s_fmamk_f32 s0, s14, 0xcf800000, s0
	s_cvt_u32_f32 s39, s14
	s_wait_alu 0xfffe
	s_cvt_u32_f32 s38, s0
	s_wait_alu 0xfffe
	s_delay_alu instid0(SALU_CYCLE_2) | instskip(NEXT) | instid1(SALU_CYCLE_1)
	s_mul_u64 s[42:43], s[40:41], s[38:39]
	s_mul_hi_u32 s45, s38, s43
	s_mul_i32 s44, s38, s43
	s_mul_hi_u32 s14, s38, s42
	s_mul_i32 s37, s39, s42
	s_wait_alu 0xfffe
	s_add_nc_u64 s[44:45], s[14:15], s[44:45]
	s_mul_hi_u32 s0, s39, s42
	s_mul_hi_u32 s46, s39, s43
	s_wait_alu 0xfffe
	s_add_co_u32 s14, s44, s37
	s_add_co_ci_u32 s14, s45, s0
	s_mul_i32 s42, s39, s43
	s_add_co_ci_u32 s43, s46, 0
	s_wait_alu 0xfffe
	s_add_nc_u64 s[42:43], s[14:15], s[42:43]
	s_delay_alu instid0(SALU_CYCLE_1)
	s_add_co_u32 s38, s38, s42
	s_cselect_b32 s0, -1, 0
	s_wait_alu 0xfffe
	s_cmp_lg_u32 s0, 0
	s_add_co_ci_u32 s39, s39, s43
	s_wait_alu 0xfffe
	s_mul_u64 s[40:41], s[40:41], s[38:39]
	s_delay_alu instid0(SALU_CYCLE_1)
	s_mul_hi_u32 s43, s38, s41
	s_mul_i32 s42, s38, s41
	s_mul_hi_u32 s14, s38, s40
	s_mul_i32 s37, s39, s40
	s_wait_alu 0xfffe
	s_add_nc_u64 s[42:43], s[14:15], s[42:43]
	s_mul_hi_u32 s0, s39, s40
	s_mul_hi_u32 s44, s39, s41
	s_add_co_u32 s14, s42, s37
	s_wait_alu 0xfffe
	s_add_co_ci_u32 s14, s43, s0
	s_mul_i32 s40, s39, s41
	s_add_co_ci_u32 s41, s44, 0
	s_wait_alu 0xfffe
	s_add_nc_u64 s[40:41], s[14:15], s[40:41]
	s_delay_alu instid0(SALU_CYCLE_1)
	s_add_co_u32 s0, s38, s40
	s_cselect_b32 s14, -1, 0
	s_wait_alu 0xfffe
	v_mul_hi_u32 v12, v10, s0
	s_cmp_lg_u32 s14, 0
	v_mad_co_u64_u32 v[5:6], null, v11, s0, 0
	s_add_co_ci_u32 s14, s39, s41
	s_wait_alu 0xfffe
	v_mad_co_u64_u32 v[3:4], null, v10, s14, 0
	v_mad_co_u64_u32 v[7:8], null, v11, s14, 0
	s_delay_alu instid0(VALU_DEP_2) | instskip(SKIP_1) | instid1(VALU_DEP_3)
	v_add_co_u32 v3, vcc_lo, v12, v3
	s_wait_alu 0xfffd
	v_add_co_ci_u32_e64 v4, null, 0, v4, vcc_lo
	s_delay_alu instid0(VALU_DEP_2) | instskip(SKIP_1) | instid1(VALU_DEP_2)
	v_add_co_u32 v3, vcc_lo, v3, v5
	s_wait_alu 0xfffd
	v_add_co_ci_u32_e32 v3, vcc_lo, v4, v6, vcc_lo
	s_wait_alu 0xfffd
	v_add_co_ci_u32_e32 v4, vcc_lo, 0, v8, vcc_lo
	s_delay_alu instid0(VALU_DEP_2) | instskip(SKIP_1) | instid1(VALU_DEP_2)
	v_add_co_u32 v5, vcc_lo, v3, v7
	s_wait_alu 0xfffd
	v_add_co_ci_u32_e64 v6, null, 0, v4, vcc_lo
	s_delay_alu instid0(VALU_DEP_2) | instskip(SKIP_1) | instid1(VALU_DEP_3)
	v_mul_lo_u32 v7, s3, v5
	v_mad_co_u64_u32 v[3:4], null, s2, v5, 0
	v_mul_lo_u32 v8, s2, v6
	s_delay_alu instid0(VALU_DEP_2) | instskip(NEXT) | instid1(VALU_DEP_2)
	v_sub_co_u32 v3, vcc_lo, v10, v3
	v_add3_u32 v4, v4, v8, v7
	v_add_co_u32 v8, s0, v5, 2
	s_wait_alu 0xf1ff
	v_add_co_ci_u32_e64 v10, null, 0, v6, s0
	s_delay_alu instid0(VALU_DEP_3) | instskip(SKIP_3) | instid1(VALU_DEP_3)
	v_sub_nc_u32_e32 v7, v11, v4
	v_sub_co_u32 v12, s0, v3, s2
	s_wait_alu 0xfffd
	v_sub_co_ci_u32_e64 v4, null, v11, v4, vcc_lo
	v_subrev_co_ci_u32_e64 v7, null, s3, v7, vcc_lo
	s_delay_alu instid0(VALU_DEP_3) | instskip(SKIP_1) | instid1(VALU_DEP_2)
	v_cmp_le_u32_e32 vcc_lo, s2, v12
	s_wait_alu 0xf1ff
	v_subrev_co_ci_u32_e64 v7, null, 0, v7, s0
	s_wait_alu 0xfffd
	v_cndmask_b32_e64 v11, 0, -1, vcc_lo
	s_delay_alu instid0(VALU_DEP_2)
	v_cmp_le_u32_e32 vcc_lo, s3, v7
	s_wait_alu 0xfffd
	v_cndmask_b32_e64 v12, 0, -1, vcc_lo
	v_cmp_le_u32_e32 vcc_lo, s2, v3
	s_wait_alu 0xfffd
	v_cndmask_b32_e64 v3, 0, -1, vcc_lo
	;; [unrolled: 3-line block ×3, first 2 shown]
	v_cmp_eq_u32_e32 vcc_lo, s3, v7
	s_wait_alu 0xfffd
	v_cndmask_b32_e32 v7, v12, v11, vcc_lo
	v_add_co_u32 v11, vcc_lo, v5, 1
	s_wait_alu 0xfffd
	v_add_co_ci_u32_e64 v12, null, 0, v6, vcc_lo
	v_cmp_eq_u32_e32 vcc_lo, s3, v4
	s_wait_alu 0xfffd
	v_cndmask_b32_e32 v3, v13, v3, vcc_lo
	v_cmp_ne_u32_e32 vcc_lo, 0, v7
	v_xor_b32_e32 v7, s36, v9
	s_wait_alu 0xfffd
	v_cndmask_b32_e32 v4, v12, v10, vcc_lo
	v_cmp_ne_u32_e64 s0, 0, v3
	v_cndmask_b32_e32 v3, v11, v8, vcc_lo
	s_wait_alu 0xf1ff
	s_delay_alu instid0(VALU_DEP_2) | instskip(NEXT) | instid1(VALU_DEP_2)
	v_cndmask_b32_e64 v4, v6, v4, s0
	v_cndmask_b32_e64 v3, v5, v3, s0
	s_delay_alu instid0(VALU_DEP_2) | instskip(NEXT) | instid1(VALU_DEP_2)
	v_xor_b32_e32 v4, v4, v7
	v_xor_b32_e32 v3, v3, v7
	s_delay_alu instid0(VALU_DEP_1) | instskip(SKIP_1) | instid1(VALU_DEP_3)
	v_sub_co_u32 v6, vcc_lo, v3, v7
	s_wait_alu 0xfffd
	v_sub_co_ci_u32_e64 v7, null, v4, v7, vcc_lo
.LBB14_5:                               ;   in Loop: Header=BB14_3 Depth=1
	s_wait_alu 0xfffe
	s_and_not1_saveexec_b32 s0, s1
	s_cbranch_execz .LBB14_7
; %bb.6:                                ;   in Loop: Header=BB14_3 Depth=1
	s_sub_co_i32 s1, 0, s8
	v_mov_b32_e32 v7, v2
	s_wait_alu 0xfffe
	v_mul_lo_u32 v3, s1, v20
	s_delay_alu instid0(VALU_DEP_1) | instskip(NEXT) | instid1(VALU_DEP_1)
	v_mul_hi_u32 v3, v20, v3
	v_add_nc_u32_e32 v3, v20, v3
	s_delay_alu instid0(VALU_DEP_1) | instskip(NEXT) | instid1(VALU_DEP_1)
	v_mul_hi_u32 v3, v0, v3
	v_mul_lo_u32 v4, v3, s8
	s_delay_alu instid0(VALU_DEP_1) | instskip(NEXT) | instid1(VALU_DEP_1)
	v_sub_nc_u32_e32 v4, v0, v4
	v_subrev_nc_u32_e32 v6, s8, v4
	v_cmp_le_u32_e32 vcc_lo, s8, v4
	s_wait_alu 0xfffd
	s_delay_alu instid0(VALU_DEP_2) | instskip(NEXT) | instid1(VALU_DEP_1)
	v_dual_cndmask_b32 v4, v4, v6 :: v_dual_add_nc_u32 v5, 1, v3
	v_cndmask_b32_e32 v3, v3, v5, vcc_lo
	s_delay_alu instid0(VALU_DEP_2) | instskip(NEXT) | instid1(VALU_DEP_2)
	v_cmp_le_u32_e32 vcc_lo, s8, v4
	v_add_nc_u32_e32 v5, 1, v3
	s_wait_alu 0xfffd
	s_delay_alu instid0(VALU_DEP_1)
	v_cndmask_b32_e32 v6, v3, v5, vcc_lo
.LBB14_7:                               ;   in Loop: Header=BB14_3 Depth=1
	s_wait_alu 0xfffe
	s_or_b32 exec_lo, exec_lo, s0
	v_or_b32_e32 v3, s13, v7
                                        ; implicit-def: $vgpr8_vgpr9
	s_mov_b32 s0, exec_lo
	s_delay_alu instid0(VALU_DEP_1)
	v_cmpx_ne_u64_e32 0, v[2:3]
	s_wait_alu 0xfffe
	s_xor_b32 s1, exec_lo, s0
	s_cbranch_execz .LBB14_9
; %bb.8:                                ;   in Loop: Header=BB14_3 Depth=1
	s_ashr_i32 s2, s13, 31
	v_ashrrev_i32_e32 v5, 31, v7
	s_wait_alu 0xfffe
	s_mov_b32 s3, s2
	s_wait_alu 0xfffe
	s_add_nc_u64 s[38:39], s[12:13], s[2:3]
	v_add_co_u32 v3, vcc_lo, v6, v5
	s_wait_alu 0xfffe
	s_xor_b64 s[38:39], s[38:39], s[2:3]
	s_wait_alu 0xfffd
	v_add_co_ci_u32_e64 v4, null, v7, v5, vcc_lo
	s_wait_alu 0xfffe
	s_cvt_f32_u32 s0, s38
	s_cvt_f32_u32 s3, s39
	s_sub_nc_u64 s[42:43], 0, s[38:39]
	v_xor_b32_e32 v12, v3, v5
	v_xor_b32_e32 v13, v4, v5
	s_wait_alu 0xfffe
	s_fmamk_f32 s0, s3, 0x4f800000, s0
	v_xor_b32_e32 v5, s2, v5
	s_wait_alu 0xfffe
	s_delay_alu instid0(SALU_CYCLE_1) | instskip(NEXT) | instid1(TRANS32_DEP_1)
	v_s_rcp_f32 s0, s0
	s_mul_f32 s0, s0, 0x5f7ffffc
	s_wait_alu 0xfffe
	s_delay_alu instid0(SALU_CYCLE_2) | instskip(SKIP_1) | instid1(SALU_CYCLE_2)
	s_mul_f32 s3, s0, 0x2f800000
	s_wait_alu 0xfffe
	s_trunc_f32 s3, s3
	s_wait_alu 0xfffe
	s_delay_alu instid0(SALU_CYCLE_2) | instskip(SKIP_2) | instid1(SALU_CYCLE_1)
	s_fmamk_f32 s0, s3, 0xcf800000, s0
	s_cvt_u32_f32 s41, s3
	s_wait_alu 0xfffe
	s_cvt_u32_f32 s40, s0
	s_delay_alu instid0(SALU_CYCLE_3)
	s_mul_u64 s[44:45], s[42:43], s[40:41]
	s_wait_alu 0xfffe
	s_mul_hi_u32 s47, s40, s45
	s_mul_i32 s46, s40, s45
	s_mul_hi_u32 s14, s40, s44
	s_mul_i32 s3, s41, s44
	s_wait_alu 0xfffe
	s_add_nc_u64 s[46:47], s[14:15], s[46:47]
	s_mul_hi_u32 s0, s41, s44
	s_mul_hi_u32 s37, s41, s45
	s_wait_alu 0xfffe
	s_add_co_u32 s3, s46, s3
	s_add_co_ci_u32 s14, s47, s0
	s_mul_i32 s44, s41, s45
	s_add_co_ci_u32 s45, s37, 0
	s_wait_alu 0xfffe
	s_add_nc_u64 s[44:45], s[14:15], s[44:45]
	s_wait_alu 0xfffe
	s_add_co_u32 s40, s40, s44
	s_cselect_b32 s0, -1, 0
	s_wait_alu 0xfffe
	s_cmp_lg_u32 s0, 0
	s_add_co_ci_u32 s41, s41, s45
	s_delay_alu instid0(SALU_CYCLE_1) | instskip(NEXT) | instid1(SALU_CYCLE_1)
	s_mul_u64 s[42:43], s[42:43], s[40:41]
	s_mul_hi_u32 s45, s40, s43
	s_mul_i32 s44, s40, s43
	s_mul_hi_u32 s14, s40, s42
	s_mul_i32 s3, s41, s42
	s_wait_alu 0xfffe
	s_add_nc_u64 s[44:45], s[14:15], s[44:45]
	s_mul_hi_u32 s0, s41, s42
	s_mul_hi_u32 s37, s41, s43
	s_wait_alu 0xfffe
	s_add_co_u32 s3, s44, s3
	s_add_co_ci_u32 s14, s45, s0
	s_mul_i32 s42, s41, s43
	s_add_co_ci_u32 s43, s37, 0
	s_wait_alu 0xfffe
	s_add_nc_u64 s[42:43], s[14:15], s[42:43]
	s_delay_alu instid0(SALU_CYCLE_1)
	s_add_co_u32 s0, s40, s42
	s_cselect_b32 s3, -1, 0
	s_wait_alu 0xfffe
	v_mul_hi_u32 v14, v12, s0
	s_cmp_lg_u32 s3, 0
	v_mad_co_u64_u32 v[8:9], null, v13, s0, 0
	s_add_co_ci_u32 s3, s41, s43
	s_wait_alu 0xfffe
	v_mad_co_u64_u32 v[3:4], null, v12, s3, 0
	v_mad_co_u64_u32 v[10:11], null, v13, s3, 0
	s_delay_alu instid0(VALU_DEP_2) | instskip(SKIP_1) | instid1(VALU_DEP_3)
	v_add_co_u32 v3, vcc_lo, v14, v3
	s_wait_alu 0xfffd
	v_add_co_ci_u32_e64 v4, null, 0, v4, vcc_lo
	s_delay_alu instid0(VALU_DEP_2) | instskip(SKIP_1) | instid1(VALU_DEP_2)
	v_add_co_u32 v3, vcc_lo, v3, v8
	s_wait_alu 0xfffd
	v_add_co_ci_u32_e32 v3, vcc_lo, v4, v9, vcc_lo
	s_wait_alu 0xfffd
	v_add_co_ci_u32_e32 v4, vcc_lo, 0, v11, vcc_lo
	s_delay_alu instid0(VALU_DEP_2) | instskip(SKIP_1) | instid1(VALU_DEP_2)
	v_add_co_u32 v8, vcc_lo, v3, v10
	s_wait_alu 0xfffd
	v_add_co_ci_u32_e64 v9, null, 0, v4, vcc_lo
	s_delay_alu instid0(VALU_DEP_2) | instskip(SKIP_1) | instid1(VALU_DEP_3)
	v_mul_lo_u32 v10, s39, v8
	v_mad_co_u64_u32 v[3:4], null, s38, v8, 0
	v_mul_lo_u32 v11, s38, v9
	s_delay_alu instid0(VALU_DEP_2) | instskip(NEXT) | instid1(VALU_DEP_2)
	v_sub_co_u32 v3, vcc_lo, v12, v3
	v_add3_u32 v4, v4, v11, v10
	v_add_co_u32 v11, s0, v8, 2
	s_wait_alu 0xf1ff
	v_add_co_ci_u32_e64 v12, null, 0, v9, s0
	s_delay_alu instid0(VALU_DEP_3) | instskip(SKIP_3) | instid1(VALU_DEP_3)
	v_sub_nc_u32_e32 v10, v13, v4
	v_sub_co_u32 v14, s0, v3, s38
	s_wait_alu 0xfffd
	v_sub_co_ci_u32_e64 v4, null, v13, v4, vcc_lo
	v_subrev_co_ci_u32_e64 v10, null, s39, v10, vcc_lo
	s_delay_alu instid0(VALU_DEP_3) | instskip(SKIP_1) | instid1(VALU_DEP_2)
	v_cmp_le_u32_e32 vcc_lo, s38, v14
	s_wait_alu 0xf1ff
	v_subrev_co_ci_u32_e64 v10, null, 0, v10, s0
	s_wait_alu 0xfffd
	v_cndmask_b32_e64 v13, 0, -1, vcc_lo
	s_delay_alu instid0(VALU_DEP_2)
	v_cmp_le_u32_e32 vcc_lo, s39, v10
	s_wait_alu 0xfffd
	v_cndmask_b32_e64 v14, 0, -1, vcc_lo
	v_cmp_le_u32_e32 vcc_lo, s38, v3
	s_wait_alu 0xfffd
	v_cndmask_b32_e64 v3, 0, -1, vcc_lo
	;; [unrolled: 3-line block ×3, first 2 shown]
	v_cmp_eq_u32_e32 vcc_lo, s39, v10
	s_wait_alu 0xfffd
	v_cndmask_b32_e32 v10, v14, v13, vcc_lo
	v_add_co_u32 v13, vcc_lo, v8, 1
	s_wait_alu 0xfffd
	v_add_co_ci_u32_e64 v14, null, 0, v9, vcc_lo
	v_cmp_eq_u32_e32 vcc_lo, s39, v4
	s_wait_alu 0xfffd
	v_cndmask_b32_e32 v3, v15, v3, vcc_lo
	v_cmp_ne_u32_e32 vcc_lo, 0, v10
	s_delay_alu instid0(VALU_DEP_2) | instskip(SKIP_3) | instid1(VALU_DEP_1)
	v_cmp_ne_u32_e64 s0, 0, v3
	s_wait_alu 0xfffd
	v_dual_cndmask_b32 v4, v14, v12 :: v_dual_cndmask_b32 v3, v13, v11
	s_wait_alu 0xf1ff
	v_cndmask_b32_e64 v4, v9, v4, s0
	s_delay_alu instid0(VALU_DEP_2) | instskip(NEXT) | instid1(VALU_DEP_2)
	v_cndmask_b32_e64 v3, v8, v3, s0
	v_xor_b32_e32 v4, v4, v5
	s_delay_alu instid0(VALU_DEP_2) | instskip(NEXT) | instid1(VALU_DEP_1)
	v_xor_b32_e32 v3, v3, v5
	v_sub_co_u32 v8, vcc_lo, v3, v5
	s_wait_alu 0xfffd
	s_delay_alu instid0(VALU_DEP_3)
	v_sub_co_ci_u32_e64 v9, null, v4, v5, vcc_lo
.LBB14_9:                               ;   in Loop: Header=BB14_3 Depth=1
	s_wait_alu 0xfffe
	s_and_not1_saveexec_b32 s0, s1
	s_cbranch_execz .LBB14_11
; %bb.10:                               ;   in Loop: Header=BB14_3 Depth=1
	s_sub_co_i32 s1, 0, s12
	v_mov_b32_e32 v9, v2
	s_wait_alu 0xfffe
	v_mul_lo_u32 v3, s1, v21
	s_delay_alu instid0(VALU_DEP_1) | instskip(NEXT) | instid1(VALU_DEP_1)
	v_mul_hi_u32 v3, v21, v3
	v_add_nc_u32_e32 v3, v21, v3
	s_delay_alu instid0(VALU_DEP_1) | instskip(NEXT) | instid1(VALU_DEP_1)
	v_mul_hi_u32 v3, v6, v3
	v_mul_lo_u32 v4, v3, s12
	v_add_nc_u32_e32 v5, 1, v3
	s_delay_alu instid0(VALU_DEP_2) | instskip(NEXT) | instid1(VALU_DEP_1)
	v_sub_nc_u32_e32 v4, v6, v4
	v_subrev_nc_u32_e32 v8, s12, v4
	v_cmp_le_u32_e32 vcc_lo, s12, v4
	s_wait_alu 0xfffd
	s_delay_alu instid0(VALU_DEP_2) | instskip(NEXT) | instid1(VALU_DEP_1)
	v_dual_cndmask_b32 v4, v4, v8 :: v_dual_cndmask_b32 v3, v3, v5
	v_cmp_le_u32_e32 vcc_lo, s12, v4
	s_delay_alu instid0(VALU_DEP_2) | instskip(SKIP_1) | instid1(VALU_DEP_1)
	v_add_nc_u32_e32 v5, 1, v3
	s_wait_alu 0xfffd
	v_cndmask_b32_e32 v8, v3, v5, vcc_lo
.LBB14_11:                              ;   in Loop: Header=BB14_3 Depth=1
	s_wait_alu 0xfffe
	s_or_b32 exec_lo, exec_lo, s0
	v_mul_lo_u32 v5, v7, s8
	v_mul_lo_u32 v12, v6, s9
	v_mad_co_u64_u32 v[3:4], null, v6, s8, 0
	v_mul_lo_u32 v13, v9, s12
	v_mul_lo_u32 v14, v8, s13
	v_mad_co_u64_u32 v[10:11], null, v8, s12, 0
	s_mov_b32 s37, exec_lo
	v_add3_u32 v5, v4, v12, v5
	v_sub_co_u32 v4, vcc_lo, v0, v3
	v_add3_u32 v11, v11, v14, v13
	s_wait_alu 0xfffd
	s_delay_alu instid0(VALU_DEP_3) | instskip(SKIP_3) | instid1(VALU_DEP_2)
	v_sub_co_ci_u32_e64 v5, null, v1, v5, vcc_lo
	v_sub_co_u32 v22, vcc_lo, v6, v10
	s_wait_alu 0xfffd
	v_sub_co_ci_u32_e64 v23, null, v7, v11, vcc_lo
	v_sub_co_u32 v6, vcc_lo, v4, v22
	s_wait_alu 0xfffd
	s_delay_alu instid0(VALU_DEP_2) | instskip(NEXT) | instid1(VALU_DEP_2)
	v_sub_co_ci_u32_e64 v7, null, v5, v23, vcc_lo
	v_add_co_u32 v10, vcc_lo, v6, 2
	s_wait_alu 0xfffd
	s_delay_alu instid0(VALU_DEP_2) | instskip(NEXT) | instid1(VALU_DEP_1)
	v_add_co_ci_u32_e64 v11, null, 0, v7, vcc_lo
	v_cmpx_lt_i64_e64 s[4:5], v[10:11]
	s_cbranch_execz .LBB14_2
; %bb.12:                               ;   in Loop: Header=BB14_3 Depth=1
	s_load_b128 s[0:3], s[22:23], 0xc0
	s_and_not1_b32 vcc_lo, exec_lo, s33
	s_wait_kmcnt 0x0
	v_mul_lo_u32 v3, s3, v4
	v_mul_lo_u32 v12, s2, v5
	v_mad_co_u64_u32 v[10:11], null, s2, v4, 0
	s_delay_alu instid0(VALU_DEP_1) | instskip(SKIP_2) | instid1(VALU_DEP_3)
	v_add3_u32 v11, v11, v12, v3
	v_mul_lo_u32 v3, s0, v23
	v_mul_lo_u32 v12, s1, v22
	v_mad_co_u64_u32 v[10:11], null, s0, v22, v[10:11]
	s_delay_alu instid0(VALU_DEP_1)
	v_add3_u32 v11, v12, v11, v3
	s_wait_alu 0xfffe
	s_cbranch_vccnz .LBB14_38
; %bb.13:                               ;   in Loop: Header=BB14_3 Depth=1
	s_mov_b64 s[38:39], s[26:27]
	s_mov_b64 s[40:41], s[30:31]
	s_and_not1_b32 vcc_lo, exec_lo, s63
	s_mov_b64 s[44:45], s[28:29]
	s_mov_b64 s[42:43], s[20:21]
	s_wait_alu 0xfffe
	s_cbranch_vccz .LBB14_17
.LBB14_14:                              ;   in Loop: Header=BB14_3 Depth=1
	s_and_not1_b32 vcc_lo, exec_lo, s64
	s_wait_alu 0xfffe
	s_cbranch_vccnz .LBB14_38
; %bb.15:                               ;   in Loop: Header=BB14_3 Depth=1
	s_lshl_b64 s[0:1], s[42:43], 3
	s_add_nc_u64 s[42:43], s[42:43], 1
	s_wait_alu 0xfffe
	s_add_nc_u64 s[38:39], s[16:17], s[0:1]
	s_add_nc_u64 s[40:41], s[34:35], s[0:1]
	s_branch .LBB14_22
.LBB14_16:                              ;   in Loop: Header=BB14_17 Depth=2
	s_wait_alu 0xfffe
	s_or_b32 exec_lo, exec_lo, s0
	s_load_b64 s[0:1], s[44:45], 0x0
	v_mul_lo_u32 v3, v13, s46
	v_mul_lo_u32 v16, v12, s47
	v_mad_co_u64_u32 v[14:15], null, v12, s46, 0
	s_add_nc_u64 s[38:39], s[38:39], -1
	s_add_nc_u64 s[42:43], s[42:43], -1
	;; [unrolled: 1-line block ×3, first 2 shown]
	s_wait_alu 0xfffe
	s_cmp_lg_u64 s[38:39], 0
	s_add_nc_u64 s[40:41], s[40:41], -8
	v_add3_u32 v3, v15, v16, v3
	v_sub_co_u32 v8, vcc_lo, v8, v14
	s_wait_alu 0xfffd
	s_delay_alu instid0(VALU_DEP_2) | instskip(SKIP_1) | instid1(VALU_DEP_2)
	v_sub_co_ci_u32_e64 v3, null, v9, v3, vcc_lo
	s_wait_kmcnt 0x0
	v_mul_lo_u32 v9, s1, v8
	s_delay_alu instid0(VALU_DEP_2) | instskip(SKIP_1) | instid1(VALU_DEP_1)
	v_mul_lo_u32 v3, s0, v3
	v_mad_co_u64_u32 v[10:11], null, s0, v8, v[10:11]
	v_add3_u32 v11, v9, v11, v3
	v_dual_mov_b32 v8, v12 :: v_dual_mov_b32 v9, v13
	s_cbranch_scc0 .LBB14_14
.LBB14_17:                              ;   Parent Loop BB14_3 Depth=1
                                        ; =>  This Inner Loop Header: Depth=2
	s_load_b64 s[46:47], s[40:41], 0x0
                                        ; implicit-def: $vgpr12_vgpr13
	s_mov_b32 s0, exec_lo
	s_wait_kmcnt 0x0
	v_or_b32_e32 v3, s47, v9
	s_delay_alu instid0(VALU_DEP_1)
	v_cmpx_ne_u64_e32 0, v[2:3]
	s_wait_alu 0xfffe
	s_xor_b32 s1, exec_lo, s0
	s_cbranch_execz .LBB14_19
; %bb.18:                               ;   in Loop: Header=BB14_17 Depth=2
	s_ashr_i32 s48, s47, 31
	v_ashrrev_i32_e32 v3, 31, v9
	s_wait_alu 0xfffe
	s_mov_b32 s49, s48
	s_wait_alu 0xfffe
	s_add_nc_u64 s[50:51], s[46:47], s[48:49]
	v_add_co_u32 v12, vcc_lo, v8, v3
	s_wait_alu 0xfffe
	s_xor_b64 s[50:51], s[50:51], s[48:49]
	s_wait_alu 0xfffd
	v_add_co_ci_u32_e64 v13, null, v9, v3, vcc_lo
	s_wait_alu 0xfffe
	s_cvt_f32_u32 s0, s50
	s_cvt_f32_u32 s14, s51
	s_sub_nc_u64 s[54:55], 0, s[50:51]
	v_xor_b32_e32 v18, v12, v3
	v_xor_b32_e32 v19, v13, v3
	s_wait_alu 0xfffe
	s_fmamk_f32 s0, s14, 0x4f800000, s0
	v_xor_b32_e32 v3, s48, v3
	s_wait_alu 0xfffe
	s_delay_alu instid0(SALU_CYCLE_1) | instskip(NEXT) | instid1(TRANS32_DEP_1)
	v_s_rcp_f32 s0, s0
	s_mul_f32 s0, s0, 0x5f7ffffc
	s_wait_alu 0xfffe
	s_delay_alu instid0(SALU_CYCLE_2) | instskip(SKIP_1) | instid1(SALU_CYCLE_2)
	s_mul_f32 s14, s0, 0x2f800000
	s_wait_alu 0xfffe
	s_trunc_f32 s14, s14
	s_wait_alu 0xfffe
	s_delay_alu instid0(SALU_CYCLE_2) | instskip(SKIP_2) | instid1(SALU_CYCLE_1)
	s_fmamk_f32 s0, s14, 0xcf800000, s0
	s_cvt_u32_f32 s53, s14
	s_wait_alu 0xfffe
	s_cvt_u32_f32 s52, s0
	s_wait_alu 0xfffe
	s_delay_alu instid0(SALU_CYCLE_2)
	s_mul_u64 s[56:57], s[54:55], s[52:53]
	s_wait_alu 0xfffe
	s_mul_hi_u32 s59, s52, s57
	s_mul_i32 s58, s52, s57
	s_mul_hi_u32 s14, s52, s56
	s_mul_i32 s49, s53, s56
	s_wait_alu 0xfffe
	s_add_nc_u64 s[58:59], s[14:15], s[58:59]
	s_mul_hi_u32 s0, s53, s56
	s_mul_hi_u32 s60, s53, s57
	s_wait_alu 0xfffe
	s_add_co_u32 s14, s58, s49
	s_add_co_ci_u32 s14, s59, s0
	s_mul_i32 s56, s53, s57
	s_add_co_ci_u32 s57, s60, 0
	s_wait_alu 0xfffe
	s_add_nc_u64 s[56:57], s[14:15], s[56:57]
	s_wait_alu 0xfffe
	s_add_co_u32 s52, s52, s56
	s_cselect_b32 s0, -1, 0
	s_wait_alu 0xfffe
	s_cmp_lg_u32 s0, 0
	s_add_co_ci_u32 s53, s53, s57
	s_wait_alu 0xfffe
	s_mul_u64 s[54:55], s[54:55], s[52:53]
	s_wait_alu 0xfffe
	s_mul_hi_u32 s57, s52, s55
	s_mul_i32 s56, s52, s55
	s_mul_hi_u32 s14, s52, s54
	s_mul_i32 s49, s53, s54
	s_wait_alu 0xfffe
	s_add_nc_u64 s[56:57], s[14:15], s[56:57]
	s_mul_hi_u32 s0, s53, s54
	s_mul_hi_u32 s58, s53, s55
	s_wait_alu 0xfffe
	s_add_co_u32 s14, s56, s49
	s_add_co_ci_u32 s14, s57, s0
	s_mul_i32 s54, s53, s55
	s_add_co_ci_u32 s55, s58, 0
	s_wait_alu 0xfffe
	s_add_nc_u64 s[54:55], s[14:15], s[54:55]
	s_wait_alu 0xfffe
	s_add_co_u32 s0, s52, s54
	s_cselect_b32 s14, -1, 0
	s_wait_alu 0xfffe
	v_mul_hi_u32 v24, v18, s0
	s_cmp_lg_u32 s14, 0
	v_mad_co_u64_u32 v[14:15], null, v19, s0, 0
	s_add_co_ci_u32 s14, s53, s55
	s_wait_alu 0xfffe
	v_mad_co_u64_u32 v[12:13], null, v18, s14, 0
	v_mad_co_u64_u32 v[16:17], null, v19, s14, 0
	s_delay_alu instid0(VALU_DEP_2) | instskip(SKIP_1) | instid1(VALU_DEP_3)
	v_add_co_u32 v12, vcc_lo, v24, v12
	s_wait_alu 0xfffd
	v_add_co_ci_u32_e64 v13, null, 0, v13, vcc_lo
	s_delay_alu instid0(VALU_DEP_2) | instskip(SKIP_1) | instid1(VALU_DEP_2)
	v_add_co_u32 v12, vcc_lo, v12, v14
	s_wait_alu 0xfffd
	v_add_co_ci_u32_e32 v12, vcc_lo, v13, v15, vcc_lo
	s_wait_alu 0xfffd
	v_add_co_ci_u32_e32 v13, vcc_lo, 0, v17, vcc_lo
	s_delay_alu instid0(VALU_DEP_2) | instskip(SKIP_1) | instid1(VALU_DEP_2)
	v_add_co_u32 v14, vcc_lo, v12, v16
	s_wait_alu 0xfffd
	v_add_co_ci_u32_e64 v15, null, 0, v13, vcc_lo
	s_delay_alu instid0(VALU_DEP_2) | instskip(SKIP_1) | instid1(VALU_DEP_3)
	v_mul_lo_u32 v16, s51, v14
	v_mad_co_u64_u32 v[12:13], null, s50, v14, 0
	v_mul_lo_u32 v17, s50, v15
	s_delay_alu instid0(VALU_DEP_2) | instskip(NEXT) | instid1(VALU_DEP_2)
	v_sub_co_u32 v12, vcc_lo, v18, v12
	v_add3_u32 v13, v13, v17, v16
	v_add_co_u32 v17, s0, v14, 2
	s_wait_alu 0xf1ff
	v_add_co_ci_u32_e64 v18, null, 0, v15, s0
	s_delay_alu instid0(VALU_DEP_3) | instskip(SKIP_3) | instid1(VALU_DEP_3)
	v_sub_nc_u32_e32 v16, v19, v13
	v_sub_co_u32 v24, s0, v12, s50
	s_wait_alu 0xfffd
	v_sub_co_ci_u32_e64 v13, null, v19, v13, vcc_lo
	v_subrev_co_ci_u32_e64 v16, null, s51, v16, vcc_lo
	s_delay_alu instid0(VALU_DEP_3) | instskip(SKIP_1) | instid1(VALU_DEP_2)
	v_cmp_le_u32_e32 vcc_lo, s50, v24
	s_wait_alu 0xf1ff
	v_subrev_co_ci_u32_e64 v16, null, 0, v16, s0
	s_wait_alu 0xfffd
	v_cndmask_b32_e64 v19, 0, -1, vcc_lo
	s_delay_alu instid0(VALU_DEP_2)
	v_cmp_le_u32_e32 vcc_lo, s51, v16
	s_wait_alu 0xfffd
	v_cndmask_b32_e64 v24, 0, -1, vcc_lo
	v_cmp_le_u32_e32 vcc_lo, s50, v12
	s_wait_alu 0xfffd
	v_cndmask_b32_e64 v12, 0, -1, vcc_lo
	;; [unrolled: 3-line block ×3, first 2 shown]
	v_cmp_eq_u32_e32 vcc_lo, s51, v16
	s_wait_alu 0xfffd
	v_cndmask_b32_e32 v16, v24, v19, vcc_lo
	v_add_co_u32 v19, vcc_lo, v14, 1
	s_wait_alu 0xfffd
	v_add_co_ci_u32_e64 v24, null, 0, v15, vcc_lo
	v_cmp_eq_u32_e32 vcc_lo, s51, v13
	s_wait_alu 0xfffd
	v_cndmask_b32_e32 v12, v25, v12, vcc_lo
	v_cmp_ne_u32_e32 vcc_lo, 0, v16
	s_wait_alu 0xfffd
	v_cndmask_b32_e32 v13, v24, v18, vcc_lo
	s_delay_alu instid0(VALU_DEP_3) | instskip(SKIP_2) | instid1(VALU_DEP_2)
	v_cmp_ne_u32_e64 s0, 0, v12
	v_cndmask_b32_e32 v12, v19, v17, vcc_lo
	s_wait_alu 0xf1ff
	v_cndmask_b32_e64 v13, v15, v13, s0
	s_delay_alu instid0(VALU_DEP_2) | instskip(NEXT) | instid1(VALU_DEP_2)
	v_cndmask_b32_e64 v12, v14, v12, s0
	v_xor_b32_e32 v13, v13, v3
	s_delay_alu instid0(VALU_DEP_2) | instskip(NEXT) | instid1(VALU_DEP_1)
	v_xor_b32_e32 v12, v12, v3
	v_sub_co_u32 v12, vcc_lo, v12, v3
	s_wait_alu 0xfffd
	s_delay_alu instid0(VALU_DEP_3)
	v_sub_co_ci_u32_e64 v13, null, v13, v3, vcc_lo
.LBB14_19:                              ;   in Loop: Header=BB14_17 Depth=2
	s_wait_alu 0xfffe
	s_and_not1_saveexec_b32 s0, s1
	s_cbranch_execz .LBB14_16
; %bb.20:                               ;   in Loop: Header=BB14_17 Depth=2
	v_cvt_f32_u32_e32 v3, s46
	s_sub_co_i32 s1, 0, s46
	s_delay_alu instid0(VALU_DEP_1) | instskip(NEXT) | instid1(TRANS32_DEP_1)
	v_rcp_iflag_f32_e32 v3, v3
	v_mul_f32_e32 v3, 0x4f7ffffe, v3
	s_delay_alu instid0(VALU_DEP_1) | instskip(SKIP_1) | instid1(VALU_DEP_1)
	v_cvt_u32_f32_e32 v3, v3
	s_wait_alu 0xfffe
	v_mul_lo_u32 v12, s1, v3
	s_delay_alu instid0(VALU_DEP_1) | instskip(NEXT) | instid1(VALU_DEP_1)
	v_mul_hi_u32 v12, v3, v12
	v_add_nc_u32_e32 v3, v3, v12
	s_delay_alu instid0(VALU_DEP_1) | instskip(NEXT) | instid1(VALU_DEP_1)
	v_mul_hi_u32 v3, v8, v3
	v_mul_lo_u32 v12, v3, s46
	v_add_nc_u32_e32 v13, 1, v3
	s_delay_alu instid0(VALU_DEP_2) | instskip(NEXT) | instid1(VALU_DEP_1)
	v_sub_nc_u32_e32 v12, v8, v12
	v_subrev_nc_u32_e32 v14, s46, v12
	v_cmp_le_u32_e32 vcc_lo, s46, v12
	s_wait_alu 0xfffd
	s_delay_alu instid0(VALU_DEP_2) | instskip(NEXT) | instid1(VALU_DEP_1)
	v_dual_cndmask_b32 v12, v12, v14 :: v_dual_cndmask_b32 v3, v3, v13
	v_cmp_le_u32_e32 vcc_lo, s46, v12
	s_delay_alu instid0(VALU_DEP_2) | instskip(SKIP_1) | instid1(VALU_DEP_1)
	v_add_nc_u32_e32 v13, 1, v3
	s_wait_alu 0xfffd
	v_dual_cndmask_b32 v12, v3, v13 :: v_dual_mov_b32 v13, v2
	s_branch .LBB14_16
.LBB14_21:                              ;   in Loop: Header=BB14_22 Depth=2
	s_wait_alu 0xfffe
	s_or_b32 exec_lo, exec_lo, s0
	v_mul_lo_u32 v3, v13, s44
	v_mul_lo_u32 v28, v12, s45
	v_mad_co_u64_u32 v[24:25], null, v12, s44, 0
	v_mul_lo_u32 v29, v15, s48
	v_mul_lo_u32 v30, v14, s49
	v_mad_co_u64_u32 v[26:27], null, v14, s48, 0
	s_load_b64 s[0:1], s[38:39], 0x0
	s_add_nc_u64 s[42:43], s[42:43], -4
	v_add3_u32 v3, v25, v28, v3
	v_sub_co_u32 v8, vcc_lo, v8, v24
	v_mul_lo_u32 v24, v17, s52
	v_add3_u32 v25, v27, v30, v29
	s_wait_alu 0xfffd
	v_sub_co_ci_u32_e64 v3, null, v9, v3, vcc_lo
	v_mul_lo_u32 v27, s47, v8
	v_mad_co_u64_u32 v[8:9], null, s46, v8, v[10:11]
	s_delay_alu instid0(VALU_DEP_3)
	v_mul_lo_u32 v3, s46, v3
	v_mul_lo_u32 v28, v16, s53
	v_mad_co_u64_u32 v[10:11], null, v16, s52, 0
	v_sub_co_u32 v12, vcc_lo, v12, v26
	s_wait_alu 0xfffd
	v_sub_co_ci_u32_e64 v13, null, v13, v25, vcc_lo
	v_add3_u32 v9, v27, v9, v3
	s_add_nc_u64 s[38:39], s[38:39], s[18:19]
	s_delay_alu instid0(VALU_DEP_4)
	v_add3_u32 v3, v11, v28, v24
	v_mul_lo_u32 v24, s51, v12
	v_mul_lo_u32 v13, s50, v13
	v_mad_co_u64_u32 v[8:9], null, s50, v12, v[8:9]
	v_sub_co_u32 v12, vcc_lo, v14, v10
	s_wait_alu 0xfffd
	v_sub_co_ci_u32_e64 v3, null, v15, v3, vcc_lo
	v_mul_lo_u32 v14, v19, s56
	v_mul_lo_u32 v15, v18, s57
	v_mad_co_u64_u32 v[10:11], null, v18, s56, 0
	v_add3_u32 v9, v24, v9, v13
	v_mul_lo_u32 v3, s54, v3
	s_cmp_eq_u64 s[42:43], 0
	s_add_nc_u64 s[40:41], s[40:41], s[18:19]
	s_delay_alu instid0(VALU_DEP_2) | instskip(SKIP_4) | instid1(VALU_DEP_2)
	v_mad_co_u64_u32 v[8:9], null, s54, v12, v[8:9]
	v_mul_lo_u32 v12, s55, v12
	v_add3_u32 v11, v11, v15, v14
	v_sub_co_u32 v10, vcc_lo, v16, v10
	s_wait_alu 0xfffd
	v_sub_co_ci_u32_e64 v11, null, v17, v11, vcc_lo
	s_delay_alu instid0(VALU_DEP_4) | instskip(SKIP_2) | instid1(VALU_DEP_3)
	v_add3_u32 v9, v12, v9, v3
	s_wait_kmcnt 0x0
	v_mul_lo_u32 v12, s1, v10
	v_mul_lo_u32 v3, s0, v11
	s_delay_alu instid0(VALU_DEP_3) | instskip(SKIP_1) | instid1(VALU_DEP_2)
	v_mad_co_u64_u32 v[10:11], null, s0, v10, v[8:9]
	v_dual_mov_b32 v8, v18 :: v_dual_mov_b32 v9, v19
	v_add3_u32 v11, v12, v11, v3
	s_cbranch_scc1 .LBB14_38
.LBB14_22:                              ;   Parent Loop BB14_3 Depth=1
                                        ; =>  This Inner Loop Header: Depth=2
	s_load_b64 s[44:45], s[40:41], 0x18
                                        ; implicit-def: $vgpr12_vgpr13
	s_mov_b32 s0, exec_lo
	s_wait_kmcnt 0x0
	v_or_b32_e32 v3, s45, v9
	s_delay_alu instid0(VALU_DEP_1)
	v_cmpx_ne_u64_e32 0, v[2:3]
	s_wait_alu 0xfffe
	s_xor_b32 s1, exec_lo, s0
	s_cbranch_execz .LBB14_24
; %bb.23:                               ;   in Loop: Header=BB14_22 Depth=2
	s_ashr_i32 s46, s45, 31
	v_ashrrev_i32_e32 v3, 31, v9
	s_wait_alu 0xfffe
	s_mov_b32 s47, s46
	s_wait_alu 0xfffe
	s_add_nc_u64 s[48:49], s[44:45], s[46:47]
	v_add_co_u32 v12, vcc_lo, v8, v3
	s_wait_alu 0xfffe
	s_xor_b64 s[48:49], s[48:49], s[46:47]
	s_wait_alu 0xfffd
	v_add_co_ci_u32_e64 v13, null, v9, v3, vcc_lo
	s_wait_alu 0xfffe
	s_cvt_f32_u32 s0, s48
	s_cvt_f32_u32 s14, s49
	s_sub_nc_u64 s[52:53], 0, s[48:49]
	v_xor_b32_e32 v18, v12, v3
	v_xor_b32_e32 v19, v13, v3
	s_wait_alu 0xfffe
	s_fmamk_f32 s0, s14, 0x4f800000, s0
	v_xor_b32_e32 v3, s46, v3
	s_wait_alu 0xfffe
	s_delay_alu instid0(SALU_CYCLE_1) | instskip(NEXT) | instid1(TRANS32_DEP_1)
	v_s_rcp_f32 s0, s0
	s_mul_f32 s0, s0, 0x5f7ffffc
	s_wait_alu 0xfffe
	s_delay_alu instid0(SALU_CYCLE_2) | instskip(SKIP_1) | instid1(SALU_CYCLE_2)
	s_mul_f32 s14, s0, 0x2f800000
	s_wait_alu 0xfffe
	s_trunc_f32 s14, s14
	s_wait_alu 0xfffe
	s_delay_alu instid0(SALU_CYCLE_2) | instskip(SKIP_2) | instid1(SALU_CYCLE_1)
	s_fmamk_f32 s0, s14, 0xcf800000, s0
	s_cvt_u32_f32 s51, s14
	s_wait_alu 0xfffe
	s_cvt_u32_f32 s50, s0
	s_wait_alu 0xfffe
	s_delay_alu instid0(SALU_CYCLE_2)
	s_mul_u64 s[54:55], s[52:53], s[50:51]
	s_wait_alu 0xfffe
	s_mul_hi_u32 s57, s50, s55
	s_mul_i32 s56, s50, s55
	s_mul_hi_u32 s14, s50, s54
	s_mul_i32 s47, s51, s54
	s_wait_alu 0xfffe
	s_add_nc_u64 s[56:57], s[14:15], s[56:57]
	s_mul_hi_u32 s0, s51, s54
	s_mul_hi_u32 s58, s51, s55
	s_wait_alu 0xfffe
	s_add_co_u32 s14, s56, s47
	s_add_co_ci_u32 s14, s57, s0
	s_mul_i32 s54, s51, s55
	s_add_co_ci_u32 s55, s58, 0
	s_wait_alu 0xfffe
	s_add_nc_u64 s[54:55], s[14:15], s[54:55]
	s_wait_alu 0xfffe
	s_add_co_u32 s50, s50, s54
	s_cselect_b32 s0, -1, 0
	s_wait_alu 0xfffe
	s_cmp_lg_u32 s0, 0
	s_add_co_ci_u32 s51, s51, s55
	s_wait_alu 0xfffe
	s_mul_u64 s[52:53], s[52:53], s[50:51]
	s_wait_alu 0xfffe
	s_mul_hi_u32 s55, s50, s53
	s_mul_i32 s54, s50, s53
	s_mul_hi_u32 s14, s50, s52
	s_mul_i32 s47, s51, s52
	s_wait_alu 0xfffe
	s_add_nc_u64 s[54:55], s[14:15], s[54:55]
	s_mul_hi_u32 s0, s51, s52
	s_mul_hi_u32 s56, s51, s53
	s_wait_alu 0xfffe
	s_add_co_u32 s14, s54, s47
	s_add_co_ci_u32 s14, s55, s0
	s_mul_i32 s52, s51, s53
	s_add_co_ci_u32 s53, s56, 0
	s_wait_alu 0xfffe
	s_add_nc_u64 s[52:53], s[14:15], s[52:53]
	s_wait_alu 0xfffe
	s_add_co_u32 s0, s50, s52
	s_cselect_b32 s14, -1, 0
	s_wait_alu 0xfffe
	v_mul_hi_u32 v24, v18, s0
	s_cmp_lg_u32 s14, 0
	v_mad_co_u64_u32 v[14:15], null, v19, s0, 0
	s_add_co_ci_u32 s14, s51, s53
	s_wait_alu 0xfffe
	v_mad_co_u64_u32 v[12:13], null, v18, s14, 0
	v_mad_co_u64_u32 v[16:17], null, v19, s14, 0
	s_delay_alu instid0(VALU_DEP_2) | instskip(SKIP_1) | instid1(VALU_DEP_3)
	v_add_co_u32 v12, vcc_lo, v24, v12
	s_wait_alu 0xfffd
	v_add_co_ci_u32_e64 v13, null, 0, v13, vcc_lo
	s_delay_alu instid0(VALU_DEP_2) | instskip(SKIP_1) | instid1(VALU_DEP_2)
	v_add_co_u32 v12, vcc_lo, v12, v14
	s_wait_alu 0xfffd
	v_add_co_ci_u32_e32 v12, vcc_lo, v13, v15, vcc_lo
	s_wait_alu 0xfffd
	v_add_co_ci_u32_e32 v13, vcc_lo, 0, v17, vcc_lo
	s_delay_alu instid0(VALU_DEP_2) | instskip(SKIP_1) | instid1(VALU_DEP_2)
	v_add_co_u32 v14, vcc_lo, v12, v16
	s_wait_alu 0xfffd
	v_add_co_ci_u32_e64 v15, null, 0, v13, vcc_lo
	s_delay_alu instid0(VALU_DEP_2) | instskip(SKIP_1) | instid1(VALU_DEP_3)
	v_mul_lo_u32 v16, s49, v14
	v_mad_co_u64_u32 v[12:13], null, s48, v14, 0
	v_mul_lo_u32 v17, s48, v15
	s_delay_alu instid0(VALU_DEP_2) | instskip(NEXT) | instid1(VALU_DEP_2)
	v_sub_co_u32 v12, vcc_lo, v18, v12
	v_add3_u32 v13, v13, v17, v16
	v_add_co_u32 v17, s0, v14, 2
	s_wait_alu 0xf1ff
	v_add_co_ci_u32_e64 v18, null, 0, v15, s0
	s_delay_alu instid0(VALU_DEP_3) | instskip(SKIP_3) | instid1(VALU_DEP_3)
	v_sub_nc_u32_e32 v16, v19, v13
	v_sub_co_u32 v24, s0, v12, s48
	s_wait_alu 0xfffd
	v_sub_co_ci_u32_e64 v13, null, v19, v13, vcc_lo
	v_subrev_co_ci_u32_e64 v16, null, s49, v16, vcc_lo
	s_delay_alu instid0(VALU_DEP_3) | instskip(SKIP_1) | instid1(VALU_DEP_2)
	v_cmp_le_u32_e32 vcc_lo, s48, v24
	s_wait_alu 0xf1ff
	v_subrev_co_ci_u32_e64 v16, null, 0, v16, s0
	s_wait_alu 0xfffd
	v_cndmask_b32_e64 v19, 0, -1, vcc_lo
	s_delay_alu instid0(VALU_DEP_2)
	v_cmp_le_u32_e32 vcc_lo, s49, v16
	s_wait_alu 0xfffd
	v_cndmask_b32_e64 v24, 0, -1, vcc_lo
	v_cmp_le_u32_e32 vcc_lo, s48, v12
	s_wait_alu 0xfffd
	v_cndmask_b32_e64 v12, 0, -1, vcc_lo
	v_cmp_le_u32_e32 vcc_lo, s49, v13
	s_wait_alu 0xfffd
	v_cndmask_b32_e64 v25, 0, -1, vcc_lo
	v_cmp_eq_u32_e32 vcc_lo, s49, v16
	s_wait_alu 0xfffd
	v_cndmask_b32_e32 v16, v24, v19, vcc_lo
	v_add_co_u32 v19, vcc_lo, v14, 1
	s_wait_alu 0xfffd
	v_add_co_ci_u32_e64 v24, null, 0, v15, vcc_lo
	v_cmp_eq_u32_e32 vcc_lo, s49, v13
	s_wait_alu 0xfffd
	v_cndmask_b32_e32 v12, v25, v12, vcc_lo
	v_cmp_ne_u32_e32 vcc_lo, 0, v16
	s_wait_alu 0xfffd
	v_cndmask_b32_e32 v13, v24, v18, vcc_lo
	s_delay_alu instid0(VALU_DEP_3) | instskip(SKIP_2) | instid1(VALU_DEP_2)
	v_cmp_ne_u32_e64 s0, 0, v12
	v_cndmask_b32_e32 v12, v19, v17, vcc_lo
	s_wait_alu 0xf1ff
	v_cndmask_b32_e64 v13, v15, v13, s0
	s_delay_alu instid0(VALU_DEP_2) | instskip(NEXT) | instid1(VALU_DEP_2)
	v_cndmask_b32_e64 v12, v14, v12, s0
	v_xor_b32_e32 v13, v13, v3
	s_delay_alu instid0(VALU_DEP_2) | instskip(NEXT) | instid1(VALU_DEP_1)
	v_xor_b32_e32 v12, v12, v3
	v_sub_co_u32 v12, vcc_lo, v12, v3
	s_wait_alu 0xfffd
	s_delay_alu instid0(VALU_DEP_3)
	v_sub_co_ci_u32_e64 v13, null, v13, v3, vcc_lo
.LBB14_24:                              ;   in Loop: Header=BB14_22 Depth=2
	s_wait_alu 0xfffe
	s_and_not1_saveexec_b32 s0, s1
	s_cbranch_execz .LBB14_26
; %bb.25:                               ;   in Loop: Header=BB14_22 Depth=2
	v_cvt_f32_u32_e32 v3, s44
	s_sub_co_i32 s1, 0, s44
	s_delay_alu instid0(VALU_DEP_1) | instskip(NEXT) | instid1(TRANS32_DEP_1)
	v_rcp_iflag_f32_e32 v3, v3
	v_mul_f32_e32 v3, 0x4f7ffffe, v3
	s_delay_alu instid0(VALU_DEP_1) | instskip(SKIP_1) | instid1(VALU_DEP_1)
	v_cvt_u32_f32_e32 v3, v3
	s_wait_alu 0xfffe
	v_mul_lo_u32 v12, s1, v3
	s_delay_alu instid0(VALU_DEP_1) | instskip(NEXT) | instid1(VALU_DEP_1)
	v_mul_hi_u32 v12, v3, v12
	v_add_nc_u32_e32 v3, v3, v12
	s_delay_alu instid0(VALU_DEP_1) | instskip(NEXT) | instid1(VALU_DEP_1)
	v_mul_hi_u32 v3, v8, v3
	v_mul_lo_u32 v12, v3, s44
	v_add_nc_u32_e32 v13, 1, v3
	s_delay_alu instid0(VALU_DEP_2) | instskip(NEXT) | instid1(VALU_DEP_1)
	v_sub_nc_u32_e32 v12, v8, v12
	v_subrev_nc_u32_e32 v14, s44, v12
	v_cmp_le_u32_e32 vcc_lo, s44, v12
	s_wait_alu 0xfffd
	s_delay_alu instid0(VALU_DEP_2) | instskip(NEXT) | instid1(VALU_DEP_1)
	v_dual_cndmask_b32 v12, v12, v14 :: v_dual_cndmask_b32 v3, v3, v13
	v_cmp_le_u32_e32 vcc_lo, s44, v12
	s_delay_alu instid0(VALU_DEP_2) | instskip(SKIP_1) | instid1(VALU_DEP_1)
	v_add_nc_u32_e32 v13, 1, v3
	s_wait_alu 0xfffd
	v_dual_cndmask_b32 v12, v3, v13 :: v_dual_mov_b32 v13, v2
.LBB14_26:                              ;   in Loop: Header=BB14_22 Depth=2
	s_wait_alu 0xfffe
	s_or_b32 exec_lo, exec_lo, s0
	s_load_b64 s[48:49], s[40:41], 0x10
	s_load_b64 s[46:47], s[38:39], 0x18
                                        ; implicit-def: $vgpr14_vgpr15
	s_mov_b32 s0, exec_lo
	s_wait_kmcnt 0x0
	v_or_b32_e32 v3, s49, v13
	s_delay_alu instid0(VALU_DEP_1)
	v_cmpx_ne_u64_e32 0, v[2:3]
	s_wait_alu 0xfffe
	s_xor_b32 s1, exec_lo, s0
	s_cbranch_execz .LBB14_28
; %bb.27:                               ;   in Loop: Header=BB14_22 Depth=2
	s_ashr_i32 s50, s49, 31
	v_ashrrev_i32_e32 v3, 31, v13
	s_wait_alu 0xfffe
	s_mov_b32 s51, s50
	s_wait_alu 0xfffe
	s_add_nc_u64 s[52:53], s[48:49], s[50:51]
	v_add_co_u32 v14, vcc_lo, v12, v3
	s_wait_alu 0xfffe
	s_xor_b64 s[52:53], s[52:53], s[50:51]
	s_wait_alu 0xfffd
	v_add_co_ci_u32_e64 v15, null, v13, v3, vcc_lo
	s_wait_alu 0xfffe
	s_cvt_f32_u32 s0, s52
	s_cvt_f32_u32 s14, s53
	s_sub_nc_u64 s[56:57], 0, s[52:53]
	v_xor_b32_e32 v24, v14, v3
	v_xor_b32_e32 v25, v15, v3
	s_wait_alu 0xfffe
	s_fmamk_f32 s0, s14, 0x4f800000, s0
	v_xor_b32_e32 v3, s50, v3
	s_wait_alu 0xfffe
	s_delay_alu instid0(SALU_CYCLE_1) | instskip(NEXT) | instid1(TRANS32_DEP_1)
	v_s_rcp_f32 s0, s0
	s_mul_f32 s0, s0, 0x5f7ffffc
	s_wait_alu 0xfffe
	s_delay_alu instid0(SALU_CYCLE_2) | instskip(SKIP_1) | instid1(SALU_CYCLE_2)
	s_mul_f32 s14, s0, 0x2f800000
	s_wait_alu 0xfffe
	s_trunc_f32 s14, s14
	s_wait_alu 0xfffe
	s_delay_alu instid0(SALU_CYCLE_2) | instskip(SKIP_2) | instid1(SALU_CYCLE_1)
	s_fmamk_f32 s0, s14, 0xcf800000, s0
	s_cvt_u32_f32 s55, s14
	s_wait_alu 0xfffe
	s_cvt_u32_f32 s54, s0
	s_wait_alu 0xfffe
	s_delay_alu instid0(SALU_CYCLE_2)
	s_mul_u64 s[58:59], s[56:57], s[54:55]
	s_wait_alu 0xfffe
	s_mul_hi_u32 s61, s54, s59
	s_mul_i32 s60, s54, s59
	s_mul_hi_u32 s14, s54, s58
	s_mul_i32 s51, s55, s58
	s_wait_alu 0xfffe
	s_add_nc_u64 s[60:61], s[14:15], s[60:61]
	s_mul_hi_u32 s0, s55, s58
	s_mul_hi_u32 s66, s55, s59
	s_wait_alu 0xfffe
	s_add_co_u32 s14, s60, s51
	s_add_co_ci_u32 s14, s61, s0
	s_mul_i32 s58, s55, s59
	s_add_co_ci_u32 s59, s66, 0
	s_wait_alu 0xfffe
	s_add_nc_u64 s[58:59], s[14:15], s[58:59]
	s_wait_alu 0xfffe
	s_add_co_u32 s54, s54, s58
	s_cselect_b32 s0, -1, 0
	s_wait_alu 0xfffe
	s_cmp_lg_u32 s0, 0
	s_add_co_ci_u32 s55, s55, s59
	s_wait_alu 0xfffe
	s_mul_u64 s[56:57], s[56:57], s[54:55]
	s_wait_alu 0xfffe
	s_mul_hi_u32 s59, s54, s57
	s_mul_i32 s58, s54, s57
	s_mul_hi_u32 s14, s54, s56
	s_mul_i32 s51, s55, s56
	s_wait_alu 0xfffe
	s_add_nc_u64 s[58:59], s[14:15], s[58:59]
	s_mul_hi_u32 s0, s55, s56
	s_mul_hi_u32 s60, s55, s57
	s_wait_alu 0xfffe
	s_add_co_u32 s14, s58, s51
	s_add_co_ci_u32 s14, s59, s0
	s_mul_i32 s56, s55, s57
	s_add_co_ci_u32 s57, s60, 0
	s_wait_alu 0xfffe
	s_add_nc_u64 s[56:57], s[14:15], s[56:57]
	s_wait_alu 0xfffe
	s_add_co_u32 s0, s54, s56
	s_cselect_b32 s14, -1, 0
	s_wait_alu 0xfffe
	v_mul_hi_u32 v26, v24, s0
	s_cmp_lg_u32 s14, 0
	v_mad_co_u64_u32 v[16:17], null, v25, s0, 0
	s_add_co_ci_u32 s14, s55, s57
	s_wait_alu 0xfffe
	v_mad_co_u64_u32 v[14:15], null, v24, s14, 0
	v_mad_co_u64_u32 v[18:19], null, v25, s14, 0
	s_delay_alu instid0(VALU_DEP_2) | instskip(SKIP_1) | instid1(VALU_DEP_3)
	v_add_co_u32 v14, vcc_lo, v26, v14
	s_wait_alu 0xfffd
	v_add_co_ci_u32_e64 v15, null, 0, v15, vcc_lo
	s_delay_alu instid0(VALU_DEP_2) | instskip(SKIP_1) | instid1(VALU_DEP_2)
	v_add_co_u32 v14, vcc_lo, v14, v16
	s_wait_alu 0xfffd
	v_add_co_ci_u32_e32 v14, vcc_lo, v15, v17, vcc_lo
	s_wait_alu 0xfffd
	v_add_co_ci_u32_e32 v15, vcc_lo, 0, v19, vcc_lo
	s_delay_alu instid0(VALU_DEP_2) | instskip(SKIP_1) | instid1(VALU_DEP_2)
	v_add_co_u32 v16, vcc_lo, v14, v18
	s_wait_alu 0xfffd
	v_add_co_ci_u32_e64 v17, null, 0, v15, vcc_lo
	s_delay_alu instid0(VALU_DEP_2) | instskip(SKIP_1) | instid1(VALU_DEP_3)
	v_mul_lo_u32 v18, s53, v16
	v_mad_co_u64_u32 v[14:15], null, s52, v16, 0
	v_mul_lo_u32 v19, s52, v17
	s_delay_alu instid0(VALU_DEP_2) | instskip(NEXT) | instid1(VALU_DEP_2)
	v_sub_co_u32 v14, vcc_lo, v24, v14
	v_add3_u32 v15, v15, v19, v18
	v_add_co_u32 v19, s0, v16, 2
	s_wait_alu 0xf1ff
	v_add_co_ci_u32_e64 v24, null, 0, v17, s0
	s_delay_alu instid0(VALU_DEP_3) | instskip(SKIP_3) | instid1(VALU_DEP_3)
	v_sub_nc_u32_e32 v18, v25, v15
	v_sub_co_u32 v26, s0, v14, s52
	s_wait_alu 0xfffd
	v_sub_co_ci_u32_e64 v15, null, v25, v15, vcc_lo
	v_subrev_co_ci_u32_e64 v18, null, s53, v18, vcc_lo
	s_delay_alu instid0(VALU_DEP_3) | instskip(SKIP_1) | instid1(VALU_DEP_2)
	v_cmp_le_u32_e32 vcc_lo, s52, v26
	s_wait_alu 0xf1ff
	v_subrev_co_ci_u32_e64 v18, null, 0, v18, s0
	s_wait_alu 0xfffd
	v_cndmask_b32_e64 v25, 0, -1, vcc_lo
	s_delay_alu instid0(VALU_DEP_2)
	v_cmp_le_u32_e32 vcc_lo, s53, v18
	s_wait_alu 0xfffd
	v_cndmask_b32_e64 v26, 0, -1, vcc_lo
	v_cmp_le_u32_e32 vcc_lo, s52, v14
	s_wait_alu 0xfffd
	v_cndmask_b32_e64 v14, 0, -1, vcc_lo
	;; [unrolled: 3-line block ×3, first 2 shown]
	v_cmp_eq_u32_e32 vcc_lo, s53, v18
	s_wait_alu 0xfffd
	v_cndmask_b32_e32 v18, v26, v25, vcc_lo
	v_add_co_u32 v25, vcc_lo, v16, 1
	s_wait_alu 0xfffd
	v_add_co_ci_u32_e64 v26, null, 0, v17, vcc_lo
	v_cmp_eq_u32_e32 vcc_lo, s53, v15
	s_wait_alu 0xfffd
	v_cndmask_b32_e32 v14, v27, v14, vcc_lo
	v_cmp_ne_u32_e32 vcc_lo, 0, v18
	s_wait_alu 0xfffd
	v_cndmask_b32_e32 v15, v26, v24, vcc_lo
	s_delay_alu instid0(VALU_DEP_3) | instskip(SKIP_2) | instid1(VALU_DEP_2)
	v_cmp_ne_u32_e64 s0, 0, v14
	v_cndmask_b32_e32 v14, v25, v19, vcc_lo
	s_wait_alu 0xf1ff
	v_cndmask_b32_e64 v15, v17, v15, s0
	s_delay_alu instid0(VALU_DEP_2) | instskip(NEXT) | instid1(VALU_DEP_2)
	v_cndmask_b32_e64 v14, v16, v14, s0
	v_xor_b32_e32 v15, v15, v3
	s_delay_alu instid0(VALU_DEP_2) | instskip(NEXT) | instid1(VALU_DEP_1)
	v_xor_b32_e32 v14, v14, v3
	v_sub_co_u32 v14, vcc_lo, v14, v3
	s_wait_alu 0xfffd
	s_delay_alu instid0(VALU_DEP_3)
	v_sub_co_ci_u32_e64 v15, null, v15, v3, vcc_lo
.LBB14_28:                              ;   in Loop: Header=BB14_22 Depth=2
	s_wait_alu 0xfffe
	s_and_not1_saveexec_b32 s0, s1
	s_cbranch_execz .LBB14_30
; %bb.29:                               ;   in Loop: Header=BB14_22 Depth=2
	v_cvt_f32_u32_e32 v3, s48
	s_sub_co_i32 s1, 0, s48
	s_delay_alu instid0(VALU_DEP_1) | instskip(NEXT) | instid1(TRANS32_DEP_1)
	v_rcp_iflag_f32_e32 v3, v3
	v_mul_f32_e32 v3, 0x4f7ffffe, v3
	s_delay_alu instid0(VALU_DEP_1) | instskip(SKIP_1) | instid1(VALU_DEP_1)
	v_cvt_u32_f32_e32 v3, v3
	s_wait_alu 0xfffe
	v_mul_lo_u32 v14, s1, v3
	s_delay_alu instid0(VALU_DEP_1) | instskip(NEXT) | instid1(VALU_DEP_1)
	v_mul_hi_u32 v14, v3, v14
	v_add_nc_u32_e32 v3, v3, v14
	s_delay_alu instid0(VALU_DEP_1) | instskip(NEXT) | instid1(VALU_DEP_1)
	v_mul_hi_u32 v3, v12, v3
	v_mul_lo_u32 v14, v3, s48
	v_add_nc_u32_e32 v15, 1, v3
	s_delay_alu instid0(VALU_DEP_2) | instskip(NEXT) | instid1(VALU_DEP_1)
	v_sub_nc_u32_e32 v14, v12, v14
	v_subrev_nc_u32_e32 v16, s48, v14
	v_cmp_le_u32_e32 vcc_lo, s48, v14
	s_wait_alu 0xfffd
	s_delay_alu instid0(VALU_DEP_2) | instskip(NEXT) | instid1(VALU_DEP_1)
	v_dual_cndmask_b32 v14, v14, v16 :: v_dual_cndmask_b32 v3, v3, v15
	v_cmp_le_u32_e32 vcc_lo, s48, v14
	s_delay_alu instid0(VALU_DEP_2) | instskip(SKIP_1) | instid1(VALU_DEP_1)
	v_add_nc_u32_e32 v15, 1, v3
	s_wait_alu 0xfffd
	v_dual_cndmask_b32 v14, v3, v15 :: v_dual_mov_b32 v15, v2
.LBB14_30:                              ;   in Loop: Header=BB14_22 Depth=2
	s_wait_alu 0xfffe
	s_or_b32 exec_lo, exec_lo, s0
	s_load_b64 s[52:53], s[40:41], 0x8
	s_load_b64 s[50:51], s[38:39], 0x10
                                        ; implicit-def: $vgpr16_vgpr17
	s_mov_b32 s0, exec_lo
	s_wait_kmcnt 0x0
	v_or_b32_e32 v3, s53, v15
	s_delay_alu instid0(VALU_DEP_1)
	v_cmpx_ne_u64_e32 0, v[2:3]
	s_wait_alu 0xfffe
	s_xor_b32 s1, exec_lo, s0
	s_cbranch_execz .LBB14_32
; %bb.31:                               ;   in Loop: Header=BB14_22 Depth=2
	s_ashr_i32 s54, s53, 31
	v_ashrrev_i32_e32 v3, 31, v15
	s_wait_alu 0xfffe
	s_mov_b32 s55, s54
	s_wait_alu 0xfffe
	s_add_nc_u64 s[56:57], s[52:53], s[54:55]
	v_add_co_u32 v16, vcc_lo, v14, v3
	s_wait_alu 0xfffe
	s_xor_b64 s[56:57], s[56:57], s[54:55]
	s_wait_alu 0xfffd
	v_add_co_ci_u32_e64 v17, null, v15, v3, vcc_lo
	s_wait_alu 0xfffe
	s_cvt_f32_u32 s0, s56
	s_cvt_f32_u32 s14, s57
	s_sub_nc_u64 s[60:61], 0, s[56:57]
	v_xor_b32_e32 v26, v16, v3
	v_xor_b32_e32 v27, v17, v3
	s_wait_alu 0xfffe
	s_fmamk_f32 s0, s14, 0x4f800000, s0
	v_xor_b32_e32 v3, s54, v3
	s_wait_alu 0xfffe
	s_delay_alu instid0(SALU_CYCLE_1) | instskip(NEXT) | instid1(TRANS32_DEP_1)
	v_s_rcp_f32 s0, s0
	s_mul_f32 s0, s0, 0x5f7ffffc
	s_wait_alu 0xfffe
	s_delay_alu instid0(SALU_CYCLE_2) | instskip(SKIP_1) | instid1(SALU_CYCLE_2)
	s_mul_f32 s14, s0, 0x2f800000
	s_wait_alu 0xfffe
	s_trunc_f32 s14, s14
	s_wait_alu 0xfffe
	s_delay_alu instid0(SALU_CYCLE_2) | instskip(SKIP_2) | instid1(SALU_CYCLE_1)
	s_fmamk_f32 s0, s14, 0xcf800000, s0
	s_cvt_u32_f32 s59, s14
	s_wait_alu 0xfffe
	s_cvt_u32_f32 s58, s0
	s_wait_alu 0xfffe
	s_delay_alu instid0(SALU_CYCLE_2) | instskip(NEXT) | instid1(SALU_CYCLE_1)
	s_mul_u64 s[66:67], s[60:61], s[58:59]
	s_mul_hi_u32 s69, s58, s67
	s_mul_i32 s68, s58, s67
	s_mul_hi_u32 s14, s58, s66
	s_mul_i32 s55, s59, s66
	s_wait_alu 0xfffe
	s_add_nc_u64 s[68:69], s[14:15], s[68:69]
	s_mul_hi_u32 s0, s59, s66
	s_mul_hi_u32 s70, s59, s67
	s_add_co_u32 s14, s68, s55
	s_wait_alu 0xfffe
	s_add_co_ci_u32 s14, s69, s0
	s_mul_i32 s66, s59, s67
	s_add_co_ci_u32 s67, s70, 0
	s_wait_alu 0xfffe
	s_add_nc_u64 s[66:67], s[14:15], s[66:67]
	s_delay_alu instid0(SALU_CYCLE_1)
	s_add_co_u32 s58, s58, s66
	s_cselect_b32 s0, -1, 0
	s_wait_alu 0xfffe
	s_cmp_lg_u32 s0, 0
	s_add_co_ci_u32 s59, s59, s67
	s_wait_alu 0xfffe
	s_mul_u64 s[60:61], s[60:61], s[58:59]
	s_wait_alu 0xfffe
	s_mul_hi_u32 s67, s58, s61
	s_mul_i32 s66, s58, s61
	s_mul_hi_u32 s14, s58, s60
	s_mul_i32 s55, s59, s60
	s_wait_alu 0xfffe
	s_add_nc_u64 s[66:67], s[14:15], s[66:67]
	s_mul_hi_u32 s0, s59, s60
	s_mul_hi_u32 s68, s59, s61
	s_add_co_u32 s14, s66, s55
	s_wait_alu 0xfffe
	s_add_co_ci_u32 s14, s67, s0
	s_mul_i32 s60, s59, s61
	s_add_co_ci_u32 s61, s68, 0
	s_wait_alu 0xfffe
	s_add_nc_u64 s[60:61], s[14:15], s[60:61]
	s_wait_alu 0xfffe
	s_add_co_u32 s0, s58, s60
	s_cselect_b32 s14, -1, 0
	s_wait_alu 0xfffe
	v_mul_hi_u32 v28, v26, s0
	s_cmp_lg_u32 s14, 0
	v_mad_co_u64_u32 v[18:19], null, v27, s0, 0
	s_add_co_ci_u32 s14, s59, s61
	s_wait_alu 0xfffe
	v_mad_co_u64_u32 v[16:17], null, v26, s14, 0
	v_mad_co_u64_u32 v[24:25], null, v27, s14, 0
	s_delay_alu instid0(VALU_DEP_2) | instskip(SKIP_1) | instid1(VALU_DEP_3)
	v_add_co_u32 v16, vcc_lo, v28, v16
	s_wait_alu 0xfffd
	v_add_co_ci_u32_e64 v17, null, 0, v17, vcc_lo
	s_delay_alu instid0(VALU_DEP_2) | instskip(SKIP_1) | instid1(VALU_DEP_2)
	v_add_co_u32 v16, vcc_lo, v16, v18
	s_wait_alu 0xfffd
	v_add_co_ci_u32_e32 v16, vcc_lo, v17, v19, vcc_lo
	s_wait_alu 0xfffd
	v_add_co_ci_u32_e32 v17, vcc_lo, 0, v25, vcc_lo
	s_delay_alu instid0(VALU_DEP_2) | instskip(SKIP_1) | instid1(VALU_DEP_2)
	v_add_co_u32 v18, vcc_lo, v16, v24
	s_wait_alu 0xfffd
	v_add_co_ci_u32_e64 v19, null, 0, v17, vcc_lo
	s_delay_alu instid0(VALU_DEP_2) | instskip(SKIP_1) | instid1(VALU_DEP_3)
	v_mul_lo_u32 v24, s57, v18
	v_mad_co_u64_u32 v[16:17], null, s56, v18, 0
	v_mul_lo_u32 v25, s56, v19
	s_delay_alu instid0(VALU_DEP_2) | instskip(NEXT) | instid1(VALU_DEP_2)
	v_sub_co_u32 v16, vcc_lo, v26, v16
	v_add3_u32 v17, v17, v25, v24
	v_add_co_u32 v25, s0, v18, 2
	s_wait_alu 0xf1ff
	v_add_co_ci_u32_e64 v26, null, 0, v19, s0
	s_delay_alu instid0(VALU_DEP_3) | instskip(SKIP_3) | instid1(VALU_DEP_3)
	v_sub_nc_u32_e32 v24, v27, v17
	v_sub_co_u32 v28, s0, v16, s56
	s_wait_alu 0xfffd
	v_sub_co_ci_u32_e64 v17, null, v27, v17, vcc_lo
	v_subrev_co_ci_u32_e64 v24, null, s57, v24, vcc_lo
	s_delay_alu instid0(VALU_DEP_3) | instskip(SKIP_1) | instid1(VALU_DEP_2)
	v_cmp_le_u32_e32 vcc_lo, s56, v28
	s_wait_alu 0xf1ff
	v_subrev_co_ci_u32_e64 v24, null, 0, v24, s0
	s_wait_alu 0xfffd
	v_cndmask_b32_e64 v27, 0, -1, vcc_lo
	s_delay_alu instid0(VALU_DEP_2)
	v_cmp_le_u32_e32 vcc_lo, s57, v24
	s_wait_alu 0xfffd
	v_cndmask_b32_e64 v28, 0, -1, vcc_lo
	v_cmp_le_u32_e32 vcc_lo, s56, v16
	s_wait_alu 0xfffd
	v_cndmask_b32_e64 v16, 0, -1, vcc_lo
	;; [unrolled: 3-line block ×3, first 2 shown]
	v_cmp_eq_u32_e32 vcc_lo, s57, v24
	s_wait_alu 0xfffd
	v_cndmask_b32_e32 v24, v28, v27, vcc_lo
	v_add_co_u32 v27, vcc_lo, v18, 1
	s_wait_alu 0xfffd
	v_add_co_ci_u32_e64 v28, null, 0, v19, vcc_lo
	v_cmp_eq_u32_e32 vcc_lo, s57, v17
	s_wait_alu 0xfffd
	v_cndmask_b32_e32 v16, v29, v16, vcc_lo
	v_cmp_ne_u32_e32 vcc_lo, 0, v24
	s_wait_alu 0xfffd
	v_cndmask_b32_e32 v17, v28, v26, vcc_lo
	s_delay_alu instid0(VALU_DEP_3) | instskip(SKIP_2) | instid1(VALU_DEP_2)
	v_cmp_ne_u32_e64 s0, 0, v16
	v_cndmask_b32_e32 v16, v27, v25, vcc_lo
	s_wait_alu 0xf1ff
	v_cndmask_b32_e64 v17, v19, v17, s0
	s_delay_alu instid0(VALU_DEP_2) | instskip(NEXT) | instid1(VALU_DEP_2)
	v_cndmask_b32_e64 v16, v18, v16, s0
	v_xor_b32_e32 v17, v17, v3
	s_delay_alu instid0(VALU_DEP_2) | instskip(NEXT) | instid1(VALU_DEP_1)
	v_xor_b32_e32 v16, v16, v3
	v_sub_co_u32 v16, vcc_lo, v16, v3
	s_wait_alu 0xfffd
	s_delay_alu instid0(VALU_DEP_3)
	v_sub_co_ci_u32_e64 v17, null, v17, v3, vcc_lo
.LBB14_32:                              ;   in Loop: Header=BB14_22 Depth=2
	s_wait_alu 0xfffe
	s_and_not1_saveexec_b32 s0, s1
	s_cbranch_execz .LBB14_34
; %bb.33:                               ;   in Loop: Header=BB14_22 Depth=2
	v_cvt_f32_u32_e32 v3, s52
	s_sub_co_i32 s1, 0, s52
	s_delay_alu instid0(VALU_DEP_1) | instskip(NEXT) | instid1(TRANS32_DEP_1)
	v_rcp_iflag_f32_e32 v3, v3
	v_mul_f32_e32 v3, 0x4f7ffffe, v3
	s_delay_alu instid0(VALU_DEP_1) | instskip(SKIP_1) | instid1(VALU_DEP_1)
	v_cvt_u32_f32_e32 v3, v3
	s_wait_alu 0xfffe
	v_mul_lo_u32 v16, s1, v3
	s_delay_alu instid0(VALU_DEP_1) | instskip(NEXT) | instid1(VALU_DEP_1)
	v_mul_hi_u32 v16, v3, v16
	v_add_nc_u32_e32 v3, v3, v16
	s_delay_alu instid0(VALU_DEP_1) | instskip(NEXT) | instid1(VALU_DEP_1)
	v_mul_hi_u32 v3, v14, v3
	v_mul_lo_u32 v16, v3, s52
	v_add_nc_u32_e32 v17, 1, v3
	s_delay_alu instid0(VALU_DEP_2) | instskip(NEXT) | instid1(VALU_DEP_1)
	v_sub_nc_u32_e32 v16, v14, v16
	v_subrev_nc_u32_e32 v18, s52, v16
	v_cmp_le_u32_e32 vcc_lo, s52, v16
	s_wait_alu 0xfffd
	s_delay_alu instid0(VALU_DEP_2) | instskip(NEXT) | instid1(VALU_DEP_1)
	v_dual_cndmask_b32 v16, v16, v18 :: v_dual_cndmask_b32 v3, v3, v17
	v_cmp_le_u32_e32 vcc_lo, s52, v16
	s_delay_alu instid0(VALU_DEP_2) | instskip(SKIP_1) | instid1(VALU_DEP_1)
	v_add_nc_u32_e32 v17, 1, v3
	s_wait_alu 0xfffd
	v_dual_cndmask_b32 v16, v3, v17 :: v_dual_mov_b32 v17, v2
.LBB14_34:                              ;   in Loop: Header=BB14_22 Depth=2
	s_wait_alu 0xfffe
	s_or_b32 exec_lo, exec_lo, s0
	s_load_b64 s[56:57], s[40:41], 0x0
	s_load_b64 s[54:55], s[38:39], 0x8
                                        ; implicit-def: $vgpr18_vgpr19
	s_mov_b32 s0, exec_lo
	s_wait_kmcnt 0x0
	v_or_b32_e32 v3, s57, v17
	s_delay_alu instid0(VALU_DEP_1)
	v_cmpx_ne_u64_e32 0, v[2:3]
	s_wait_alu 0xfffe
	s_xor_b32 s1, exec_lo, s0
	s_cbranch_execz .LBB14_36
; %bb.35:                               ;   in Loop: Header=BB14_22 Depth=2
	s_ashr_i32 s58, s57, 31
	v_ashrrev_i32_e32 v3, 31, v17
	s_wait_alu 0xfffe
	s_mov_b32 s59, s58
	s_wait_alu 0xfffe
	s_add_nc_u64 s[60:61], s[56:57], s[58:59]
	v_add_co_u32 v18, vcc_lo, v16, v3
	s_wait_alu 0xfffe
	s_xor_b64 s[60:61], s[60:61], s[58:59]
	s_wait_alu 0xfffd
	v_add_co_ci_u32_e64 v19, null, v17, v3, vcc_lo
	s_wait_alu 0xfffe
	s_cvt_f32_u32 s0, s60
	s_cvt_f32_u32 s14, s61
	s_sub_nc_u64 s[68:69], 0, s[60:61]
	v_xor_b32_e32 v28, v18, v3
	v_xor_b32_e32 v29, v19, v3
	s_wait_alu 0xfffe
	s_fmamk_f32 s0, s14, 0x4f800000, s0
	v_xor_b32_e32 v3, s58, v3
	s_wait_alu 0xfffe
	s_delay_alu instid0(SALU_CYCLE_1) | instskip(NEXT) | instid1(TRANS32_DEP_1)
	v_s_rcp_f32 s0, s0
	s_mul_f32 s0, s0, 0x5f7ffffc
	s_wait_alu 0xfffe
	s_delay_alu instid0(SALU_CYCLE_2) | instskip(SKIP_1) | instid1(SALU_CYCLE_2)
	s_mul_f32 s14, s0, 0x2f800000
	s_wait_alu 0xfffe
	s_trunc_f32 s14, s14
	s_wait_alu 0xfffe
	s_delay_alu instid0(SALU_CYCLE_2) | instskip(SKIP_2) | instid1(SALU_CYCLE_1)
	s_fmamk_f32 s0, s14, 0xcf800000, s0
	s_cvt_u32_f32 s67, s14
	s_wait_alu 0xfffe
	s_cvt_u32_f32 s66, s0
	s_delay_alu instid0(SALU_CYCLE_3) | instskip(NEXT) | instid1(SALU_CYCLE_1)
	s_mul_u64 s[70:71], s[68:69], s[66:67]
	s_mul_hi_u32 s73, s66, s71
	s_mul_i32 s72, s66, s71
	s_mul_hi_u32 s14, s66, s70
	s_mul_i32 s59, s67, s70
	s_wait_alu 0xfffe
	s_add_nc_u64 s[72:73], s[14:15], s[72:73]
	s_mul_hi_u32 s0, s67, s70
	s_mul_hi_u32 s74, s67, s71
	s_add_co_u32 s14, s72, s59
	s_wait_alu 0xfffe
	s_add_co_ci_u32 s14, s73, s0
	s_mul_i32 s70, s67, s71
	s_add_co_ci_u32 s71, s74, 0
	s_wait_alu 0xfffe
	s_add_nc_u64 s[70:71], s[14:15], s[70:71]
	s_delay_alu instid0(SALU_CYCLE_1) | instskip(SKIP_4) | instid1(SALU_CYCLE_1)
	s_add_co_u32 s66, s66, s70
	s_cselect_b32 s0, -1, 0
	s_wait_alu 0xfffe
	s_cmp_lg_u32 s0, 0
	s_add_co_ci_u32 s67, s67, s71
	s_mul_u64 s[68:69], s[68:69], s[66:67]
	s_delay_alu instid0(SALU_CYCLE_1)
	s_mul_hi_u32 s71, s66, s69
	s_mul_i32 s70, s66, s69
	s_mul_hi_u32 s14, s66, s68
	s_mul_i32 s59, s67, s68
	s_wait_alu 0xfffe
	s_add_nc_u64 s[70:71], s[14:15], s[70:71]
	s_mul_hi_u32 s0, s67, s68
	s_mul_hi_u32 s72, s67, s69
	s_add_co_u32 s14, s70, s59
	s_wait_alu 0xfffe
	s_add_co_ci_u32 s14, s71, s0
	s_mul_i32 s68, s67, s69
	s_add_co_ci_u32 s69, s72, 0
	s_wait_alu 0xfffe
	s_add_nc_u64 s[68:69], s[14:15], s[68:69]
	s_delay_alu instid0(SALU_CYCLE_1)
	s_add_co_u32 s0, s66, s68
	s_cselect_b32 s14, -1, 0
	s_wait_alu 0xfffe
	v_mul_hi_u32 v30, v28, s0
	s_cmp_lg_u32 s14, 0
	v_mad_co_u64_u32 v[24:25], null, v29, s0, 0
	s_add_co_ci_u32 s14, s67, s69
	s_wait_alu 0xfffe
	v_mad_co_u64_u32 v[18:19], null, v28, s14, 0
	v_mad_co_u64_u32 v[26:27], null, v29, s14, 0
	s_delay_alu instid0(VALU_DEP_2) | instskip(SKIP_1) | instid1(VALU_DEP_3)
	v_add_co_u32 v18, vcc_lo, v30, v18
	s_wait_alu 0xfffd
	v_add_co_ci_u32_e64 v19, null, 0, v19, vcc_lo
	s_delay_alu instid0(VALU_DEP_2) | instskip(SKIP_1) | instid1(VALU_DEP_2)
	v_add_co_u32 v18, vcc_lo, v18, v24
	s_wait_alu 0xfffd
	v_add_co_ci_u32_e32 v18, vcc_lo, v19, v25, vcc_lo
	s_wait_alu 0xfffd
	v_add_co_ci_u32_e32 v19, vcc_lo, 0, v27, vcc_lo
	s_delay_alu instid0(VALU_DEP_2) | instskip(SKIP_1) | instid1(VALU_DEP_2)
	v_add_co_u32 v24, vcc_lo, v18, v26
	s_wait_alu 0xfffd
	v_add_co_ci_u32_e64 v25, null, 0, v19, vcc_lo
	s_delay_alu instid0(VALU_DEP_2) | instskip(SKIP_1) | instid1(VALU_DEP_3)
	v_mul_lo_u32 v26, s61, v24
	v_mad_co_u64_u32 v[18:19], null, s60, v24, 0
	v_mul_lo_u32 v27, s60, v25
	s_delay_alu instid0(VALU_DEP_2) | instskip(NEXT) | instid1(VALU_DEP_2)
	v_sub_co_u32 v18, vcc_lo, v28, v18
	v_add3_u32 v19, v19, v27, v26
	v_add_co_u32 v27, s0, v24, 2
	s_wait_alu 0xf1ff
	v_add_co_ci_u32_e64 v28, null, 0, v25, s0
	s_delay_alu instid0(VALU_DEP_3) | instskip(SKIP_3) | instid1(VALU_DEP_3)
	v_sub_nc_u32_e32 v26, v29, v19
	v_sub_co_u32 v30, s0, v18, s60
	s_wait_alu 0xfffd
	v_sub_co_ci_u32_e64 v19, null, v29, v19, vcc_lo
	v_subrev_co_ci_u32_e64 v26, null, s61, v26, vcc_lo
	s_delay_alu instid0(VALU_DEP_3) | instskip(SKIP_1) | instid1(VALU_DEP_2)
	v_cmp_le_u32_e32 vcc_lo, s60, v30
	s_wait_alu 0xf1ff
	v_subrev_co_ci_u32_e64 v26, null, 0, v26, s0
	s_wait_alu 0xfffd
	v_cndmask_b32_e64 v29, 0, -1, vcc_lo
	s_delay_alu instid0(VALU_DEP_2)
	v_cmp_le_u32_e32 vcc_lo, s61, v26
	s_wait_alu 0xfffd
	v_cndmask_b32_e64 v30, 0, -1, vcc_lo
	v_cmp_le_u32_e32 vcc_lo, s60, v18
	s_wait_alu 0xfffd
	v_cndmask_b32_e64 v18, 0, -1, vcc_lo
	;; [unrolled: 3-line block ×3, first 2 shown]
	v_cmp_eq_u32_e32 vcc_lo, s61, v26
	s_wait_alu 0xfffd
	v_cndmask_b32_e32 v26, v30, v29, vcc_lo
	v_add_co_u32 v29, vcc_lo, v24, 1
	s_wait_alu 0xfffd
	v_add_co_ci_u32_e64 v30, null, 0, v25, vcc_lo
	v_cmp_eq_u32_e32 vcc_lo, s61, v19
	s_wait_alu 0xfffd
	v_cndmask_b32_e32 v18, v31, v18, vcc_lo
	v_cmp_ne_u32_e32 vcc_lo, 0, v26
	s_wait_alu 0xfffd
	v_cndmask_b32_e32 v19, v30, v28, vcc_lo
	s_delay_alu instid0(VALU_DEP_3) | instskip(SKIP_2) | instid1(VALU_DEP_2)
	v_cmp_ne_u32_e64 s0, 0, v18
	v_cndmask_b32_e32 v18, v29, v27, vcc_lo
	s_wait_alu 0xf1ff
	v_cndmask_b32_e64 v19, v25, v19, s0
	s_delay_alu instid0(VALU_DEP_2) | instskip(NEXT) | instid1(VALU_DEP_2)
	v_cndmask_b32_e64 v18, v24, v18, s0
	v_xor_b32_e32 v19, v19, v3
	s_delay_alu instid0(VALU_DEP_2) | instskip(NEXT) | instid1(VALU_DEP_1)
	v_xor_b32_e32 v18, v18, v3
	v_sub_co_u32 v18, vcc_lo, v18, v3
	s_wait_alu 0xfffd
	s_delay_alu instid0(VALU_DEP_3)
	v_sub_co_ci_u32_e64 v19, null, v19, v3, vcc_lo
.LBB14_36:                              ;   in Loop: Header=BB14_22 Depth=2
	s_wait_alu 0xfffe
	s_and_not1_saveexec_b32 s0, s1
	s_cbranch_execz .LBB14_21
; %bb.37:                               ;   in Loop: Header=BB14_22 Depth=2
	v_cvt_f32_u32_e32 v3, s56
	s_sub_co_i32 s1, 0, s56
	s_delay_alu instid0(VALU_DEP_1) | instskip(NEXT) | instid1(TRANS32_DEP_1)
	v_rcp_iflag_f32_e32 v3, v3
	v_mul_f32_e32 v3, 0x4f7ffffe, v3
	s_delay_alu instid0(VALU_DEP_1) | instskip(SKIP_1) | instid1(VALU_DEP_1)
	v_cvt_u32_f32_e32 v3, v3
	s_wait_alu 0xfffe
	v_mul_lo_u32 v18, s1, v3
	s_delay_alu instid0(VALU_DEP_1) | instskip(NEXT) | instid1(VALU_DEP_1)
	v_mul_hi_u32 v18, v3, v18
	v_add_nc_u32_e32 v3, v3, v18
	s_delay_alu instid0(VALU_DEP_1) | instskip(NEXT) | instid1(VALU_DEP_1)
	v_mul_hi_u32 v3, v16, v3
	v_mul_lo_u32 v18, v3, s56
	v_add_nc_u32_e32 v19, 1, v3
	s_delay_alu instid0(VALU_DEP_2) | instskip(NEXT) | instid1(VALU_DEP_1)
	v_sub_nc_u32_e32 v18, v16, v18
	v_subrev_nc_u32_e32 v24, s56, v18
	v_cmp_le_u32_e32 vcc_lo, s56, v18
	s_wait_alu 0xfffd
	s_delay_alu instid0(VALU_DEP_2) | instskip(NEXT) | instid1(VALU_DEP_1)
	v_dual_cndmask_b32 v18, v18, v24 :: v_dual_cndmask_b32 v3, v3, v19
	v_cmp_le_u32_e32 vcc_lo, s56, v18
	s_delay_alu instid0(VALU_DEP_2) | instskip(SKIP_1) | instid1(VALU_DEP_1)
	v_add_nc_u32_e32 v19, 1, v3
	s_wait_alu 0xfffd
	v_dual_cndmask_b32 v18, v3, v19 :: v_dual_mov_b32 v19, v2
	s_branch .LBB14_21
.LBB14_38:                              ;   in Loop: Header=BB14_3 Depth=1
	s_load_b64 s[38:39], s[24:25], 0x0
	s_wait_kmcnt 0x0
	v_cmp_gt_i64_e32 vcc_lo, s[38:39], v[4:5]
	s_and_b32 exec_lo, exec_lo, vcc_lo
	s_cbranch_execz .LBB14_2
; %bb.39:                               ;   in Loop: Header=BB14_3 Depth=1
	v_lshlrev_b64_e32 v[8:9], 3, v[10:11]
	v_cmp_lt_i64_e32 vcc_lo, s[4:5], v[6:7]
	s_delay_alu instid0(VALU_DEP_2) | instskip(SKIP_1) | instid1(VALU_DEP_3)
	v_add_co_u32 v6, s0, s10, v8
	s_wait_alu 0xf1ff
	v_add_co_ci_u32_e64 v7, null, s11, v9, s0
	s_and_saveexec_b32 s0, vcc_lo
	s_cbranch_execz .LBB14_41
; %bb.40:                               ;   in Loop: Header=BB14_3 Depth=1
	v_mov_b32_e32 v3, v2
	global_store_b64 v[6:7], v[2:3], off
.LBB14_41:                              ;   in Loop: Header=BB14_3 Depth=1
	s_wait_alu 0xfffe
	s_or_b32 exec_lo, exec_lo, s0
	v_add_co_u32 v3, vcc_lo, v4, 1
	s_wait_alu 0xfffd
	v_add_co_ci_u32_e64 v4, null, 0, v5, vcc_lo
	s_delay_alu instid0(VALU_DEP_2) | instskip(SKIP_1) | instid1(VALU_DEP_2)
	v_sub_co_u32 v8, vcc_lo, v3, v22
	s_wait_alu 0xfffd
	v_sub_co_ci_u32_e64 v9, null, v4, v23, vcc_lo
	v_cmp_gt_i64_e32 vcc_lo, s[38:39], v[3:4]
	s_delay_alu instid0(VALU_DEP_2)
	v_cmp_lt_i64_e64 s0, s[4:5], v[8:9]
	s_and_b32 s0, vcc_lo, s0
	s_wait_alu 0xfffe
	s_and_b32 exec_lo, exec_lo, s0
	s_cbranch_execz .LBB14_2
; %bb.42:                               ;   in Loop: Header=BB14_3 Depth=1
	s_lshl_b64 s[0:1], s[2:3], 3
	v_mov_b32_e32 v3, v2
	s_wait_alu 0xfffe
	v_add_co_u32 v4, vcc_lo, v6, s0
	s_wait_alu 0xfffd
	v_add_co_ci_u32_e64 v5, null, s1, v7, vcc_lo
	global_store_b64 v[4:5], v[2:3], off
	s_branch .LBB14_2
.LBB14_43:
	s_endpgm
	.section	.rodata,"a",@progbits
	.p2align	6, 0x0
	.amdhsa_kernel _ZN2at6native16triu_tril_kernelIllLb0ELi2ELb1EEEvNS_4cuda6detail10TensorInfoIT_T0_EENS4_IKS5_S6_EEllS6_
		.amdhsa_group_segment_fixed_size 0
		.amdhsa_private_segment_fixed_size 0
		.amdhsa_kernarg_size 1112
		.amdhsa_user_sgpr_count 2
		.amdhsa_user_sgpr_dispatch_ptr 0
		.amdhsa_user_sgpr_queue_ptr 0
		.amdhsa_user_sgpr_kernarg_segment_ptr 1
		.amdhsa_user_sgpr_dispatch_id 0
		.amdhsa_user_sgpr_private_segment_size 0
		.amdhsa_wavefront_size32 1
		.amdhsa_uses_dynamic_stack 0
		.amdhsa_enable_private_segment 0
		.amdhsa_system_sgpr_workgroup_id_x 1
		.amdhsa_system_sgpr_workgroup_id_y 0
		.amdhsa_system_sgpr_workgroup_id_z 0
		.amdhsa_system_sgpr_workgroup_info 0
		.amdhsa_system_vgpr_workitem_id 0
		.amdhsa_next_free_vgpr 32
		.amdhsa_next_free_sgpr 75
		.amdhsa_reserve_vcc 1
		.amdhsa_float_round_mode_32 0
		.amdhsa_float_round_mode_16_64 0
		.amdhsa_float_denorm_mode_32 3
		.amdhsa_float_denorm_mode_16_64 3
		.amdhsa_fp16_overflow 0
		.amdhsa_workgroup_processor_mode 1
		.amdhsa_memory_ordered 1
		.amdhsa_forward_progress 1
		.amdhsa_inst_pref_size 66
		.amdhsa_round_robin_scheduling 0
		.amdhsa_exception_fp_ieee_invalid_op 0
		.amdhsa_exception_fp_denorm_src 0
		.amdhsa_exception_fp_ieee_div_zero 0
		.amdhsa_exception_fp_ieee_overflow 0
		.amdhsa_exception_fp_ieee_underflow 0
		.amdhsa_exception_fp_ieee_inexact 0
		.amdhsa_exception_int_div_zero 0
	.end_amdhsa_kernel
	.section	.text._ZN2at6native16triu_tril_kernelIllLb0ELi2ELb1EEEvNS_4cuda6detail10TensorInfoIT_T0_EENS4_IKS5_S6_EEllS6_,"axG",@progbits,_ZN2at6native16triu_tril_kernelIllLb0ELi2ELb1EEEvNS_4cuda6detail10TensorInfoIT_T0_EENS4_IKS5_S6_EEllS6_,comdat
.Lfunc_end14:
	.size	_ZN2at6native16triu_tril_kernelIllLb0ELi2ELb1EEEvNS_4cuda6detail10TensorInfoIT_T0_EENS4_IKS5_S6_EEllS6_, .Lfunc_end14-_ZN2at6native16triu_tril_kernelIllLb0ELi2ELb1EEEvNS_4cuda6detail10TensorInfoIT_T0_EENS4_IKS5_S6_EEllS6_
                                        ; -- End function
	.set _ZN2at6native16triu_tril_kernelIllLb0ELi2ELb1EEEvNS_4cuda6detail10TensorInfoIT_T0_EENS4_IKS5_S6_EEllS6_.num_vgpr, 32
	.set _ZN2at6native16triu_tril_kernelIllLb0ELi2ELb1EEEvNS_4cuda6detail10TensorInfoIT_T0_EENS4_IKS5_S6_EEllS6_.num_agpr, 0
	.set _ZN2at6native16triu_tril_kernelIllLb0ELi2ELb1EEEvNS_4cuda6detail10TensorInfoIT_T0_EENS4_IKS5_S6_EEllS6_.numbered_sgpr, 75
	.set _ZN2at6native16triu_tril_kernelIllLb0ELi2ELb1EEEvNS_4cuda6detail10TensorInfoIT_T0_EENS4_IKS5_S6_EEllS6_.num_named_barrier, 0
	.set _ZN2at6native16triu_tril_kernelIllLb0ELi2ELb1EEEvNS_4cuda6detail10TensorInfoIT_T0_EENS4_IKS5_S6_EEllS6_.private_seg_size, 0
	.set _ZN2at6native16triu_tril_kernelIllLb0ELi2ELb1EEEvNS_4cuda6detail10TensorInfoIT_T0_EENS4_IKS5_S6_EEllS6_.uses_vcc, 1
	.set _ZN2at6native16triu_tril_kernelIllLb0ELi2ELb1EEEvNS_4cuda6detail10TensorInfoIT_T0_EENS4_IKS5_S6_EEllS6_.uses_flat_scratch, 0
	.set _ZN2at6native16triu_tril_kernelIllLb0ELi2ELb1EEEvNS_4cuda6detail10TensorInfoIT_T0_EENS4_IKS5_S6_EEllS6_.has_dyn_sized_stack, 0
	.set _ZN2at6native16triu_tril_kernelIllLb0ELi2ELb1EEEvNS_4cuda6detail10TensorInfoIT_T0_EENS4_IKS5_S6_EEllS6_.has_recursion, 0
	.set _ZN2at6native16triu_tril_kernelIllLb0ELi2ELb1EEEvNS_4cuda6detail10TensorInfoIT_T0_EENS4_IKS5_S6_EEllS6_.has_indirect_call, 0
	.section	.AMDGPU.csdata,"",@progbits
; Kernel info:
; codeLenInByte = 8372
; TotalNumSgprs: 77
; NumVgprs: 32
; ScratchSize: 0
; MemoryBound: 0
; FloatMode: 240
; IeeeMode: 1
; LDSByteSize: 0 bytes/workgroup (compile time only)
; SGPRBlocks: 0
; VGPRBlocks: 3
; NumSGPRsForWavesPerEU: 77
; NumVGPRsForWavesPerEU: 32
; Occupancy: 16
; WaveLimiterHint : 0
; COMPUTE_PGM_RSRC2:SCRATCH_EN: 0
; COMPUTE_PGM_RSRC2:USER_SGPR: 2
; COMPUTE_PGM_RSRC2:TRAP_HANDLER: 0
; COMPUTE_PGM_RSRC2:TGID_X_EN: 1
; COMPUTE_PGM_RSRC2:TGID_Y_EN: 0
; COMPUTE_PGM_RSRC2:TGID_Z_EN: 0
; COMPUTE_PGM_RSRC2:TIDIG_COMP_CNT: 0
	.section	.text._ZN2at6native16triu_tril_kernelIllLb0ELi2ELb0EEEvNS_4cuda6detail10TensorInfoIT_T0_EENS4_IKS5_S6_EEllS6_,"axG",@progbits,_ZN2at6native16triu_tril_kernelIllLb0ELi2ELb0EEEvNS_4cuda6detail10TensorInfoIT_T0_EENS4_IKS5_S6_EEllS6_,comdat
	.protected	_ZN2at6native16triu_tril_kernelIllLb0ELi2ELb0EEEvNS_4cuda6detail10TensorInfoIT_T0_EENS4_IKS5_S6_EEllS6_ ; -- Begin function _ZN2at6native16triu_tril_kernelIllLb0ELi2ELb0EEEvNS_4cuda6detail10TensorInfoIT_T0_EENS4_IKS5_S6_EEllS6_
	.globl	_ZN2at6native16triu_tril_kernelIllLb0ELi2ELb0EEEvNS_4cuda6detail10TensorInfoIT_T0_EENS4_IKS5_S6_EEllS6_
	.p2align	8
	.type	_ZN2at6native16triu_tril_kernelIllLb0ELi2ELb0EEEvNS_4cuda6detail10TensorInfoIT_T0_EENS4_IKS5_S6_EEllS6_,@function
_ZN2at6native16triu_tril_kernelIllLb0ELi2ELb0EEEvNS_4cuda6detail10TensorInfoIT_T0_EENS4_IKS5_S6_EEllS6_: ; @_ZN2at6native16triu_tril_kernelIllLb0ELi2ELb0EEEvNS_4cuda6detail10TensorInfoIT_T0_EENS4_IKS5_S6_EEllS6_
; %bb.0:
	s_clause 0x1
	s_load_b32 s2, s[0:1], 0x364
	s_load_b128 s[4:7], s[0:1], 0x340
	v_mov_b32_e32 v2, 0
	s_delay_alu instid0(VALU_DEP_1) | instskip(SKIP_3) | instid1(VALU_DEP_1)
	v_mov_b32_e32 v1, v2
	s_wait_kmcnt 0x0
	s_and_b32 s16, s2, 0xffff
	s_mov_b32 s2, exec_lo
	v_mad_co_u64_u32 v[0:1], null, s16, ttmp9, v[0:1]
	s_delay_alu instid0(VALU_DEP_1) | instskip(NEXT) | instid1(VALU_DEP_1)
	v_lshlrev_b64_e32 v[0:1], 1, v[0:1]
	v_cmpx_gt_i64_e64 s[6:7], v[0:1]
	s_cbranch_execz .LBB15_38
; %bb.1:
	s_clause 0x1
	s_load_b32 s38, s[0:1], 0x338
	s_load_b64 s[2:3], s[0:1], 0x1a0
	s_add_nc_u64 s[20:21], s[0:1], 0x1a0
	s_load_b64 s[22:23], s[0:1], 0x350
	s_add_nc_u64 s[14:15], s[0:1], 0x358
	s_mov_b32 s27, 0
	s_mov_b32 s63, 0
	s_wait_kmcnt 0x0
	s_ashr_i32 s39, s38, 31
	s_add_co_i32 s28, s38, -3
	s_lshl_b64 s[18:19], s[38:39], 3
	s_ashr_i32 s29, s28, 31
	s_add_nc_u64 s[12:13], s[20:21], s[18:19]
	v_cmp_gt_i64_e64 s62, s[38:39], 2
	s_add_nc_u64 s[8:9], s[12:13], -8
	s_add_nc_u64 s[30:31], s[28:29], -1
	s_load_b128 s[8:11], s[8:9], 0x0
	s_load_b32 s17, s[14:15], 0x0
	s_clause 0x1
	s_load_b64 s[24:25], s[0:1], 0x0
	s_load_b128 s[12:15], s[12:13], 0xc0
	v_cvt_f32_u32_e32 v3, s22
	s_add_nc_u64 s[38:39], s[0:1], 0xc8
	s_delay_alu instid0(VALU_DEP_1)
	v_rcp_iflag_f32_e32 v3, v3
	s_wait_kmcnt 0x0
	v_cvt_f32_u32_e32 v4, s8
	s_mul_i32 s26, s17, s16
	s_add_nc_u64 s[16:17], s[0:1], s[18:19]
	s_lshl_b32 s33, s26, 1
	s_load_b128 s[16:19], s[16:17], 0xc0
	v_rcp_iflag_f32_e32 v4, v4
	s_delay_alu instid0(TRANS32_DEP_2)
	v_mul_f32_e32 v3, 0x4f7ffffe, v3
	s_bitcmp0_b32 s28, 0
	s_cselect_b32 s60, -1, 0
	s_lshl_b64 s[36:37], s[28:29], 3
	s_cmp_lg_u32 s28, 0
	s_add_nc_u64 s[34:35], s[20:21], s[36:37]
	s_add_nc_u64 s[36:37], s[0:1], s[36:37]
	s_cselect_b32 s61, -1, 0
	s_delay_alu instid0(TRANS32_DEP_1) | instskip(SKIP_2) | instid1(VALU_DEP_2)
	v_mul_f32_e32 v4, 0x4f7ffffe, v4
	v_cvt_u32_f32_e32 v16, v3
	s_ashr_i32 s40, s23, 31
	v_cvt_u32_f32_e32 v17, v4
	s_branch .LBB15_3
.LBB15_2:                               ;   in Loop: Header=BB15_3 Depth=1
	s_wait_alu 0xfffe
	s_or_b32 exec_lo, exec_lo, s0
	v_add_co_u32 v0, vcc_lo, v0, s33
	s_wait_alu 0xfffd
	v_add_co_ci_u32_e64 v1, null, 0, v1, vcc_lo
	s_delay_alu instid0(VALU_DEP_1) | instskip(SKIP_1) | instid1(SALU_CYCLE_1)
	v_cmp_le_i64_e32 vcc_lo, s[6:7], v[0:1]
	s_or_b32 s63, vcc_lo, s63
	s_and_not1_b32 exec_lo, exec_lo, s63
	s_cbranch_execz .LBB15_38
.LBB15_3:                               ; =>This Loop Header: Depth=1
                                        ;     Child Loop BB15_21 Depth 2
	v_or_b32_e32 v3, s23, v1
                                        ; implicit-def: $vgpr6_vgpr7
	s_mov_b32 s0, exec_lo
	s_delay_alu instid0(VALU_DEP_1)
	v_cmpx_ne_u64_e32 0, v[2:3]
	s_wait_alu 0xfffe
	s_xor_b32 s1, exec_lo, s0
	s_cbranch_execz .LBB15_5
; %bb.4:                                ;   in Loop: Header=BB15_3 Depth=1
	s_mov_b32 s41, s40
	v_ashrrev_i32_e32 v9, 31, v1
	s_wait_alu 0xfffe
	s_add_nc_u64 s[42:43], s[22:23], s[40:41]
	s_wait_alu 0xfffe
	s_xor_b64 s[42:43], s[42:43], s[40:41]
	v_add_co_u32 v3, vcc_lo, v0, v9
	s_wait_alu 0xfffe
	s_cvt_f32_u32 s0, s42
	s_cvt_f32_u32 s26, s43
	s_sub_nc_u64 s[46:47], 0, s[42:43]
	s_wait_alu 0xfffd
	v_add_co_ci_u32_e64 v4, null, v1, v9, vcc_lo
	s_wait_alu 0xfffe
	s_fmamk_f32 s0, s26, 0x4f800000, s0
	v_xor_b32_e32 v10, v3, v9
	s_delay_alu instid0(VALU_DEP_2) | instskip(SKIP_2) | instid1(TRANS32_DEP_1)
	v_xor_b32_e32 v11, v4, v9
	s_wait_alu 0xfffe
	v_s_rcp_f32 s0, s0
	s_mul_f32 s0, s0, 0x5f7ffffc
	s_wait_alu 0xfffe
	s_delay_alu instid0(SALU_CYCLE_2) | instskip(SKIP_1) | instid1(SALU_CYCLE_2)
	s_mul_f32 s26, s0, 0x2f800000
	s_wait_alu 0xfffe
	s_trunc_f32 s26, s26
	s_wait_alu 0xfffe
	s_delay_alu instid0(SALU_CYCLE_2) | instskip(SKIP_2) | instid1(SALU_CYCLE_1)
	s_fmamk_f32 s0, s26, 0xcf800000, s0
	s_cvt_u32_f32 s45, s26
	s_wait_alu 0xfffe
	s_cvt_u32_f32 s44, s0
	s_wait_alu 0xfffe
	s_delay_alu instid0(SALU_CYCLE_2)
	s_mul_u64 s[48:49], s[46:47], s[44:45]
	s_wait_alu 0xfffe
	s_mul_hi_u32 s51, s44, s49
	s_mul_i32 s50, s44, s49
	s_mul_hi_u32 s26, s44, s48
	s_mul_i32 s41, s45, s48
	s_wait_alu 0xfffe
	s_add_nc_u64 s[50:51], s[26:27], s[50:51]
	s_mul_hi_u32 s0, s45, s48
	s_mul_hi_u32 s52, s45, s49
	s_wait_alu 0xfffe
	s_add_co_u32 s26, s50, s41
	s_add_co_ci_u32 s26, s51, s0
	s_mul_i32 s48, s45, s49
	s_add_co_ci_u32 s49, s52, 0
	s_wait_alu 0xfffe
	s_add_nc_u64 s[48:49], s[26:27], s[48:49]
	s_wait_alu 0xfffe
	s_add_co_u32 s44, s44, s48
	s_cselect_b32 s0, -1, 0
	s_wait_alu 0xfffe
	s_cmp_lg_u32 s0, 0
	s_add_co_ci_u32 s45, s45, s49
	s_wait_alu 0xfffe
	s_mul_u64 s[46:47], s[46:47], s[44:45]
	s_wait_alu 0xfffe
	s_mul_hi_u32 s49, s44, s47
	s_mul_i32 s48, s44, s47
	s_mul_hi_u32 s26, s44, s46
	s_mul_i32 s41, s45, s46
	s_wait_alu 0xfffe
	s_add_nc_u64 s[48:49], s[26:27], s[48:49]
	s_mul_hi_u32 s0, s45, s46
	s_mul_hi_u32 s50, s45, s47
	s_wait_alu 0xfffe
	s_add_co_u32 s26, s48, s41
	s_add_co_ci_u32 s26, s49, s0
	s_mul_i32 s46, s45, s47
	s_add_co_ci_u32 s47, s50, 0
	s_wait_alu 0xfffe
	s_add_nc_u64 s[46:47], s[26:27], s[46:47]
	s_wait_alu 0xfffe
	s_add_co_u32 s0, s44, s46
	s_cselect_b32 s26, -1, 0
	s_wait_alu 0xfffe
	v_mul_hi_u32 v12, v10, s0
	s_cmp_lg_u32 s26, 0
	v_mad_co_u64_u32 v[5:6], null, v11, s0, 0
	s_add_co_ci_u32 s26, s45, s47
	s_wait_alu 0xfffe
	v_mad_co_u64_u32 v[3:4], null, v10, s26, 0
	v_mad_co_u64_u32 v[7:8], null, v11, s26, 0
	s_delay_alu instid0(VALU_DEP_2) | instskip(SKIP_1) | instid1(VALU_DEP_3)
	v_add_co_u32 v3, vcc_lo, v12, v3
	s_wait_alu 0xfffd
	v_add_co_ci_u32_e64 v4, null, 0, v4, vcc_lo
	s_delay_alu instid0(VALU_DEP_2) | instskip(SKIP_1) | instid1(VALU_DEP_2)
	v_add_co_u32 v3, vcc_lo, v3, v5
	s_wait_alu 0xfffd
	v_add_co_ci_u32_e32 v3, vcc_lo, v4, v6, vcc_lo
	s_wait_alu 0xfffd
	v_add_co_ci_u32_e32 v4, vcc_lo, 0, v8, vcc_lo
	s_delay_alu instid0(VALU_DEP_2) | instskip(SKIP_1) | instid1(VALU_DEP_2)
	v_add_co_u32 v5, vcc_lo, v3, v7
	s_wait_alu 0xfffd
	v_add_co_ci_u32_e64 v6, null, 0, v4, vcc_lo
	s_delay_alu instid0(VALU_DEP_2) | instskip(SKIP_1) | instid1(VALU_DEP_3)
	v_mul_lo_u32 v7, s43, v5
	v_mad_co_u64_u32 v[3:4], null, s42, v5, 0
	v_mul_lo_u32 v8, s42, v6
	s_delay_alu instid0(VALU_DEP_2) | instskip(NEXT) | instid1(VALU_DEP_2)
	v_sub_co_u32 v3, vcc_lo, v10, v3
	v_add3_u32 v4, v4, v8, v7
	v_add_co_u32 v8, s0, v5, 2
	s_wait_alu 0xf1ff
	v_add_co_ci_u32_e64 v10, null, 0, v6, s0
	s_delay_alu instid0(VALU_DEP_3) | instskip(SKIP_3) | instid1(VALU_DEP_3)
	v_sub_nc_u32_e32 v7, v11, v4
	v_sub_co_u32 v12, s0, v3, s42
	s_wait_alu 0xfffd
	v_sub_co_ci_u32_e64 v4, null, v11, v4, vcc_lo
	v_subrev_co_ci_u32_e64 v7, null, s43, v7, vcc_lo
	s_delay_alu instid0(VALU_DEP_3) | instskip(SKIP_1) | instid1(VALU_DEP_2)
	v_cmp_le_u32_e32 vcc_lo, s42, v12
	s_wait_alu 0xf1ff
	v_subrev_co_ci_u32_e64 v7, null, 0, v7, s0
	s_wait_alu 0xfffd
	v_cndmask_b32_e64 v11, 0, -1, vcc_lo
	s_delay_alu instid0(VALU_DEP_2)
	v_cmp_le_u32_e32 vcc_lo, s43, v7
	s_wait_alu 0xfffd
	v_cndmask_b32_e64 v12, 0, -1, vcc_lo
	v_cmp_le_u32_e32 vcc_lo, s42, v3
	s_wait_alu 0xfffd
	v_cndmask_b32_e64 v3, 0, -1, vcc_lo
	;; [unrolled: 3-line block ×3, first 2 shown]
	v_cmp_eq_u32_e32 vcc_lo, s43, v7
	s_wait_alu 0xfffd
	v_cndmask_b32_e32 v7, v12, v11, vcc_lo
	v_add_co_u32 v11, vcc_lo, v5, 1
	s_wait_alu 0xfffd
	v_add_co_ci_u32_e64 v12, null, 0, v6, vcc_lo
	v_cmp_eq_u32_e32 vcc_lo, s43, v4
	s_wait_alu 0xfffd
	v_cndmask_b32_e32 v3, v13, v3, vcc_lo
	v_cmp_ne_u32_e32 vcc_lo, 0, v7
	v_xor_b32_e32 v7, s40, v9
	s_wait_alu 0xfffd
	v_cndmask_b32_e32 v4, v12, v10, vcc_lo
	v_cmp_ne_u32_e64 s0, 0, v3
	v_cndmask_b32_e32 v3, v11, v8, vcc_lo
	s_wait_alu 0xf1ff
	s_delay_alu instid0(VALU_DEP_2) | instskip(NEXT) | instid1(VALU_DEP_2)
	v_cndmask_b32_e64 v4, v6, v4, s0
	v_cndmask_b32_e64 v3, v5, v3, s0
	s_delay_alu instid0(VALU_DEP_2) | instskip(NEXT) | instid1(VALU_DEP_2)
	v_xor_b32_e32 v4, v4, v7
	v_xor_b32_e32 v3, v3, v7
	s_delay_alu instid0(VALU_DEP_1) | instskip(SKIP_1) | instid1(VALU_DEP_3)
	v_sub_co_u32 v6, vcc_lo, v3, v7
	s_wait_alu 0xfffd
	v_sub_co_ci_u32_e64 v7, null, v4, v7, vcc_lo
.LBB15_5:                               ;   in Loop: Header=BB15_3 Depth=1
	s_wait_alu 0xfffe
	s_and_not1_saveexec_b32 s0, s1
	s_cbranch_execz .LBB15_7
; %bb.6:                                ;   in Loop: Header=BB15_3 Depth=1
	s_sub_co_i32 s1, 0, s22
	v_mov_b32_e32 v7, v2
	s_wait_alu 0xfffe
	v_mul_lo_u32 v3, s1, v16
	s_delay_alu instid0(VALU_DEP_1) | instskip(NEXT) | instid1(VALU_DEP_1)
	v_mul_hi_u32 v3, v16, v3
	v_add_nc_u32_e32 v3, v16, v3
	s_delay_alu instid0(VALU_DEP_1) | instskip(NEXT) | instid1(VALU_DEP_1)
	v_mul_hi_u32 v3, v0, v3
	v_mul_lo_u32 v4, v3, s22
	s_delay_alu instid0(VALU_DEP_1) | instskip(NEXT) | instid1(VALU_DEP_1)
	v_sub_nc_u32_e32 v4, v0, v4
	v_subrev_nc_u32_e32 v6, s22, v4
	v_cmp_le_u32_e32 vcc_lo, s22, v4
	s_wait_alu 0xfffd
	s_delay_alu instid0(VALU_DEP_2) | instskip(NEXT) | instid1(VALU_DEP_1)
	v_dual_cndmask_b32 v4, v4, v6 :: v_dual_add_nc_u32 v5, 1, v3
	v_cndmask_b32_e32 v3, v3, v5, vcc_lo
	s_delay_alu instid0(VALU_DEP_2) | instskip(NEXT) | instid1(VALU_DEP_2)
	v_cmp_le_u32_e32 vcc_lo, s22, v4
	v_add_nc_u32_e32 v5, 1, v3
	s_wait_alu 0xfffd
	s_delay_alu instid0(VALU_DEP_1)
	v_cndmask_b32_e32 v6, v3, v5, vcc_lo
.LBB15_7:                               ;   in Loop: Header=BB15_3 Depth=1
	s_wait_alu 0xfffe
	s_or_b32 exec_lo, exec_lo, s0
	v_or_b32_e32 v3, s9, v7
                                        ; implicit-def: $vgpr10_vgpr11
	s_mov_b32 s0, exec_lo
	s_delay_alu instid0(VALU_DEP_1)
	v_cmpx_ne_u64_e32 0, v[2:3]
	s_wait_alu 0xfffe
	s_xor_b32 s1, exec_lo, s0
	s_cbranch_execz .LBB15_9
; %bb.8:                                ;   in Loop: Header=BB15_3 Depth=1
	s_ashr_i32 s42, s9, 31
	v_ashrrev_i32_e32 v5, 31, v7
	s_wait_alu 0xfffe
	s_mov_b32 s43, s42
	s_wait_alu 0xfffe
	s_add_nc_u64 s[44:45], s[8:9], s[42:43]
	v_add_co_u32 v3, vcc_lo, v6, v5
	s_wait_alu 0xfffe
	s_xor_b64 s[44:45], s[44:45], s[42:43]
	s_wait_alu 0xfffd
	v_add_co_ci_u32_e64 v4, null, v7, v5, vcc_lo
	s_wait_alu 0xfffe
	s_cvt_f32_u32 s0, s44
	s_cvt_f32_u32 s26, s45
	s_sub_nc_u64 s[48:49], 0, s[44:45]
	v_xor_b32_e32 v12, v3, v5
	v_xor_b32_e32 v13, v4, v5
	s_wait_alu 0xfffe
	s_fmamk_f32 s0, s26, 0x4f800000, s0
	v_xor_b32_e32 v5, s42, v5
	s_wait_alu 0xfffe
	s_delay_alu instid0(SALU_CYCLE_1) | instskip(NEXT) | instid1(TRANS32_DEP_1)
	v_s_rcp_f32 s0, s0
	s_mul_f32 s0, s0, 0x5f7ffffc
	s_wait_alu 0xfffe
	s_delay_alu instid0(SALU_CYCLE_2) | instskip(SKIP_1) | instid1(SALU_CYCLE_2)
	s_mul_f32 s26, s0, 0x2f800000
	s_wait_alu 0xfffe
	s_trunc_f32 s26, s26
	s_wait_alu 0xfffe
	s_delay_alu instid0(SALU_CYCLE_2) | instskip(SKIP_2) | instid1(SALU_CYCLE_1)
	s_fmamk_f32 s0, s26, 0xcf800000, s0
	s_cvt_u32_f32 s47, s26
	s_wait_alu 0xfffe
	s_cvt_u32_f32 s46, s0
	s_wait_alu 0xfffe
	s_delay_alu instid0(SALU_CYCLE_2)
	s_mul_u64 s[50:51], s[48:49], s[46:47]
	s_wait_alu 0xfffe
	s_mul_hi_u32 s53, s46, s51
	s_mul_i32 s52, s46, s51
	s_mul_hi_u32 s26, s46, s50
	s_mul_i32 s41, s47, s50
	s_wait_alu 0xfffe
	s_add_nc_u64 s[52:53], s[26:27], s[52:53]
	s_mul_hi_u32 s0, s47, s50
	s_mul_hi_u32 s43, s47, s51
	s_wait_alu 0xfffe
	s_add_co_u32 s26, s52, s41
	s_add_co_ci_u32 s26, s53, s0
	s_mul_i32 s50, s47, s51
	s_add_co_ci_u32 s51, s43, 0
	s_wait_alu 0xfffe
	s_add_nc_u64 s[50:51], s[26:27], s[50:51]
	s_wait_alu 0xfffe
	s_add_co_u32 s46, s46, s50
	s_cselect_b32 s0, -1, 0
	s_wait_alu 0xfffe
	s_cmp_lg_u32 s0, 0
	s_add_co_ci_u32 s47, s47, s51
	s_wait_alu 0xfffe
	s_mul_u64 s[48:49], s[48:49], s[46:47]
	s_wait_alu 0xfffe
	s_mul_hi_u32 s51, s46, s49
	s_mul_i32 s50, s46, s49
	s_mul_hi_u32 s26, s46, s48
	s_mul_i32 s41, s47, s48
	s_wait_alu 0xfffe
	s_add_nc_u64 s[50:51], s[26:27], s[50:51]
	s_mul_hi_u32 s0, s47, s48
	s_mul_hi_u32 s43, s47, s49
	s_wait_alu 0xfffe
	s_add_co_u32 s26, s50, s41
	s_add_co_ci_u32 s26, s51, s0
	s_mul_i32 s48, s47, s49
	s_add_co_ci_u32 s49, s43, 0
	s_wait_alu 0xfffe
	s_add_nc_u64 s[48:49], s[26:27], s[48:49]
	s_wait_alu 0xfffe
	s_add_co_u32 s0, s46, s48
	s_cselect_b32 s26, -1, 0
	s_wait_alu 0xfffe
	v_mul_hi_u32 v14, v12, s0
	s_cmp_lg_u32 s26, 0
	v_mad_co_u64_u32 v[8:9], null, v13, s0, 0
	s_add_co_ci_u32 s26, s47, s49
	s_wait_alu 0xfffe
	v_mad_co_u64_u32 v[3:4], null, v12, s26, 0
	v_mad_co_u64_u32 v[10:11], null, v13, s26, 0
	s_delay_alu instid0(VALU_DEP_2) | instskip(SKIP_1) | instid1(VALU_DEP_3)
	v_add_co_u32 v3, vcc_lo, v14, v3
	s_wait_alu 0xfffd
	v_add_co_ci_u32_e64 v4, null, 0, v4, vcc_lo
	s_delay_alu instid0(VALU_DEP_2) | instskip(SKIP_1) | instid1(VALU_DEP_2)
	v_add_co_u32 v3, vcc_lo, v3, v8
	s_wait_alu 0xfffd
	v_add_co_ci_u32_e32 v3, vcc_lo, v4, v9, vcc_lo
	s_wait_alu 0xfffd
	v_add_co_ci_u32_e32 v4, vcc_lo, 0, v11, vcc_lo
	s_delay_alu instid0(VALU_DEP_2) | instskip(SKIP_1) | instid1(VALU_DEP_2)
	v_add_co_u32 v8, vcc_lo, v3, v10
	s_wait_alu 0xfffd
	v_add_co_ci_u32_e64 v9, null, 0, v4, vcc_lo
	s_delay_alu instid0(VALU_DEP_2) | instskip(SKIP_1) | instid1(VALU_DEP_3)
	v_mul_lo_u32 v10, s45, v8
	v_mad_co_u64_u32 v[3:4], null, s44, v8, 0
	v_mul_lo_u32 v11, s44, v9
	s_delay_alu instid0(VALU_DEP_2) | instskip(NEXT) | instid1(VALU_DEP_2)
	v_sub_co_u32 v3, vcc_lo, v12, v3
	v_add3_u32 v4, v4, v11, v10
	v_add_co_u32 v11, s0, v8, 2
	s_wait_alu 0xf1ff
	v_add_co_ci_u32_e64 v12, null, 0, v9, s0
	s_delay_alu instid0(VALU_DEP_3) | instskip(SKIP_3) | instid1(VALU_DEP_3)
	v_sub_nc_u32_e32 v10, v13, v4
	v_sub_co_u32 v14, s0, v3, s44
	s_wait_alu 0xfffd
	v_sub_co_ci_u32_e64 v4, null, v13, v4, vcc_lo
	v_subrev_co_ci_u32_e64 v10, null, s45, v10, vcc_lo
	s_delay_alu instid0(VALU_DEP_3) | instskip(SKIP_1) | instid1(VALU_DEP_2)
	v_cmp_le_u32_e32 vcc_lo, s44, v14
	s_wait_alu 0xf1ff
	v_subrev_co_ci_u32_e64 v10, null, 0, v10, s0
	s_wait_alu 0xfffd
	v_cndmask_b32_e64 v13, 0, -1, vcc_lo
	s_delay_alu instid0(VALU_DEP_2)
	v_cmp_le_u32_e32 vcc_lo, s45, v10
	s_wait_alu 0xfffd
	v_cndmask_b32_e64 v14, 0, -1, vcc_lo
	v_cmp_le_u32_e32 vcc_lo, s44, v3
	s_wait_alu 0xfffd
	v_cndmask_b32_e64 v3, 0, -1, vcc_lo
	;; [unrolled: 3-line block ×3, first 2 shown]
	v_cmp_eq_u32_e32 vcc_lo, s45, v10
	s_wait_alu 0xfffd
	v_cndmask_b32_e32 v10, v14, v13, vcc_lo
	v_add_co_u32 v13, vcc_lo, v8, 1
	s_wait_alu 0xfffd
	v_add_co_ci_u32_e64 v14, null, 0, v9, vcc_lo
	v_cmp_eq_u32_e32 vcc_lo, s45, v4
	s_wait_alu 0xfffd
	v_cndmask_b32_e32 v3, v15, v3, vcc_lo
	v_cmp_ne_u32_e32 vcc_lo, 0, v10
	s_delay_alu instid0(VALU_DEP_2) | instskip(SKIP_3) | instid1(VALU_DEP_1)
	v_cmp_ne_u32_e64 s0, 0, v3
	s_wait_alu 0xfffd
	v_dual_cndmask_b32 v4, v14, v12 :: v_dual_cndmask_b32 v3, v13, v11
	s_wait_alu 0xf1ff
	v_cndmask_b32_e64 v4, v9, v4, s0
	s_delay_alu instid0(VALU_DEP_2) | instskip(NEXT) | instid1(VALU_DEP_2)
	v_cndmask_b32_e64 v3, v8, v3, s0
	v_xor_b32_e32 v4, v4, v5
	s_delay_alu instid0(VALU_DEP_2) | instskip(NEXT) | instid1(VALU_DEP_1)
	v_xor_b32_e32 v3, v3, v5
	v_sub_co_u32 v10, vcc_lo, v3, v5
	s_wait_alu 0xfffd
	s_delay_alu instid0(VALU_DEP_3)
	v_sub_co_ci_u32_e64 v11, null, v4, v5, vcc_lo
.LBB15_9:                               ;   in Loop: Header=BB15_3 Depth=1
	s_wait_alu 0xfffe
	s_and_not1_saveexec_b32 s0, s1
	s_cbranch_execz .LBB15_11
; %bb.10:                               ;   in Loop: Header=BB15_3 Depth=1
	s_sub_co_i32 s1, 0, s8
	v_mov_b32_e32 v11, v2
	s_wait_alu 0xfffe
	v_mul_lo_u32 v3, s1, v17
	s_delay_alu instid0(VALU_DEP_1) | instskip(NEXT) | instid1(VALU_DEP_1)
	v_mul_hi_u32 v3, v17, v3
	v_add_nc_u32_e32 v3, v17, v3
	s_delay_alu instid0(VALU_DEP_1) | instskip(NEXT) | instid1(VALU_DEP_1)
	v_mul_hi_u32 v3, v6, v3
	v_mul_lo_u32 v4, v3, s8
	v_add_nc_u32_e32 v5, 1, v3
	s_delay_alu instid0(VALU_DEP_2) | instskip(NEXT) | instid1(VALU_DEP_1)
	v_sub_nc_u32_e32 v4, v6, v4
	v_subrev_nc_u32_e32 v8, s8, v4
	v_cmp_le_u32_e32 vcc_lo, s8, v4
	s_wait_alu 0xfffd
	s_delay_alu instid0(VALU_DEP_2) | instskip(NEXT) | instid1(VALU_DEP_1)
	v_dual_cndmask_b32 v4, v4, v8 :: v_dual_cndmask_b32 v3, v3, v5
	v_cmp_le_u32_e32 vcc_lo, s8, v4
	s_delay_alu instid0(VALU_DEP_2) | instskip(SKIP_1) | instid1(VALU_DEP_1)
	v_add_nc_u32_e32 v5, 1, v3
	s_wait_alu 0xfffd
	v_cndmask_b32_e32 v10, v3, v5, vcc_lo
.LBB15_11:                              ;   in Loop: Header=BB15_3 Depth=1
	s_wait_alu 0xfffe
	s_or_b32 exec_lo, exec_lo, s0
	v_mul_lo_u32 v5, v7, s22
	v_mul_lo_u32 v12, v6, s23
	v_mad_co_u64_u32 v[3:4], null, v6, s22, 0
	v_mul_lo_u32 v13, v11, s8
	v_mul_lo_u32 v14, v10, s9
	v_mad_co_u64_u32 v[8:9], null, v10, s8, 0
	s_delay_alu instid0(VALU_DEP_4) | instskip(SKIP_1) | instid1(VALU_DEP_3)
	v_add3_u32 v5, v4, v12, v5
	v_sub_co_u32 v4, vcc_lo, v0, v3
	v_add3_u32 v3, v9, v14, v13
	s_wait_alu 0xfffd
	s_delay_alu instid0(VALU_DEP_3) | instskip(NEXT) | instid1(VALU_DEP_3)
	v_sub_co_ci_u32_e64 v5, null, v1, v5, vcc_lo
	v_mul_lo_u32 v9, s15, v4
	v_mad_co_u64_u32 v[12:13], null, s14, v4, 0
	s_wait_kmcnt 0x0
	v_mul_lo_u32 v20, s19, v4
	v_mul_lo_u32 v21, s14, v5
	;; [unrolled: 1-line block ×3, first 2 shown]
	v_mad_co_u64_u32 v[14:15], null, s18, v4, 0
	v_sub_co_u32 v18, vcc_lo, v6, v8
	s_wait_alu 0xfffd
	v_sub_co_ci_u32_e64 v19, null, v7, v3, vcc_lo
	v_add3_u32 v13, v13, v21, v9
	s_delay_alu instid0(VALU_DEP_3) | instskip(SKIP_1) | instid1(VALU_DEP_4)
	v_mul_lo_u32 v3, s13, v18
	v_add3_u32 v15, v15, v22, v20
	v_mul_lo_u32 v21, s12, v19
	s_and_not1_b32 vcc_lo, exec_lo, s62
	v_mad_co_u64_u32 v[8:9], null, s12, v18, v[12:13]
	v_mul_lo_u32 v12, s16, v19
	v_mul_lo_u32 v13, s17, v18
	v_mad_co_u64_u32 v[6:7], null, s16, v18, v[14:15]
	s_delay_alu instid0(VALU_DEP_4) | instskip(NEXT) | instid1(VALU_DEP_2)
	v_add3_u32 v9, v3, v9, v21
	v_add3_u32 v7, v13, v7, v12
	s_wait_alu 0xfffe
	s_cbranch_vccnz .LBB15_29
; %bb.12:                               ;   in Loop: Header=BB15_3 Depth=1
	s_and_not1_b32 vcc_lo, exec_lo, s60
	s_wait_alu 0xfffe
	s_cbranch_vccnz .LBB15_18
; %bb.13:                               ;   in Loop: Header=BB15_3 Depth=1
	s_load_b64 s[42:43], s[34:35], 0x8
                                        ; implicit-def: $vgpr12_vgpr13
	s_mov_b32 s0, exec_lo
	s_wait_kmcnt 0x0
	v_or_b32_e32 v3, s43, v11
	s_delay_alu instid0(VALU_DEP_1)
	v_cmpx_ne_u64_e32 0, v[2:3]
	s_wait_alu 0xfffe
	s_xor_b32 s1, exec_lo, s0
	s_cbranch_execz .LBB15_15
; %bb.14:                               ;   in Loop: Header=BB15_3 Depth=1
	s_ashr_i32 s44, s43, 31
	v_ashrrev_i32_e32 v3, 31, v11
	s_wait_alu 0xfffe
	s_mov_b32 s45, s44
	s_wait_alu 0xfffe
	s_add_nc_u64 s[46:47], s[42:43], s[44:45]
	v_add_co_u32 v12, vcc_lo, v10, v3
	s_wait_alu 0xfffe
	s_xor_b64 s[46:47], s[46:47], s[44:45]
	s_wait_alu 0xfffd
	v_add_co_ci_u32_e64 v13, null, v11, v3, vcc_lo
	s_wait_alu 0xfffe
	s_cvt_f32_u32 s0, s46
	s_cvt_f32_u32 s26, s47
	s_sub_nc_u64 s[50:51], 0, s[46:47]
	v_xor_b32_e32 v22, v12, v3
	v_xor_b32_e32 v23, v13, v3
	s_wait_alu 0xfffe
	s_fmamk_f32 s0, s26, 0x4f800000, s0
	v_xor_b32_e32 v3, s44, v3
	s_wait_alu 0xfffe
	s_delay_alu instid0(SALU_CYCLE_1) | instskip(NEXT) | instid1(TRANS32_DEP_1)
	v_s_rcp_f32 s0, s0
	s_mul_f32 s0, s0, 0x5f7ffffc
	s_wait_alu 0xfffe
	s_delay_alu instid0(SALU_CYCLE_2) | instskip(SKIP_1) | instid1(SALU_CYCLE_2)
	s_mul_f32 s26, s0, 0x2f800000
	s_wait_alu 0xfffe
	s_trunc_f32 s26, s26
	s_wait_alu 0xfffe
	s_delay_alu instid0(SALU_CYCLE_2) | instskip(SKIP_2) | instid1(SALU_CYCLE_1)
	s_fmamk_f32 s0, s26, 0xcf800000, s0
	s_cvt_u32_f32 s49, s26
	s_wait_alu 0xfffe
	s_cvt_u32_f32 s48, s0
	s_wait_alu 0xfffe
	s_delay_alu instid0(SALU_CYCLE_2)
	s_mul_u64 s[52:53], s[50:51], s[48:49]
	s_wait_alu 0xfffe
	s_mul_hi_u32 s55, s48, s53
	s_mul_i32 s54, s48, s53
	s_mul_hi_u32 s26, s48, s52
	s_mul_i32 s41, s49, s52
	s_wait_alu 0xfffe
	s_add_nc_u64 s[54:55], s[26:27], s[54:55]
	s_mul_hi_u32 s0, s49, s52
	s_mul_hi_u32 s45, s49, s53
	s_wait_alu 0xfffe
	s_add_co_u32 s26, s54, s41
	s_add_co_ci_u32 s26, s55, s0
	s_mul_i32 s52, s49, s53
	s_add_co_ci_u32 s53, s45, 0
	s_wait_alu 0xfffe
	s_add_nc_u64 s[52:53], s[26:27], s[52:53]
	s_wait_alu 0xfffe
	s_add_co_u32 s48, s48, s52
	s_cselect_b32 s0, -1, 0
	s_wait_alu 0xfffe
	s_cmp_lg_u32 s0, 0
	s_add_co_ci_u32 s49, s49, s53
	s_wait_alu 0xfffe
	s_mul_u64 s[50:51], s[50:51], s[48:49]
	s_wait_alu 0xfffe
	s_mul_hi_u32 s53, s48, s51
	s_mul_i32 s52, s48, s51
	s_mul_hi_u32 s26, s48, s50
	s_mul_i32 s41, s49, s50
	s_wait_alu 0xfffe
	s_add_nc_u64 s[52:53], s[26:27], s[52:53]
	s_mul_hi_u32 s0, s49, s50
	s_mul_hi_u32 s45, s49, s51
	s_wait_alu 0xfffe
	s_add_co_u32 s26, s52, s41
	s_add_co_ci_u32 s26, s53, s0
	s_mul_i32 s50, s49, s51
	s_add_co_ci_u32 s51, s45, 0
	s_wait_alu 0xfffe
	s_add_nc_u64 s[50:51], s[26:27], s[50:51]
	s_wait_alu 0xfffe
	s_add_co_u32 s0, s48, s50
	s_cselect_b32 s26, -1, 0
	s_wait_alu 0xfffe
	v_mul_hi_u32 v24, v22, s0
	s_cmp_lg_u32 s26, 0
	v_mad_co_u64_u32 v[14:15], null, v23, s0, 0
	s_add_co_ci_u32 s26, s49, s51
	s_wait_alu 0xfffe
	v_mad_co_u64_u32 v[12:13], null, v22, s26, 0
	v_mad_co_u64_u32 v[20:21], null, v23, s26, 0
	s_delay_alu instid0(VALU_DEP_2) | instskip(SKIP_1) | instid1(VALU_DEP_3)
	v_add_co_u32 v12, vcc_lo, v24, v12
	s_wait_alu 0xfffd
	v_add_co_ci_u32_e64 v13, null, 0, v13, vcc_lo
	s_delay_alu instid0(VALU_DEP_2) | instskip(SKIP_1) | instid1(VALU_DEP_2)
	v_add_co_u32 v12, vcc_lo, v12, v14
	s_wait_alu 0xfffd
	v_add_co_ci_u32_e32 v12, vcc_lo, v13, v15, vcc_lo
	s_wait_alu 0xfffd
	v_add_co_ci_u32_e32 v13, vcc_lo, 0, v21, vcc_lo
	s_delay_alu instid0(VALU_DEP_2) | instskip(SKIP_1) | instid1(VALU_DEP_2)
	v_add_co_u32 v14, vcc_lo, v12, v20
	s_wait_alu 0xfffd
	v_add_co_ci_u32_e64 v15, null, 0, v13, vcc_lo
	s_delay_alu instid0(VALU_DEP_2) | instskip(SKIP_1) | instid1(VALU_DEP_3)
	v_mul_lo_u32 v20, s47, v14
	v_mad_co_u64_u32 v[12:13], null, s46, v14, 0
	v_mul_lo_u32 v21, s46, v15
	s_delay_alu instid0(VALU_DEP_2) | instskip(NEXT) | instid1(VALU_DEP_2)
	v_sub_co_u32 v12, vcc_lo, v22, v12
	v_add3_u32 v13, v13, v21, v20
	v_add_co_u32 v21, s0, v14, 2
	s_wait_alu 0xf1ff
	v_add_co_ci_u32_e64 v22, null, 0, v15, s0
	s_delay_alu instid0(VALU_DEP_3) | instskip(SKIP_3) | instid1(VALU_DEP_3)
	v_sub_nc_u32_e32 v20, v23, v13
	v_sub_co_u32 v24, s0, v12, s46
	s_wait_alu 0xfffd
	v_sub_co_ci_u32_e64 v13, null, v23, v13, vcc_lo
	v_subrev_co_ci_u32_e64 v20, null, s47, v20, vcc_lo
	s_delay_alu instid0(VALU_DEP_3) | instskip(SKIP_1) | instid1(VALU_DEP_2)
	v_cmp_le_u32_e32 vcc_lo, s46, v24
	s_wait_alu 0xf1ff
	v_subrev_co_ci_u32_e64 v20, null, 0, v20, s0
	s_wait_alu 0xfffd
	v_cndmask_b32_e64 v23, 0, -1, vcc_lo
	s_delay_alu instid0(VALU_DEP_2)
	v_cmp_le_u32_e32 vcc_lo, s47, v20
	s_wait_alu 0xfffd
	v_cndmask_b32_e64 v24, 0, -1, vcc_lo
	v_cmp_le_u32_e32 vcc_lo, s46, v12
	s_wait_alu 0xfffd
	v_cndmask_b32_e64 v12, 0, -1, vcc_lo
	;; [unrolled: 3-line block ×3, first 2 shown]
	v_cmp_eq_u32_e32 vcc_lo, s47, v20
	s_wait_alu 0xfffd
	v_cndmask_b32_e32 v20, v24, v23, vcc_lo
	v_add_co_u32 v23, vcc_lo, v14, 1
	s_wait_alu 0xfffd
	v_add_co_ci_u32_e64 v24, null, 0, v15, vcc_lo
	v_cmp_eq_u32_e32 vcc_lo, s47, v13
	s_wait_alu 0xfffd
	v_cndmask_b32_e32 v12, v25, v12, vcc_lo
	v_cmp_ne_u32_e32 vcc_lo, 0, v20
	s_wait_alu 0xfffd
	v_cndmask_b32_e32 v13, v24, v22, vcc_lo
	s_delay_alu instid0(VALU_DEP_3) | instskip(SKIP_2) | instid1(VALU_DEP_2)
	v_cmp_ne_u32_e64 s0, 0, v12
	v_cndmask_b32_e32 v12, v23, v21, vcc_lo
	s_wait_alu 0xf1ff
	v_cndmask_b32_e64 v13, v15, v13, s0
	s_delay_alu instid0(VALU_DEP_2) | instskip(NEXT) | instid1(VALU_DEP_2)
	v_cndmask_b32_e64 v12, v14, v12, s0
	v_xor_b32_e32 v13, v13, v3
	s_delay_alu instid0(VALU_DEP_2) | instskip(NEXT) | instid1(VALU_DEP_1)
	v_xor_b32_e32 v12, v12, v3
	v_sub_co_u32 v12, vcc_lo, v12, v3
	s_wait_alu 0xfffd
	s_delay_alu instid0(VALU_DEP_3)
	v_sub_co_ci_u32_e64 v13, null, v13, v3, vcc_lo
.LBB15_15:                              ;   in Loop: Header=BB15_3 Depth=1
	s_wait_alu 0xfffe
	s_and_not1_saveexec_b32 s0, s1
	s_cbranch_execz .LBB15_17
; %bb.16:                               ;   in Loop: Header=BB15_3 Depth=1
	v_cvt_f32_u32_e32 v3, s42
	s_sub_co_i32 s1, 0, s42
	s_delay_alu instid0(VALU_DEP_1) | instskip(NEXT) | instid1(TRANS32_DEP_1)
	v_rcp_iflag_f32_e32 v3, v3
	v_mul_f32_e32 v3, 0x4f7ffffe, v3
	s_delay_alu instid0(VALU_DEP_1) | instskip(SKIP_1) | instid1(VALU_DEP_1)
	v_cvt_u32_f32_e32 v3, v3
	s_wait_alu 0xfffe
	v_mul_lo_u32 v12, s1, v3
	s_delay_alu instid0(VALU_DEP_1) | instskip(NEXT) | instid1(VALU_DEP_1)
	v_mul_hi_u32 v12, v3, v12
	v_add_nc_u32_e32 v3, v3, v12
	s_delay_alu instid0(VALU_DEP_1) | instskip(NEXT) | instid1(VALU_DEP_1)
	v_mul_hi_u32 v3, v10, v3
	v_mul_lo_u32 v12, v3, s42
	v_add_nc_u32_e32 v13, 1, v3
	s_delay_alu instid0(VALU_DEP_2) | instskip(NEXT) | instid1(VALU_DEP_1)
	v_sub_nc_u32_e32 v12, v10, v12
	v_subrev_nc_u32_e32 v14, s42, v12
	v_cmp_le_u32_e32 vcc_lo, s42, v12
	s_wait_alu 0xfffd
	s_delay_alu instid0(VALU_DEP_2) | instskip(NEXT) | instid1(VALU_DEP_1)
	v_dual_cndmask_b32 v12, v12, v14 :: v_dual_cndmask_b32 v3, v3, v13
	v_cmp_le_u32_e32 vcc_lo, s42, v12
	s_delay_alu instid0(VALU_DEP_2) | instskip(SKIP_1) | instid1(VALU_DEP_1)
	v_add_nc_u32_e32 v13, 1, v3
	s_wait_alu 0xfffd
	v_dual_cndmask_b32 v12, v3, v13 :: v_dual_mov_b32 v13, v2
.LBB15_17:                              ;   in Loop: Header=BB15_3 Depth=1
	s_wait_alu 0xfffe
	s_or_b32 exec_lo, exec_lo, s0
	s_delay_alu instid0(VALU_DEP_1) | instskip(NEXT) | instid1(VALU_DEP_2)
	v_mul_lo_u32 v3, v13, s42
	v_mul_lo_u32 v20, v12, s43
	s_load_b64 s[0:1], s[34:35], 0xd0
	v_mad_co_u64_u32 v[14:15], null, v12, s42, 0
	s_load_b64 s[42:43], s[36:37], 0xd0
	v_add3_u32 v3, v15, v20, v3
	v_sub_co_u32 v10, vcc_lo, v10, v14
	s_wait_alu 0xfffd
	s_delay_alu instid0(VALU_DEP_2) | instskip(SKIP_1) | instid1(VALU_DEP_1)
	v_sub_co_ci_u32_e64 v3, null, v11, v3, vcc_lo
	s_wait_kmcnt 0x0
	v_mul_lo_u32 v11, s0, v3
	v_mul_lo_u32 v14, s1, v10
	v_mad_co_u64_u32 v[8:9], null, s0, v10, v[8:9]
	v_mul_lo_u32 v3, s42, v3
	v_mul_lo_u32 v15, s43, v10
	v_mad_co_u64_u32 v[6:7], null, s42, v10, v[6:7]
	s_mov_b64 s[0:1], s[30:31]
	v_add3_u32 v9, v14, v9, v11
	v_dual_mov_b32 v10, v12 :: v_dual_mov_b32 v11, v13
	v_add3_u32 v7, v15, v7, v3
	s_and_not1_b32 vcc_lo, exec_lo, s61
	s_wait_alu 0xfffe
	s_cbranch_vccz .LBB15_19
	s_branch .LBB15_29
.LBB15_18:                              ;   in Loop: Header=BB15_3 Depth=1
	s_mov_b64 s[0:1], s[28:29]
	s_and_not1_b32 vcc_lo, exec_lo, s61
	s_wait_alu 0xfffe
	s_cbranch_vccnz .LBB15_29
.LBB15_19:                              ;   in Loop: Header=BB15_3 Depth=1
	s_lshl_b64 s[44:45], s[0:1], 3
	s_add_nc_u64 s[46:47], s[0:1], 1
	s_wait_alu 0xfffe
	s_add_nc_u64 s[42:43], s[38:39], s[44:45]
	s_add_nc_u64 s[44:45], s[20:21], s[44:45]
	s_branch .LBB15_21
.LBB15_20:                              ;   in Loop: Header=BB15_21 Depth=2
	s_wait_alu 0xfffe
	s_or_b32 exec_lo, exec_lo, s0
	v_mul_lo_u32 v3, v13, s48
	v_mul_lo_u32 v24, v12, s49
	v_mad_co_u64_u32 v[20:21], null, v12, s48, 0
	s_load_b64 s[0:1], s[44:45], 0xc8
	s_load_b64 s[48:49], s[42:43], 0x0
	v_mul_lo_u32 v25, v15, s54
	v_mul_lo_u32 v26, v14, s55
	v_mad_co_u64_u32 v[22:23], null, v14, s54, 0
	v_add3_u32 v3, v21, v24, v3
	v_sub_co_u32 v10, vcc_lo, v10, v20
	s_add_nc_u64 s[46:47], s[46:47], -2
	s_add_nc_u64 s[42:43], s[42:43], -16
	s_wait_alu 0xfffd
	v_sub_co_ci_u32_e64 v3, null, v11, v3, vcc_lo
	v_mul_lo_u32 v11, s53, v10
	v_mad_co_u64_u32 v[8:9], null, s52, v10, v[8:9]
	s_delay_alu instid0(VALU_DEP_3)
	v_mul_lo_u32 v20, s52, v3
	v_mul_lo_u32 v21, s51, v10
	v_mad_co_u64_u32 v[6:7], null, s50, v10, v[6:7]
	v_mul_lo_u32 v3, s50, v3
	v_add3_u32 v10, v23, v26, v25
	s_wait_alu 0xfffe
	s_cmp_eq_u64 s[46:47], 0
	s_add_nc_u64 s[44:45], s[44:45], -16
	v_add3_u32 v9, v11, v9, v20
	v_sub_co_u32 v11, vcc_lo, v12, v22
	s_wait_alu 0xfffd
	v_sub_co_ci_u32_e64 v10, null, v13, v10, vcc_lo
	v_add3_u32 v7, v21, v7, v3
	s_wait_kmcnt 0x0
	v_mad_co_u64_u32 v[8:9], null, s0, v11, v[8:9]
	s_delay_alu instid0(VALU_DEP_3) | instskip(SKIP_4) | instid1(VALU_DEP_4)
	v_mul_lo_u32 v3, s0, v10
	v_mul_lo_u32 v12, s1, v11
	v_mul_lo_u32 v10, s48, v10
	v_mul_lo_u32 v13, s49, v11
	v_mad_co_u64_u32 v[6:7], null, s48, v11, v[6:7]
	v_add3_u32 v9, v12, v9, v3
	s_delay_alu instid0(VALU_DEP_2)
	v_add3_u32 v7, v13, v7, v10
	v_dual_mov_b32 v10, v14 :: v_dual_mov_b32 v11, v15
	s_cbranch_scc1 .LBB15_29
.LBB15_21:                              ;   Parent Loop BB15_3 Depth=1
                                        ; =>  This Inner Loop Header: Depth=2
	s_load_b64 s[48:49], s[44:45], 0x8
                                        ; implicit-def: $vgpr12_vgpr13
	s_mov_b32 s0, exec_lo
	s_wait_kmcnt 0x0
	v_or_b32_e32 v3, s49, v11
	s_delay_alu instid0(VALU_DEP_1)
	v_cmpx_ne_u64_e32 0, v[2:3]
	s_wait_alu 0xfffe
	s_xor_b32 s1, exec_lo, s0
	s_cbranch_execz .LBB15_23
; %bb.22:                               ;   in Loop: Header=BB15_21 Depth=2
	s_ashr_i32 s50, s49, 31
	v_ashrrev_i32_e32 v3, 31, v11
	s_wait_alu 0xfffe
	s_mov_b32 s51, s50
	s_wait_alu 0xfffe
	s_add_nc_u64 s[52:53], s[48:49], s[50:51]
	v_add_co_u32 v12, vcc_lo, v10, v3
	s_wait_alu 0xfffe
	s_xor_b64 s[52:53], s[52:53], s[50:51]
	s_wait_alu 0xfffd
	v_add_co_ci_u32_e64 v13, null, v11, v3, vcc_lo
	s_wait_alu 0xfffe
	s_cvt_f32_u32 s0, s52
	s_cvt_f32_u32 s26, s53
	s_sub_nc_u64 s[56:57], 0, s[52:53]
	v_xor_b32_e32 v22, v12, v3
	v_xor_b32_e32 v23, v13, v3
	s_wait_alu 0xfffe
	s_fmamk_f32 s0, s26, 0x4f800000, s0
	v_xor_b32_e32 v3, s50, v3
	s_wait_alu 0xfffe
	s_delay_alu instid0(SALU_CYCLE_1) | instskip(NEXT) | instid1(TRANS32_DEP_1)
	v_s_rcp_f32 s0, s0
	s_mul_f32 s0, s0, 0x5f7ffffc
	s_wait_alu 0xfffe
	s_delay_alu instid0(SALU_CYCLE_2) | instskip(SKIP_1) | instid1(SALU_CYCLE_2)
	s_mul_f32 s26, s0, 0x2f800000
	s_wait_alu 0xfffe
	s_trunc_f32 s26, s26
	s_wait_alu 0xfffe
	s_delay_alu instid0(SALU_CYCLE_2) | instskip(SKIP_2) | instid1(SALU_CYCLE_1)
	s_fmamk_f32 s0, s26, 0xcf800000, s0
	s_cvt_u32_f32 s55, s26
	s_wait_alu 0xfffe
	s_cvt_u32_f32 s54, s0
	s_wait_alu 0xfffe
	s_delay_alu instid0(SALU_CYCLE_2)
	s_mul_u64 s[58:59], s[56:57], s[54:55]
	s_wait_alu 0xfffe
	s_mul_hi_u32 s65, s54, s59
	s_mul_i32 s64, s54, s59
	s_mul_hi_u32 s26, s54, s58
	s_mul_i32 s41, s55, s58
	s_wait_alu 0xfffe
	s_add_nc_u64 s[64:65], s[26:27], s[64:65]
	s_mul_hi_u32 s0, s55, s58
	s_mul_hi_u32 s51, s55, s59
	s_add_co_u32 s26, s64, s41
	s_wait_alu 0xfffe
	s_add_co_ci_u32 s26, s65, s0
	s_mul_i32 s58, s55, s59
	s_add_co_ci_u32 s59, s51, 0
	s_wait_alu 0xfffe
	s_add_nc_u64 s[58:59], s[26:27], s[58:59]
	s_wait_alu 0xfffe
	s_add_co_u32 s54, s54, s58
	s_cselect_b32 s0, -1, 0
	s_wait_alu 0xfffe
	s_cmp_lg_u32 s0, 0
	s_add_co_ci_u32 s55, s55, s59
	s_wait_alu 0xfffe
	s_mul_u64 s[56:57], s[56:57], s[54:55]
	s_wait_alu 0xfffe
	s_mul_hi_u32 s59, s54, s57
	s_mul_i32 s58, s54, s57
	s_mul_hi_u32 s26, s54, s56
	s_mul_i32 s41, s55, s56
	s_wait_alu 0xfffe
	s_add_nc_u64 s[58:59], s[26:27], s[58:59]
	s_mul_hi_u32 s0, s55, s56
	s_mul_hi_u32 s51, s55, s57
	s_wait_alu 0xfffe
	s_add_co_u32 s26, s58, s41
	s_add_co_ci_u32 s26, s59, s0
	s_mul_i32 s56, s55, s57
	s_add_co_ci_u32 s57, s51, 0
	s_wait_alu 0xfffe
	s_add_nc_u64 s[56:57], s[26:27], s[56:57]
	s_wait_alu 0xfffe
	s_add_co_u32 s0, s54, s56
	s_cselect_b32 s26, -1, 0
	s_wait_alu 0xfffe
	v_mul_hi_u32 v24, v22, s0
	s_cmp_lg_u32 s26, 0
	v_mad_co_u64_u32 v[14:15], null, v23, s0, 0
	s_add_co_ci_u32 s26, s55, s57
	s_wait_alu 0xfffe
	v_mad_co_u64_u32 v[12:13], null, v22, s26, 0
	v_mad_co_u64_u32 v[20:21], null, v23, s26, 0
	s_delay_alu instid0(VALU_DEP_2) | instskip(SKIP_1) | instid1(VALU_DEP_3)
	v_add_co_u32 v12, vcc_lo, v24, v12
	s_wait_alu 0xfffd
	v_add_co_ci_u32_e64 v13, null, 0, v13, vcc_lo
	s_delay_alu instid0(VALU_DEP_2) | instskip(SKIP_1) | instid1(VALU_DEP_2)
	v_add_co_u32 v12, vcc_lo, v12, v14
	s_wait_alu 0xfffd
	v_add_co_ci_u32_e32 v12, vcc_lo, v13, v15, vcc_lo
	s_wait_alu 0xfffd
	v_add_co_ci_u32_e32 v13, vcc_lo, 0, v21, vcc_lo
	s_delay_alu instid0(VALU_DEP_2) | instskip(SKIP_1) | instid1(VALU_DEP_2)
	v_add_co_u32 v14, vcc_lo, v12, v20
	s_wait_alu 0xfffd
	v_add_co_ci_u32_e64 v15, null, 0, v13, vcc_lo
	s_delay_alu instid0(VALU_DEP_2) | instskip(SKIP_1) | instid1(VALU_DEP_3)
	v_mul_lo_u32 v20, s53, v14
	v_mad_co_u64_u32 v[12:13], null, s52, v14, 0
	v_mul_lo_u32 v21, s52, v15
	s_delay_alu instid0(VALU_DEP_2) | instskip(NEXT) | instid1(VALU_DEP_2)
	v_sub_co_u32 v12, vcc_lo, v22, v12
	v_add3_u32 v13, v13, v21, v20
	v_add_co_u32 v21, s0, v14, 2
	s_wait_alu 0xf1ff
	v_add_co_ci_u32_e64 v22, null, 0, v15, s0
	s_delay_alu instid0(VALU_DEP_3) | instskip(SKIP_3) | instid1(VALU_DEP_3)
	v_sub_nc_u32_e32 v20, v23, v13
	v_sub_co_u32 v24, s0, v12, s52
	s_wait_alu 0xfffd
	v_sub_co_ci_u32_e64 v13, null, v23, v13, vcc_lo
	v_subrev_co_ci_u32_e64 v20, null, s53, v20, vcc_lo
	s_delay_alu instid0(VALU_DEP_3) | instskip(SKIP_1) | instid1(VALU_DEP_2)
	v_cmp_le_u32_e32 vcc_lo, s52, v24
	s_wait_alu 0xf1ff
	v_subrev_co_ci_u32_e64 v20, null, 0, v20, s0
	s_wait_alu 0xfffd
	v_cndmask_b32_e64 v23, 0, -1, vcc_lo
	s_delay_alu instid0(VALU_DEP_2)
	v_cmp_le_u32_e32 vcc_lo, s53, v20
	s_wait_alu 0xfffd
	v_cndmask_b32_e64 v24, 0, -1, vcc_lo
	v_cmp_le_u32_e32 vcc_lo, s52, v12
	s_wait_alu 0xfffd
	v_cndmask_b32_e64 v12, 0, -1, vcc_lo
	;; [unrolled: 3-line block ×3, first 2 shown]
	v_cmp_eq_u32_e32 vcc_lo, s53, v20
	s_wait_alu 0xfffd
	v_cndmask_b32_e32 v20, v24, v23, vcc_lo
	v_add_co_u32 v23, vcc_lo, v14, 1
	s_wait_alu 0xfffd
	v_add_co_ci_u32_e64 v24, null, 0, v15, vcc_lo
	v_cmp_eq_u32_e32 vcc_lo, s53, v13
	s_wait_alu 0xfffd
	v_cndmask_b32_e32 v12, v25, v12, vcc_lo
	v_cmp_ne_u32_e32 vcc_lo, 0, v20
	s_wait_alu 0xfffd
	v_cndmask_b32_e32 v13, v24, v22, vcc_lo
	s_delay_alu instid0(VALU_DEP_3) | instskip(SKIP_2) | instid1(VALU_DEP_2)
	v_cmp_ne_u32_e64 s0, 0, v12
	v_cndmask_b32_e32 v12, v23, v21, vcc_lo
	s_wait_alu 0xf1ff
	v_cndmask_b32_e64 v13, v15, v13, s0
	s_delay_alu instid0(VALU_DEP_2) | instskip(NEXT) | instid1(VALU_DEP_2)
	v_cndmask_b32_e64 v12, v14, v12, s0
	v_xor_b32_e32 v13, v13, v3
	s_delay_alu instid0(VALU_DEP_2) | instskip(NEXT) | instid1(VALU_DEP_1)
	v_xor_b32_e32 v12, v12, v3
	v_sub_co_u32 v12, vcc_lo, v12, v3
	s_wait_alu 0xfffd
	s_delay_alu instid0(VALU_DEP_3)
	v_sub_co_ci_u32_e64 v13, null, v13, v3, vcc_lo
.LBB15_23:                              ;   in Loop: Header=BB15_21 Depth=2
	s_wait_alu 0xfffe
	s_and_not1_saveexec_b32 s0, s1
	s_cbranch_execz .LBB15_25
; %bb.24:                               ;   in Loop: Header=BB15_21 Depth=2
	v_cvt_f32_u32_e32 v3, s48
	s_sub_co_i32 s1, 0, s48
	s_delay_alu instid0(VALU_DEP_1) | instskip(NEXT) | instid1(TRANS32_DEP_1)
	v_rcp_iflag_f32_e32 v3, v3
	v_mul_f32_e32 v3, 0x4f7ffffe, v3
	s_delay_alu instid0(VALU_DEP_1) | instskip(SKIP_1) | instid1(VALU_DEP_1)
	v_cvt_u32_f32_e32 v3, v3
	s_wait_alu 0xfffe
	v_mul_lo_u32 v12, s1, v3
	s_delay_alu instid0(VALU_DEP_1) | instskip(NEXT) | instid1(VALU_DEP_1)
	v_mul_hi_u32 v12, v3, v12
	v_add_nc_u32_e32 v3, v3, v12
	s_delay_alu instid0(VALU_DEP_1) | instskip(NEXT) | instid1(VALU_DEP_1)
	v_mul_hi_u32 v3, v10, v3
	v_mul_lo_u32 v12, v3, s48
	v_add_nc_u32_e32 v13, 1, v3
	s_delay_alu instid0(VALU_DEP_2) | instskip(NEXT) | instid1(VALU_DEP_1)
	v_sub_nc_u32_e32 v12, v10, v12
	v_subrev_nc_u32_e32 v14, s48, v12
	v_cmp_le_u32_e32 vcc_lo, s48, v12
	s_wait_alu 0xfffd
	s_delay_alu instid0(VALU_DEP_2) | instskip(NEXT) | instid1(VALU_DEP_1)
	v_dual_cndmask_b32 v12, v12, v14 :: v_dual_cndmask_b32 v3, v3, v13
	v_cmp_le_u32_e32 vcc_lo, s48, v12
	s_delay_alu instid0(VALU_DEP_2) | instskip(SKIP_1) | instid1(VALU_DEP_1)
	v_add_nc_u32_e32 v13, 1, v3
	s_wait_alu 0xfffd
	v_dual_cndmask_b32 v12, v3, v13 :: v_dual_mov_b32 v13, v2
.LBB15_25:                              ;   in Loop: Header=BB15_21 Depth=2
	s_wait_alu 0xfffe
	s_or_b32 exec_lo, exec_lo, s0
	s_clause 0x1
	s_load_b64 s[54:55], s[44:45], 0x0
	s_load_b64 s[52:53], s[44:45], 0xd0
	s_load_b64 s[50:51], s[42:43], 0x8
                                        ; implicit-def: $vgpr14_vgpr15
	s_mov_b32 s0, exec_lo
	s_wait_kmcnt 0x0
	v_or_b32_e32 v3, s55, v13
	s_delay_alu instid0(VALU_DEP_1)
	v_cmpx_ne_u64_e32 0, v[2:3]
	s_wait_alu 0xfffe
	s_xor_b32 s1, exec_lo, s0
	s_cbranch_execz .LBB15_27
; %bb.26:                               ;   in Loop: Header=BB15_21 Depth=2
	s_ashr_i32 s56, s55, 31
	v_ashrrev_i32_e32 v3, 31, v13
	s_wait_alu 0xfffe
	s_mov_b32 s57, s56
	s_wait_alu 0xfffe
	s_add_nc_u64 s[58:59], s[54:55], s[56:57]
	v_add_co_u32 v14, vcc_lo, v12, v3
	s_wait_alu 0xfffe
	s_xor_b64 s[58:59], s[58:59], s[56:57]
	s_wait_alu 0xfffd
	v_add_co_ci_u32_e64 v15, null, v13, v3, vcc_lo
	s_wait_alu 0xfffe
	s_cvt_f32_u32 s0, s58
	s_cvt_f32_u32 s26, s59
	s_sub_nc_u64 s[66:67], 0, s[58:59]
	v_xor_b32_e32 v24, v14, v3
	v_xor_b32_e32 v25, v15, v3
	s_wait_alu 0xfffe
	s_fmamk_f32 s0, s26, 0x4f800000, s0
	v_xor_b32_e32 v3, s56, v3
	s_wait_alu 0xfffe
	s_delay_alu instid0(SALU_CYCLE_1) | instskip(NEXT) | instid1(TRANS32_DEP_1)
	v_s_rcp_f32 s0, s0
	s_mul_f32 s0, s0, 0x5f7ffffc
	s_wait_alu 0xfffe
	s_delay_alu instid0(SALU_CYCLE_2) | instskip(SKIP_1) | instid1(SALU_CYCLE_2)
	s_mul_f32 s26, s0, 0x2f800000
	s_wait_alu 0xfffe
	s_trunc_f32 s26, s26
	s_wait_alu 0xfffe
	s_delay_alu instid0(SALU_CYCLE_2) | instskip(SKIP_2) | instid1(SALU_CYCLE_1)
	s_fmamk_f32 s0, s26, 0xcf800000, s0
	s_cvt_u32_f32 s65, s26
	s_wait_alu 0xfffe
	s_cvt_u32_f32 s64, s0
	s_delay_alu instid0(SALU_CYCLE_3) | instskip(NEXT) | instid1(SALU_CYCLE_1)
	s_mul_u64 s[68:69], s[66:67], s[64:65]
	s_mul_hi_u32 s71, s64, s69
	s_mul_i32 s70, s64, s69
	s_mul_hi_u32 s26, s64, s68
	s_mul_i32 s41, s65, s68
	s_wait_alu 0xfffe
	s_add_nc_u64 s[70:71], s[26:27], s[70:71]
	s_mul_hi_u32 s0, s65, s68
	s_mul_hi_u32 s57, s65, s69
	s_add_co_u32 s26, s70, s41
	s_wait_alu 0xfffe
	s_add_co_ci_u32 s26, s71, s0
	s_mul_i32 s68, s65, s69
	s_add_co_ci_u32 s69, s57, 0
	s_wait_alu 0xfffe
	s_add_nc_u64 s[68:69], s[26:27], s[68:69]
	s_delay_alu instid0(SALU_CYCLE_1) | instskip(SKIP_4) | instid1(SALU_CYCLE_1)
	s_add_co_u32 s64, s64, s68
	s_cselect_b32 s0, -1, 0
	s_wait_alu 0xfffe
	s_cmp_lg_u32 s0, 0
	s_add_co_ci_u32 s65, s65, s69
	s_mul_u64 s[66:67], s[66:67], s[64:65]
	s_delay_alu instid0(SALU_CYCLE_1)
	s_mul_hi_u32 s69, s64, s67
	s_mul_i32 s68, s64, s67
	s_mul_hi_u32 s26, s64, s66
	s_mul_i32 s41, s65, s66
	s_wait_alu 0xfffe
	s_add_nc_u64 s[68:69], s[26:27], s[68:69]
	s_mul_hi_u32 s0, s65, s66
	s_mul_hi_u32 s57, s65, s67
	s_add_co_u32 s26, s68, s41
	s_wait_alu 0xfffe
	s_add_co_ci_u32 s26, s69, s0
	s_mul_i32 s66, s65, s67
	s_add_co_ci_u32 s67, s57, 0
	s_wait_alu 0xfffe
	s_add_nc_u64 s[66:67], s[26:27], s[66:67]
	s_delay_alu instid0(SALU_CYCLE_1)
	s_add_co_u32 s0, s64, s66
	s_cselect_b32 s26, -1, 0
	s_wait_alu 0xfffe
	v_mul_hi_u32 v26, v24, s0
	s_cmp_lg_u32 s26, 0
	v_mad_co_u64_u32 v[20:21], null, v25, s0, 0
	s_add_co_ci_u32 s26, s65, s67
	s_wait_alu 0xfffe
	v_mad_co_u64_u32 v[14:15], null, v24, s26, 0
	v_mad_co_u64_u32 v[22:23], null, v25, s26, 0
	s_delay_alu instid0(VALU_DEP_2) | instskip(SKIP_1) | instid1(VALU_DEP_3)
	v_add_co_u32 v14, vcc_lo, v26, v14
	s_wait_alu 0xfffd
	v_add_co_ci_u32_e64 v15, null, 0, v15, vcc_lo
	s_delay_alu instid0(VALU_DEP_2) | instskip(SKIP_1) | instid1(VALU_DEP_2)
	v_add_co_u32 v14, vcc_lo, v14, v20
	s_wait_alu 0xfffd
	v_add_co_ci_u32_e32 v14, vcc_lo, v15, v21, vcc_lo
	s_wait_alu 0xfffd
	v_add_co_ci_u32_e32 v15, vcc_lo, 0, v23, vcc_lo
	s_delay_alu instid0(VALU_DEP_2) | instskip(SKIP_1) | instid1(VALU_DEP_2)
	v_add_co_u32 v20, vcc_lo, v14, v22
	s_wait_alu 0xfffd
	v_add_co_ci_u32_e64 v21, null, 0, v15, vcc_lo
	s_delay_alu instid0(VALU_DEP_2) | instskip(SKIP_1) | instid1(VALU_DEP_3)
	v_mul_lo_u32 v22, s59, v20
	v_mad_co_u64_u32 v[14:15], null, s58, v20, 0
	v_mul_lo_u32 v23, s58, v21
	s_delay_alu instid0(VALU_DEP_2) | instskip(NEXT) | instid1(VALU_DEP_2)
	v_sub_co_u32 v14, vcc_lo, v24, v14
	v_add3_u32 v15, v15, v23, v22
	v_add_co_u32 v23, s0, v20, 2
	s_wait_alu 0xf1ff
	v_add_co_ci_u32_e64 v24, null, 0, v21, s0
	s_delay_alu instid0(VALU_DEP_3) | instskip(SKIP_3) | instid1(VALU_DEP_3)
	v_sub_nc_u32_e32 v22, v25, v15
	v_sub_co_u32 v26, s0, v14, s58
	s_wait_alu 0xfffd
	v_sub_co_ci_u32_e64 v15, null, v25, v15, vcc_lo
	v_subrev_co_ci_u32_e64 v22, null, s59, v22, vcc_lo
	s_delay_alu instid0(VALU_DEP_3) | instskip(SKIP_1) | instid1(VALU_DEP_2)
	v_cmp_le_u32_e32 vcc_lo, s58, v26
	s_wait_alu 0xf1ff
	v_subrev_co_ci_u32_e64 v22, null, 0, v22, s0
	s_wait_alu 0xfffd
	v_cndmask_b32_e64 v25, 0, -1, vcc_lo
	s_delay_alu instid0(VALU_DEP_2)
	v_cmp_le_u32_e32 vcc_lo, s59, v22
	s_wait_alu 0xfffd
	v_cndmask_b32_e64 v26, 0, -1, vcc_lo
	v_cmp_le_u32_e32 vcc_lo, s58, v14
	s_wait_alu 0xfffd
	v_cndmask_b32_e64 v14, 0, -1, vcc_lo
	;; [unrolled: 3-line block ×3, first 2 shown]
	v_cmp_eq_u32_e32 vcc_lo, s59, v22
	s_wait_alu 0xfffd
	v_cndmask_b32_e32 v22, v26, v25, vcc_lo
	v_add_co_u32 v25, vcc_lo, v20, 1
	s_wait_alu 0xfffd
	v_add_co_ci_u32_e64 v26, null, 0, v21, vcc_lo
	v_cmp_eq_u32_e32 vcc_lo, s59, v15
	s_wait_alu 0xfffd
	v_cndmask_b32_e32 v14, v27, v14, vcc_lo
	v_cmp_ne_u32_e32 vcc_lo, 0, v22
	s_wait_alu 0xfffd
	v_cndmask_b32_e32 v15, v26, v24, vcc_lo
	s_delay_alu instid0(VALU_DEP_3) | instskip(SKIP_2) | instid1(VALU_DEP_2)
	v_cmp_ne_u32_e64 s0, 0, v14
	v_cndmask_b32_e32 v14, v25, v23, vcc_lo
	s_wait_alu 0xf1ff
	v_cndmask_b32_e64 v15, v21, v15, s0
	s_delay_alu instid0(VALU_DEP_2) | instskip(NEXT) | instid1(VALU_DEP_2)
	v_cndmask_b32_e64 v14, v20, v14, s0
	v_xor_b32_e32 v15, v15, v3
	s_delay_alu instid0(VALU_DEP_2) | instskip(NEXT) | instid1(VALU_DEP_1)
	v_xor_b32_e32 v14, v14, v3
	v_sub_co_u32 v14, vcc_lo, v14, v3
	s_wait_alu 0xfffd
	s_delay_alu instid0(VALU_DEP_3)
	v_sub_co_ci_u32_e64 v15, null, v15, v3, vcc_lo
.LBB15_27:                              ;   in Loop: Header=BB15_21 Depth=2
	s_wait_alu 0xfffe
	s_and_not1_saveexec_b32 s0, s1
	s_cbranch_execz .LBB15_20
; %bb.28:                               ;   in Loop: Header=BB15_21 Depth=2
	v_cvt_f32_u32_e32 v3, s54
	s_sub_co_i32 s1, 0, s54
	s_delay_alu instid0(VALU_DEP_1) | instskip(NEXT) | instid1(TRANS32_DEP_1)
	v_rcp_iflag_f32_e32 v3, v3
	v_mul_f32_e32 v3, 0x4f7ffffe, v3
	s_delay_alu instid0(VALU_DEP_1) | instskip(SKIP_1) | instid1(VALU_DEP_1)
	v_cvt_u32_f32_e32 v3, v3
	s_wait_alu 0xfffe
	v_mul_lo_u32 v14, s1, v3
	s_delay_alu instid0(VALU_DEP_1) | instskip(NEXT) | instid1(VALU_DEP_1)
	v_mul_hi_u32 v14, v3, v14
	v_add_nc_u32_e32 v3, v3, v14
	s_delay_alu instid0(VALU_DEP_1) | instskip(NEXT) | instid1(VALU_DEP_1)
	v_mul_hi_u32 v3, v12, v3
	v_mul_lo_u32 v14, v3, s54
	v_add_nc_u32_e32 v15, 1, v3
	s_delay_alu instid0(VALU_DEP_2) | instskip(NEXT) | instid1(VALU_DEP_1)
	v_sub_nc_u32_e32 v14, v12, v14
	v_subrev_nc_u32_e32 v20, s54, v14
	v_cmp_le_u32_e32 vcc_lo, s54, v14
	s_wait_alu 0xfffd
	s_delay_alu instid0(VALU_DEP_2) | instskip(NEXT) | instid1(VALU_DEP_1)
	v_dual_cndmask_b32 v14, v14, v20 :: v_dual_cndmask_b32 v3, v3, v15
	v_cmp_le_u32_e32 vcc_lo, s54, v14
	s_delay_alu instid0(VALU_DEP_2) | instskip(SKIP_1) | instid1(VALU_DEP_1)
	v_add_nc_u32_e32 v15, 1, v3
	s_wait_alu 0xfffd
	v_dual_cndmask_b32 v14, v3, v15 :: v_dual_mov_b32 v15, v2
	s_branch .LBB15_20
.LBB15_29:                              ;   in Loop: Header=BB15_3 Depth=1
	v_sub_co_u32 v12, vcc_lo, v4, v18
	v_mov_b32_e32 v14, 0
	v_dual_mov_b32 v15, 0 :: v_dual_mov_b32 v10, 0
	s_wait_alu 0xfffd
	v_sub_co_ci_u32_e64 v13, null, v5, v19, vcc_lo
	v_mov_b32_e32 v11, 0
	s_mov_b32 s0, exec_lo
	s_delay_alu instid0(VALU_DEP_2)
	v_cmpx_ge_i64_e64 s[4:5], v[12:13]
	s_cbranch_execz .LBB15_35
; %bb.30:                               ;   in Loop: Header=BB15_3 Depth=1
	v_mov_b32_e32 v10, 0
	v_dual_mov_b32 v11, 0 :: v_dual_mov_b32 v14, 0
	v_mov_b32_e32 v15, 0
	s_mov_b32 s1, exec_lo
	v_cmpx_gt_i64_e64 s[10:11], v[4:5]
	s_cbranch_execz .LBB15_34
; %bb.31:                               ;   in Loop: Header=BB15_3 Depth=1
	v_lshlrev_b64_e32 v[8:9], 3, v[8:9]
	s_delay_alu instid0(VALU_DEP_1) | instskip(SKIP_1) | instid1(VALU_DEP_2)
	v_add_co_u32 v8, vcc_lo, s2, v8
	s_wait_alu 0xfffd
	v_add_co_ci_u32_e64 v9, null, s3, v9, vcc_lo
	v_add_co_u32 v14, vcc_lo, v4, 1
	s_wait_alu 0xfffd
	v_add_co_ci_u32_e64 v15, null, 0, v5, vcc_lo
	global_load_b64 v[10:11], v[8:9], off
	v_cmp_gt_i64_e32 vcc_lo, s[10:11], v[14:15]
	v_mov_b32_e32 v14, 0
	v_mov_b32_e32 v15, 0
	s_and_saveexec_b32 s26, vcc_lo
	s_wait_alu 0xfffe
	s_xor_b32 s26, exec_lo, s26
	s_cbranch_execz .LBB15_33
; %bb.32:                               ;   in Loop: Header=BB15_3 Depth=1
	s_lshl_b64 s[42:43], s[14:15], 3
	s_wait_alu 0xfffe
	v_add_co_u32 v8, vcc_lo, v8, s42
	s_wait_alu 0xfffd
	v_add_co_ci_u32_e64 v9, null, s43, v9, vcc_lo
	global_load_b64 v[14:15], v[8:9], off
.LBB15_33:                              ;   in Loop: Header=BB15_3 Depth=1
	s_wait_alu 0xfffe
	s_or_b32 exec_lo, exec_lo, s26
.LBB15_34:                              ;   in Loop: Header=BB15_3 Depth=1
	s_wait_alu 0xfffe
	s_or_b32 exec_lo, exec_lo, s1
	v_add_co_u32 v8, vcc_lo, v12, 1
	s_wait_alu 0xfffd
	v_add_co_ci_u32_e64 v9, null, 0, v13, vcc_lo
	s_delay_alu instid0(VALU_DEP_1)
	v_cmp_ge_i64_e32 vcc_lo, s[4:5], v[8:9]
	s_wait_loadcnt 0x0
	s_wait_alu 0xfffd
	v_dual_cndmask_b32 v15, 0, v15 :: v_dual_cndmask_b32 v14, 0, v14
.LBB15_35:                              ;   in Loop: Header=BB15_3 Depth=1
	s_wait_alu 0xfffe
	s_or_b32 exec_lo, exec_lo, s0
	s_delay_alu instid0(SALU_CYCLE_1)
	s_mov_b32 s0, exec_lo
	v_cmpx_gt_i64_e64 s[10:11], v[4:5]
	s_cbranch_execz .LBB15_2
; %bb.36:                               ;   in Loop: Header=BB15_3 Depth=1
	v_lshlrev_b64_e32 v[6:7], 3, v[6:7]
	v_add_co_u32 v8, vcc_lo, v4, 1
	s_wait_alu 0xfffd
	v_add_co_ci_u32_e64 v9, null, 0, v5, vcc_lo
	s_mov_b32 s1, exec_lo
	v_add_co_u32 v3, vcc_lo, s24, v6
	s_wait_alu 0xfffd
	v_add_co_ci_u32_e64 v4, null, s25, v7, vcc_lo
	global_store_b64 v[3:4], v[10:11], off
	v_cmpx_gt_i64_e64 s[10:11], v[8:9]
	s_wait_alu 0xfffe
	s_xor_b32 s1, exec_lo, s1
	s_cbranch_execz .LBB15_2
; %bb.37:                               ;   in Loop: Header=BB15_3 Depth=1
	s_lshl_b64 s[42:43], s[18:19], 3
	s_wait_alu 0xfffe
	v_add_co_u32 v3, vcc_lo, v3, s42
	s_wait_alu 0xfffd
	v_add_co_ci_u32_e64 v4, null, s43, v4, vcc_lo
	global_store_b64 v[3:4], v[14:15], off
	s_branch .LBB15_2
.LBB15_38:
	s_endpgm
	.section	.rodata,"a",@progbits
	.p2align	6, 0x0
	.amdhsa_kernel _ZN2at6native16triu_tril_kernelIllLb0ELi2ELb0EEEvNS_4cuda6detail10TensorInfoIT_T0_EENS4_IKS5_S6_EEllS6_
		.amdhsa_group_segment_fixed_size 0
		.amdhsa_private_segment_fixed_size 0
		.amdhsa_kernarg_size 1112
		.amdhsa_user_sgpr_count 2
		.amdhsa_user_sgpr_dispatch_ptr 0
		.amdhsa_user_sgpr_queue_ptr 0
		.amdhsa_user_sgpr_kernarg_segment_ptr 1
		.amdhsa_user_sgpr_dispatch_id 0
		.amdhsa_user_sgpr_private_segment_size 0
		.amdhsa_wavefront_size32 1
		.amdhsa_uses_dynamic_stack 0
		.amdhsa_enable_private_segment 0
		.amdhsa_system_sgpr_workgroup_id_x 1
		.amdhsa_system_sgpr_workgroup_id_y 0
		.amdhsa_system_sgpr_workgroup_id_z 0
		.amdhsa_system_sgpr_workgroup_info 0
		.amdhsa_system_vgpr_workitem_id 0
		.amdhsa_next_free_vgpr 28
		.amdhsa_next_free_sgpr 72
		.amdhsa_reserve_vcc 1
		.amdhsa_float_round_mode_32 0
		.amdhsa_float_round_mode_16_64 0
		.amdhsa_float_denorm_mode_32 3
		.amdhsa_float_denorm_mode_16_64 3
		.amdhsa_fp16_overflow 0
		.amdhsa_workgroup_processor_mode 1
		.amdhsa_memory_ordered 1
		.amdhsa_forward_progress 1
		.amdhsa_inst_pref_size 51
		.amdhsa_round_robin_scheduling 0
		.amdhsa_exception_fp_ieee_invalid_op 0
		.amdhsa_exception_fp_denorm_src 0
		.amdhsa_exception_fp_ieee_div_zero 0
		.amdhsa_exception_fp_ieee_overflow 0
		.amdhsa_exception_fp_ieee_underflow 0
		.amdhsa_exception_fp_ieee_inexact 0
		.amdhsa_exception_int_div_zero 0
	.end_amdhsa_kernel
	.section	.text._ZN2at6native16triu_tril_kernelIllLb0ELi2ELb0EEEvNS_4cuda6detail10TensorInfoIT_T0_EENS4_IKS5_S6_EEllS6_,"axG",@progbits,_ZN2at6native16triu_tril_kernelIllLb0ELi2ELb0EEEvNS_4cuda6detail10TensorInfoIT_T0_EENS4_IKS5_S6_EEllS6_,comdat
.Lfunc_end15:
	.size	_ZN2at6native16triu_tril_kernelIllLb0ELi2ELb0EEEvNS_4cuda6detail10TensorInfoIT_T0_EENS4_IKS5_S6_EEllS6_, .Lfunc_end15-_ZN2at6native16triu_tril_kernelIllLb0ELi2ELb0EEEvNS_4cuda6detail10TensorInfoIT_T0_EENS4_IKS5_S6_EEllS6_
                                        ; -- End function
	.set _ZN2at6native16triu_tril_kernelIllLb0ELi2ELb0EEEvNS_4cuda6detail10TensorInfoIT_T0_EENS4_IKS5_S6_EEllS6_.num_vgpr, 28
	.set _ZN2at6native16triu_tril_kernelIllLb0ELi2ELb0EEEvNS_4cuda6detail10TensorInfoIT_T0_EENS4_IKS5_S6_EEllS6_.num_agpr, 0
	.set _ZN2at6native16triu_tril_kernelIllLb0ELi2ELb0EEEvNS_4cuda6detail10TensorInfoIT_T0_EENS4_IKS5_S6_EEllS6_.numbered_sgpr, 72
	.set _ZN2at6native16triu_tril_kernelIllLb0ELi2ELb0EEEvNS_4cuda6detail10TensorInfoIT_T0_EENS4_IKS5_S6_EEllS6_.num_named_barrier, 0
	.set _ZN2at6native16triu_tril_kernelIllLb0ELi2ELb0EEEvNS_4cuda6detail10TensorInfoIT_T0_EENS4_IKS5_S6_EEllS6_.private_seg_size, 0
	.set _ZN2at6native16triu_tril_kernelIllLb0ELi2ELb0EEEvNS_4cuda6detail10TensorInfoIT_T0_EENS4_IKS5_S6_EEllS6_.uses_vcc, 1
	.set _ZN2at6native16triu_tril_kernelIllLb0ELi2ELb0EEEvNS_4cuda6detail10TensorInfoIT_T0_EENS4_IKS5_S6_EEllS6_.uses_flat_scratch, 0
	.set _ZN2at6native16triu_tril_kernelIllLb0ELi2ELb0EEEvNS_4cuda6detail10TensorInfoIT_T0_EENS4_IKS5_S6_EEllS6_.has_dyn_sized_stack, 0
	.set _ZN2at6native16triu_tril_kernelIllLb0ELi2ELb0EEEvNS_4cuda6detail10TensorInfoIT_T0_EENS4_IKS5_S6_EEllS6_.has_recursion, 0
	.set _ZN2at6native16triu_tril_kernelIllLb0ELi2ELb0EEEvNS_4cuda6detail10TensorInfoIT_T0_EENS4_IKS5_S6_EEllS6_.has_indirect_call, 0
	.section	.AMDGPU.csdata,"",@progbits
; Kernel info:
; codeLenInByte = 6492
; TotalNumSgprs: 74
; NumVgprs: 28
; ScratchSize: 0
; MemoryBound: 0
; FloatMode: 240
; IeeeMode: 1
; LDSByteSize: 0 bytes/workgroup (compile time only)
; SGPRBlocks: 0
; VGPRBlocks: 3
; NumSGPRsForWavesPerEU: 74
; NumVGPRsForWavesPerEU: 28
; Occupancy: 16
; WaveLimiterHint : 0
; COMPUTE_PGM_RSRC2:SCRATCH_EN: 0
; COMPUTE_PGM_RSRC2:USER_SGPR: 2
; COMPUTE_PGM_RSRC2:TRAP_HANDLER: 0
; COMPUTE_PGM_RSRC2:TGID_X_EN: 1
; COMPUTE_PGM_RSRC2:TGID_Y_EN: 0
; COMPUTE_PGM_RSRC2:TGID_Z_EN: 0
; COMPUTE_PGM_RSRC2:TIDIG_COMP_CNT: 0
	.section	.text._ZN2at6native16triu_tril_kernelIsiLb0ELi4ELb1EEEvNS_4cuda6detail10TensorInfoIT_T0_EENS4_IKS5_S6_EEllS6_,"axG",@progbits,_ZN2at6native16triu_tril_kernelIsiLb0ELi4ELb1EEEvNS_4cuda6detail10TensorInfoIT_T0_EENS4_IKS5_S6_EEllS6_,comdat
	.protected	_ZN2at6native16triu_tril_kernelIsiLb0ELi4ELb1EEEvNS_4cuda6detail10TensorInfoIT_T0_EENS4_IKS5_S6_EEllS6_ ; -- Begin function _ZN2at6native16triu_tril_kernelIsiLb0ELi4ELb1EEEvNS_4cuda6detail10TensorInfoIT_T0_EENS4_IKS5_S6_EEllS6_
	.globl	_ZN2at6native16triu_tril_kernelIsiLb0ELi4ELb1EEEvNS_4cuda6detail10TensorInfoIT_T0_EENS4_IKS5_S6_EEllS6_
	.p2align	8
	.type	_ZN2at6native16triu_tril_kernelIsiLb0ELi4ELb1EEEvNS_4cuda6detail10TensorInfoIT_T0_EENS4_IKS5_S6_EEllS6_,@function
_ZN2at6native16triu_tril_kernelIsiLb0ELi4ELb1EEEvNS_4cuda6detail10TensorInfoIT_T0_EENS4_IKS5_S6_EEllS6_: ; @_ZN2at6native16triu_tril_kernelIsiLb0ELi4ELb1EEEvNS_4cuda6detail10TensorInfoIT_T0_EENS4_IKS5_S6_EEllS6_
; %bb.0:
	s_clause 0x1
	s_load_b32 s2, s[0:1], 0x1d4
	s_load_b128 s[4:7], s[0:1], 0x1b0
	v_mov_b32_e32 v2, 0
	s_mov_b32 s3, exec_lo
	s_delay_alu instid0(VALU_DEP_1)
	v_mov_b32_e32 v1, v2
	s_wait_kmcnt 0x0
	s_and_b32 s2, s2, 0xffff
	s_delay_alu instid0(VALU_DEP_1) | instid1(SALU_CYCLE_1)
	v_mad_co_u64_u32 v[0:1], null, s2, ttmp9, v[0:1]
	s_delay_alu instid0(VALU_DEP_1) | instskip(NEXT) | instid1(VALU_DEP_1)
	v_lshlrev_b64_e32 v[0:1], 2, v[0:1]
	v_cmpx_gt_i64_e64 s[6:7], v[0:1]
	s_cbranch_execz .LBB16_68
; %bb.1:
	s_clause 0x1
	s_load_b32 s20, s[0:1], 0x1a8
	s_load_b32 s8, s[0:1], 0x1c0
	s_add_nc_u64 s[12:13], s[0:1], 0x1c8
	s_add_nc_u64 s[10:11], s[0:1], 0xd8
	s_load_b32 s3, s[12:13], 0x0
	s_mov_b32 s19, 0
	s_mov_b32 s57, 0
	s_wait_kmcnt 0x0
	s_ashr_i32 s21, s20, 31
	v_cvt_f32_u32_e32 v3, s8
	s_lshl_b64 s[22:23], s[20:21], 2
	s_add_co_i32 s9, s20, 6
	s_add_nc_u64 s[12:13], s[10:11], s[22:23]
	s_mul_i32 s3, s3, s2
	s_clause 0x1
	s_load_b32 s14, s[12:13], 0x0
	s_load_b64 s[16:17], s[0:1], 0x0
	v_rcp_iflag_f32_e32 v3, v3
	s_and_b32 s18, s20, 7
	s_add_co_i32 s33, s20, -3
	s_and_b32 s52, s9, 7
	s_lshl_b32 s53, s3, 2
	s_ashr_i32 s9, s8, 31
	v_cmp_gt_i64_e64 s56, s[20:21], 2
	s_add_nc_u64 s[20:21], s[0:1], s[22:23]
	s_wait_kmcnt 0x0
	v_cvt_f32_u32_e32 v4, s14
	s_ashr_i32 s15, s14, 31
	s_cmp_lg_u32 s18, 2
	s_cselect_b32 s54, -1, 0
	s_delay_alu instid0(VALU_DEP_1)
	v_rcp_iflag_f32_e32 v4, v4
	v_mul_f32_e32 v3, 0x4f7ffffe, v3
	s_cmp_gt_u32 s33, 6
	s_cselect_b32 s55, -1, 0
	s_sub_co_i32 s2, 0, s8
	s_wait_alu 0xfffe
	s_ashr_i32 s22, s9, 31
	s_ashr_i32 s24, s15, 31
	s_delay_alu instid0(TRANS32_DEP_1) | instskip(SKIP_1) | instid1(VALU_DEP_2)
	v_mul_f32_e32 v4, 0x4f7ffffe, v4
	v_cvt_u32_f32_e32 v3, v3
	v_cvt_u32_f32_e32 v25, v4
	s_delay_alu instid0(VALU_DEP_2) | instskip(NEXT) | instid1(VALU_DEP_1)
	v_mul_lo_u32 v5, s2, v3
	v_mul_hi_u32 v5, v3, v5
	s_delay_alu instid0(VALU_DEP_1)
	v_add_nc_u32_e32 v26, v3, v5
	s_branch .LBB16_3
.LBB16_2:                               ;   in Loop: Header=BB16_3 Depth=1
	s_wait_alu 0xfffe
	s_or_b32 exec_lo, exec_lo, s23
	v_add_co_u32 v0, vcc_lo, v0, s53
	s_wait_alu 0xfffd
	v_add_co_ci_u32_e64 v1, null, 0, v1, vcc_lo
	s_delay_alu instid0(VALU_DEP_1) | instskip(SKIP_1) | instid1(SALU_CYCLE_1)
	v_cmp_le_i64_e32 vcc_lo, s[6:7], v[0:1]
	s_or_b32 s57, vcc_lo, s57
	s_and_not1_b32 exec_lo, exec_lo, s57
	s_cbranch_execz .LBB16_68
.LBB16_3:                               ; =>This Loop Header: Depth=1
                                        ;     Child Loop BB16_16 Depth 2
                                        ;     Child Loop BB16_22 Depth 2
	v_or_b32_e32 v3, s9, v1
                                        ; implicit-def: $vgpr4_vgpr5
	s_mov_b32 s2, exec_lo
	s_delay_alu instid0(VALU_DEP_1)
	v_cmpx_ne_u64_e32 0, v[2:3]
	s_wait_alu 0xfffe
	s_xor_b32 s3, exec_lo, s2
	s_cbranch_execz .LBB16_5
; %bb.4:                                ;   in Loop: Header=BB16_3 Depth=1
	s_mov_b32 s23, s22
	v_ashrrev_i32_e32 v9, 31, v1
	s_wait_alu 0xfffe
	s_add_nc_u64 s[26:27], s[8:9], s[22:23]
	s_wait_alu 0xfffe
	s_xor_b64 s[26:27], s[26:27], s[22:23]
	v_add_co_u32 v3, vcc_lo, v0, v9
	s_wait_alu 0xfffe
	s_cvt_f32_u32 s2, s26
	s_cvt_f32_u32 s18, s27
	s_sub_nc_u64 s[30:31], 0, s[26:27]
	s_wait_alu 0xfffd
	v_add_co_ci_u32_e64 v4, null, v1, v9, vcc_lo
	s_wait_alu 0xfffe
	s_fmamk_f32 s2, s18, 0x4f800000, s2
	v_xor_b32_e32 v10, v3, v9
	s_delay_alu instid0(VALU_DEP_2) | instskip(SKIP_2) | instid1(TRANS32_DEP_1)
	v_xor_b32_e32 v11, v4, v9
	s_wait_alu 0xfffe
	v_s_rcp_f32 s2, s2
	s_mul_f32 s2, s2, 0x5f7ffffc
	s_wait_alu 0xfffe
	s_delay_alu instid0(SALU_CYCLE_2) | instskip(SKIP_1) | instid1(SALU_CYCLE_2)
	s_mul_f32 s18, s2, 0x2f800000
	s_wait_alu 0xfffe
	s_trunc_f32 s18, s18
	s_wait_alu 0xfffe
	s_delay_alu instid0(SALU_CYCLE_2) | instskip(SKIP_2) | instid1(SALU_CYCLE_1)
	s_fmamk_f32 s2, s18, 0xcf800000, s2
	s_cvt_u32_f32 s29, s18
	s_wait_alu 0xfffe
	s_cvt_u32_f32 s28, s2
	s_wait_alu 0xfffe
	s_delay_alu instid0(SALU_CYCLE_2)
	s_mul_u64 s[34:35], s[30:31], s[28:29]
	s_wait_alu 0xfffe
	s_mul_hi_u32 s37, s28, s35
	s_mul_i32 s36, s28, s35
	s_mul_hi_u32 s18, s28, s34
	s_mul_i32 s23, s29, s34
	s_wait_alu 0xfffe
	s_add_nc_u64 s[36:37], s[18:19], s[36:37]
	s_mul_hi_u32 s2, s29, s34
	s_mul_hi_u32 s25, s29, s35
	s_wait_alu 0xfffe
	s_add_co_u32 s18, s36, s23
	s_add_co_ci_u32 s18, s37, s2
	s_mul_i32 s34, s29, s35
	s_add_co_ci_u32 s35, s25, 0
	s_wait_alu 0xfffe
	s_add_nc_u64 s[34:35], s[18:19], s[34:35]
	s_wait_alu 0xfffe
	s_add_co_u32 s28, s28, s34
	s_cselect_b32 s2, -1, 0
	s_wait_alu 0xfffe
	s_cmp_lg_u32 s2, 0
	s_add_co_ci_u32 s29, s29, s35
	s_wait_alu 0xfffe
	s_mul_u64 s[30:31], s[30:31], s[28:29]
	s_wait_alu 0xfffe
	s_mul_hi_u32 s35, s28, s31
	s_mul_i32 s34, s28, s31
	s_mul_hi_u32 s18, s28, s30
	s_mul_i32 s23, s29, s30
	s_wait_alu 0xfffe
	s_add_nc_u64 s[34:35], s[18:19], s[34:35]
	s_mul_hi_u32 s2, s29, s30
	s_mul_hi_u32 s25, s29, s31
	s_wait_alu 0xfffe
	s_add_co_u32 s18, s34, s23
	s_add_co_ci_u32 s18, s35, s2
	s_mul_i32 s30, s29, s31
	s_add_co_ci_u32 s31, s25, 0
	s_wait_alu 0xfffe
	s_add_nc_u64 s[30:31], s[18:19], s[30:31]
	s_wait_alu 0xfffe
	s_add_co_u32 s2, s28, s30
	s_cselect_b32 s18, -1, 0
	s_wait_alu 0xfffe
	v_mul_hi_u32 v12, v10, s2
	s_cmp_lg_u32 s18, 0
	v_mad_co_u64_u32 v[5:6], null, v11, s2, 0
	s_add_co_ci_u32 s18, s29, s31
	s_wait_alu 0xfffe
	v_mad_co_u64_u32 v[3:4], null, v10, s18, 0
	v_mad_co_u64_u32 v[7:8], null, v11, s18, 0
	s_delay_alu instid0(VALU_DEP_2) | instskip(SKIP_1) | instid1(VALU_DEP_3)
	v_add_co_u32 v3, vcc_lo, v12, v3
	s_wait_alu 0xfffd
	v_add_co_ci_u32_e64 v4, null, 0, v4, vcc_lo
	s_delay_alu instid0(VALU_DEP_2) | instskip(SKIP_1) | instid1(VALU_DEP_2)
	v_add_co_u32 v3, vcc_lo, v3, v5
	s_wait_alu 0xfffd
	v_add_co_ci_u32_e32 v3, vcc_lo, v4, v6, vcc_lo
	s_wait_alu 0xfffd
	v_add_co_ci_u32_e32 v4, vcc_lo, 0, v8, vcc_lo
	s_delay_alu instid0(VALU_DEP_2) | instskip(SKIP_1) | instid1(VALU_DEP_2)
	v_add_co_u32 v5, vcc_lo, v3, v7
	s_wait_alu 0xfffd
	v_add_co_ci_u32_e64 v6, null, 0, v4, vcc_lo
	s_delay_alu instid0(VALU_DEP_2) | instskip(SKIP_1) | instid1(VALU_DEP_3)
	v_mul_lo_u32 v7, s27, v5
	v_mad_co_u64_u32 v[3:4], null, s26, v5, 0
	v_mul_lo_u32 v8, s26, v6
	s_delay_alu instid0(VALU_DEP_2) | instskip(NEXT) | instid1(VALU_DEP_2)
	v_sub_co_u32 v3, vcc_lo, v10, v3
	v_add3_u32 v4, v4, v8, v7
	v_add_co_u32 v8, s2, v5, 2
	s_wait_alu 0xf1ff
	v_add_co_ci_u32_e64 v10, null, 0, v6, s2
	s_delay_alu instid0(VALU_DEP_3) | instskip(SKIP_3) | instid1(VALU_DEP_3)
	v_sub_nc_u32_e32 v7, v11, v4
	v_sub_co_u32 v12, s2, v3, s26
	s_wait_alu 0xfffd
	v_sub_co_ci_u32_e64 v4, null, v11, v4, vcc_lo
	v_subrev_co_ci_u32_e64 v7, null, s27, v7, vcc_lo
	s_delay_alu instid0(VALU_DEP_3) | instskip(SKIP_1) | instid1(VALU_DEP_2)
	v_cmp_le_u32_e32 vcc_lo, s26, v12
	s_wait_alu 0xf1ff
	v_subrev_co_ci_u32_e64 v7, null, 0, v7, s2
	s_wait_alu 0xfffd
	v_cndmask_b32_e64 v11, 0, -1, vcc_lo
	s_delay_alu instid0(VALU_DEP_2)
	v_cmp_le_u32_e32 vcc_lo, s27, v7
	s_wait_alu 0xfffd
	v_cndmask_b32_e64 v12, 0, -1, vcc_lo
	v_cmp_le_u32_e32 vcc_lo, s26, v3
	s_wait_alu 0xfffd
	v_cndmask_b32_e64 v3, 0, -1, vcc_lo
	;; [unrolled: 3-line block ×3, first 2 shown]
	v_cmp_eq_u32_e32 vcc_lo, s27, v7
	s_wait_alu 0xfffd
	v_cndmask_b32_e32 v7, v12, v11, vcc_lo
	v_add_co_u32 v11, vcc_lo, v5, 1
	s_wait_alu 0xfffd
	v_add_co_ci_u32_e64 v12, null, 0, v6, vcc_lo
	v_cmp_eq_u32_e32 vcc_lo, s27, v4
	s_wait_alu 0xfffd
	v_cndmask_b32_e32 v3, v13, v3, vcc_lo
	v_cmp_ne_u32_e32 vcc_lo, 0, v7
	v_xor_b32_e32 v7, s22, v9
	s_wait_alu 0xfffd
	v_cndmask_b32_e32 v4, v12, v10, vcc_lo
	v_cmp_ne_u32_e64 s2, 0, v3
	v_cndmask_b32_e32 v3, v11, v8, vcc_lo
	s_wait_alu 0xf1ff
	s_delay_alu instid0(VALU_DEP_2) | instskip(NEXT) | instid1(VALU_DEP_2)
	v_cndmask_b32_e64 v4, v6, v4, s2
	v_cndmask_b32_e64 v3, v5, v3, s2
	s_delay_alu instid0(VALU_DEP_2) | instskip(NEXT) | instid1(VALU_DEP_2)
	v_xor_b32_e32 v5, v4, v7
	v_xor_b32_e32 v3, v3, v7
	s_delay_alu instid0(VALU_DEP_1) | instskip(SKIP_1) | instid1(VALU_DEP_3)
	v_sub_co_u32 v4, vcc_lo, v3, v7
	s_wait_alu 0xfffd
	v_sub_co_ci_u32_e64 v5, null, v5, v7, vcc_lo
.LBB16_5:                               ;   in Loop: Header=BB16_3 Depth=1
	s_wait_alu 0xfffe
	s_and_not1_saveexec_b32 s2, s3
	s_cbranch_execz .LBB16_7
; %bb.6:                                ;   in Loop: Header=BB16_3 Depth=1
	v_mul_hi_u32 v3, v0, v26
	s_delay_alu instid0(VALU_DEP_1) | instskip(NEXT) | instid1(VALU_DEP_1)
	v_mul_lo_u32 v4, v3, s8
	v_sub_nc_u32_e32 v4, v0, v4
	s_delay_alu instid0(VALU_DEP_1) | instskip(SKIP_2) | instid1(VALU_DEP_2)
	v_subrev_nc_u32_e32 v6, s8, v4
	v_cmp_le_u32_e32 vcc_lo, s8, v4
	s_wait_alu 0xfffd
	v_dual_cndmask_b32 v4, v4, v6 :: v_dual_add_nc_u32 v5, 1, v3
	s_delay_alu instid0(VALU_DEP_1) | instskip(NEXT) | instid1(VALU_DEP_2)
	v_cndmask_b32_e32 v3, v3, v5, vcc_lo
	v_cmp_le_u32_e32 vcc_lo, s8, v4
	s_delay_alu instid0(VALU_DEP_2) | instskip(SKIP_1) | instid1(VALU_DEP_1)
	v_add_nc_u32_e32 v5, 1, v3
	s_wait_alu 0xfffd
	v_dual_cndmask_b32 v4, v3, v5 :: v_dual_mov_b32 v5, v2
.LBB16_7:                               ;   in Loop: Header=BB16_3 Depth=1
	s_wait_alu 0xfffe
	s_or_b32 exec_lo, exec_lo, s2
	s_delay_alu instid0(VALU_DEP_1) | instskip(SKIP_1) | instid1(VALU_DEP_1)
	v_or_b32_e32 v3, s15, v5
                                        ; implicit-def: $vgpr7_vgpr8
	s_mov_b32 s2, exec_lo
	v_cmpx_ne_u64_e32 0, v[2:3]
	s_wait_alu 0xfffe
	s_xor_b32 s3, exec_lo, s2
	s_cbranch_execz .LBB16_9
; %bb.8:                                ;   in Loop: Header=BB16_3 Depth=1
	s_mov_b32 s25, s24
	v_ashrrev_i32_e32 v3, 31, v5
	s_wait_alu 0xfffe
	s_add_nc_u64 s[26:27], s[14:15], s[24:25]
	s_wait_alu 0xfffe
	s_xor_b64 s[26:27], s[26:27], s[24:25]
	v_add_co_u32 v6, vcc_lo, v4, v3
	s_wait_alu 0xfffe
	s_cvt_f32_u32 s2, s26
	s_cvt_f32_u32 s18, s27
	s_sub_nc_u64 s[30:31], 0, s[26:27]
	s_wait_alu 0xfffd
	v_add_co_ci_u32_e64 v5, null, v5, v3, vcc_lo
	s_wait_alu 0xfffe
	s_fmamk_f32 s2, s18, 0x4f800000, s2
	v_xor_b32_e32 v11, v6, v3
	s_delay_alu instid0(VALU_DEP_2) | instskip(SKIP_3) | instid1(TRANS32_DEP_1)
	v_xor_b32_e32 v12, v5, v3
	s_wait_alu 0xfffe
	v_s_rcp_f32 s2, s2
	v_xor_b32_e32 v3, s24, v3
	s_mul_f32 s2, s2, 0x5f7ffffc
	s_wait_alu 0xfffe
	s_delay_alu instid0(SALU_CYCLE_2) | instskip(SKIP_1) | instid1(SALU_CYCLE_2)
	s_mul_f32 s18, s2, 0x2f800000
	s_wait_alu 0xfffe
	s_trunc_f32 s18, s18
	s_wait_alu 0xfffe
	s_delay_alu instid0(SALU_CYCLE_2) | instskip(SKIP_2) | instid1(SALU_CYCLE_1)
	s_fmamk_f32 s2, s18, 0xcf800000, s2
	s_cvt_u32_f32 s29, s18
	s_wait_alu 0xfffe
	s_cvt_u32_f32 s28, s2
	s_wait_alu 0xfffe
	s_delay_alu instid0(SALU_CYCLE_2)
	s_mul_u64 s[34:35], s[30:31], s[28:29]
	s_wait_alu 0xfffe
	s_mul_hi_u32 s37, s28, s35
	s_mul_i32 s36, s28, s35
	s_mul_hi_u32 s18, s28, s34
	s_mul_i32 s23, s29, s34
	s_wait_alu 0xfffe
	s_add_nc_u64 s[36:37], s[18:19], s[36:37]
	s_mul_hi_u32 s2, s29, s34
	s_mul_hi_u32 s25, s29, s35
	s_wait_alu 0xfffe
	s_add_co_u32 s18, s36, s23
	s_add_co_ci_u32 s18, s37, s2
	s_mul_i32 s34, s29, s35
	s_add_co_ci_u32 s35, s25, 0
	s_wait_alu 0xfffe
	s_add_nc_u64 s[34:35], s[18:19], s[34:35]
	s_wait_alu 0xfffe
	s_add_co_u32 s28, s28, s34
	s_cselect_b32 s2, -1, 0
	s_wait_alu 0xfffe
	s_cmp_lg_u32 s2, 0
	s_add_co_ci_u32 s29, s29, s35
	s_wait_alu 0xfffe
	s_mul_u64 s[30:31], s[30:31], s[28:29]
	s_wait_alu 0xfffe
	s_mul_hi_u32 s35, s28, s31
	s_mul_i32 s34, s28, s31
	s_mul_hi_u32 s18, s28, s30
	s_mul_i32 s23, s29, s30
	s_wait_alu 0xfffe
	s_add_nc_u64 s[34:35], s[18:19], s[34:35]
	s_mul_hi_u32 s2, s29, s30
	s_mul_hi_u32 s25, s29, s31
	s_wait_alu 0xfffe
	s_add_co_u32 s18, s34, s23
	s_add_co_ci_u32 s18, s35, s2
	s_mul_i32 s30, s29, s31
	s_add_co_ci_u32 s31, s25, 0
	s_wait_alu 0xfffe
	s_add_nc_u64 s[30:31], s[18:19], s[30:31]
	s_wait_alu 0xfffe
	s_add_co_u32 s2, s28, s30
	s_cselect_b32 s18, -1, 0
	s_wait_alu 0xfffe
	v_mul_hi_u32 v13, v11, s2
	s_cmp_lg_u32 s18, 0
	v_mad_co_u64_u32 v[7:8], null, v12, s2, 0
	s_add_co_ci_u32 s18, s29, s31
	s_wait_alu 0xfffe
	v_mad_co_u64_u32 v[5:6], null, v11, s18, 0
	v_mad_co_u64_u32 v[9:10], null, v12, s18, 0
	s_delay_alu instid0(VALU_DEP_2) | instskip(SKIP_1) | instid1(VALU_DEP_3)
	v_add_co_u32 v5, vcc_lo, v13, v5
	s_wait_alu 0xfffd
	v_add_co_ci_u32_e64 v6, null, 0, v6, vcc_lo
	s_delay_alu instid0(VALU_DEP_2) | instskip(SKIP_1) | instid1(VALU_DEP_2)
	v_add_co_u32 v5, vcc_lo, v5, v7
	s_wait_alu 0xfffd
	v_add_co_ci_u32_e32 v5, vcc_lo, v6, v8, vcc_lo
	s_wait_alu 0xfffd
	v_add_co_ci_u32_e32 v6, vcc_lo, 0, v10, vcc_lo
	s_delay_alu instid0(VALU_DEP_2) | instskip(SKIP_1) | instid1(VALU_DEP_2)
	v_add_co_u32 v7, vcc_lo, v5, v9
	s_wait_alu 0xfffd
	v_add_co_ci_u32_e64 v8, null, 0, v6, vcc_lo
	s_delay_alu instid0(VALU_DEP_2) | instskip(SKIP_1) | instid1(VALU_DEP_3)
	v_mul_lo_u32 v9, s27, v7
	v_mad_co_u64_u32 v[5:6], null, s26, v7, 0
	v_mul_lo_u32 v10, s26, v8
	s_delay_alu instid0(VALU_DEP_2) | instskip(NEXT) | instid1(VALU_DEP_2)
	v_sub_co_u32 v5, vcc_lo, v11, v5
	v_add3_u32 v6, v6, v10, v9
	v_add_co_u32 v10, s2, v7, 2
	s_wait_alu 0xf1ff
	v_add_co_ci_u32_e64 v11, null, 0, v8, s2
	s_delay_alu instid0(VALU_DEP_3) | instskip(SKIP_3) | instid1(VALU_DEP_3)
	v_sub_nc_u32_e32 v9, v12, v6
	v_sub_co_u32 v13, s2, v5, s26
	s_wait_alu 0xfffd
	v_sub_co_ci_u32_e64 v6, null, v12, v6, vcc_lo
	v_subrev_co_ci_u32_e64 v9, null, s27, v9, vcc_lo
	s_delay_alu instid0(VALU_DEP_3) | instskip(SKIP_1) | instid1(VALU_DEP_2)
	v_cmp_le_u32_e32 vcc_lo, s26, v13
	s_wait_alu 0xf1ff
	v_subrev_co_ci_u32_e64 v9, null, 0, v9, s2
	s_wait_alu 0xfffd
	v_cndmask_b32_e64 v12, 0, -1, vcc_lo
	s_delay_alu instid0(VALU_DEP_2)
	v_cmp_le_u32_e32 vcc_lo, s27, v9
	s_wait_alu 0xfffd
	v_cndmask_b32_e64 v13, 0, -1, vcc_lo
	v_cmp_le_u32_e32 vcc_lo, s26, v5
	s_wait_alu 0xfffd
	v_cndmask_b32_e64 v5, 0, -1, vcc_lo
	;; [unrolled: 3-line block ×3, first 2 shown]
	v_cmp_eq_u32_e32 vcc_lo, s27, v9
	s_wait_alu 0xfffd
	v_cndmask_b32_e32 v9, v13, v12, vcc_lo
	v_add_co_u32 v12, vcc_lo, v7, 1
	s_wait_alu 0xfffd
	v_add_co_ci_u32_e64 v13, null, 0, v8, vcc_lo
	v_cmp_eq_u32_e32 vcc_lo, s27, v6
	s_wait_alu 0xfffd
	v_cndmask_b32_e32 v5, v14, v5, vcc_lo
	v_cmp_ne_u32_e32 vcc_lo, 0, v9
	s_wait_alu 0xfffd
	v_cndmask_b32_e32 v6, v13, v11, vcc_lo
	s_delay_alu instid0(VALU_DEP_3) | instskip(SKIP_2) | instid1(VALU_DEP_2)
	v_cmp_ne_u32_e64 s2, 0, v5
	v_cndmask_b32_e32 v5, v12, v10, vcc_lo
	s_wait_alu 0xf1ff
	v_cndmask_b32_e64 v6, v8, v6, s2
	s_delay_alu instid0(VALU_DEP_2) | instskip(NEXT) | instid1(VALU_DEP_2)
	v_cndmask_b32_e64 v5, v7, v5, s2
	v_xor_b32_e32 v6, v6, v3
	s_delay_alu instid0(VALU_DEP_2) | instskip(NEXT) | instid1(VALU_DEP_1)
	v_xor_b32_e32 v5, v5, v3
	v_sub_co_u32 v7, vcc_lo, v5, v3
	s_wait_alu 0xfffd
	s_delay_alu instid0(VALU_DEP_3)
	v_sub_co_ci_u32_e64 v8, null, v6, v3, vcc_lo
.LBB16_9:                               ;   in Loop: Header=BB16_3 Depth=1
	s_wait_alu 0xfffe
	s_and_not1_saveexec_b32 s2, s3
	s_cbranch_execz .LBB16_11
; %bb.10:                               ;   in Loop: Header=BB16_3 Depth=1
	s_sub_co_i32 s3, 0, s14
	v_mov_b32_e32 v8, v2
	s_wait_alu 0xfffe
	v_mul_lo_u32 v3, s3, v25
	s_delay_alu instid0(VALU_DEP_1) | instskip(NEXT) | instid1(VALU_DEP_1)
	v_mul_hi_u32 v3, v25, v3
	v_add_nc_u32_e32 v3, v25, v3
	s_delay_alu instid0(VALU_DEP_1) | instskip(NEXT) | instid1(VALU_DEP_1)
	v_mul_hi_u32 v3, v4, v3
	v_mul_lo_u32 v5, v3, s14
	v_add_nc_u32_e32 v6, 1, v3
	s_delay_alu instid0(VALU_DEP_2) | instskip(NEXT) | instid1(VALU_DEP_1)
	v_sub_nc_u32_e32 v5, v4, v5
	v_subrev_nc_u32_e32 v7, s14, v5
	v_cmp_le_u32_e32 vcc_lo, s14, v5
	s_wait_alu 0xfffd
	s_delay_alu instid0(VALU_DEP_2) | instskip(SKIP_1) | instid1(VALU_DEP_2)
	v_cndmask_b32_e32 v5, v5, v7, vcc_lo
	v_cndmask_b32_e32 v3, v3, v6, vcc_lo
	v_cmp_le_u32_e32 vcc_lo, s14, v5
	s_delay_alu instid0(VALU_DEP_2) | instskip(SKIP_1) | instid1(VALU_DEP_1)
	v_add_nc_u32_e32 v6, 1, v3
	s_wait_alu 0xfffd
	v_cndmask_b32_e32 v7, v3, v6, vcc_lo
.LBB16_11:                              ;   in Loop: Header=BB16_3 Depth=1
	s_wait_alu 0xfffe
	s_or_b32 exec_lo, exec_lo, s2
	v_mad_co_u64_u32 v[5:6], null, v4, s8, 0
	s_delay_alu instid0(VALU_DEP_2) | instskip(SKIP_3) | instid1(VALU_DEP_1)
	v_mad_co_u64_u32 v[9:10], null, v7, s14, 0
	s_mov_b32 s23, exec_lo
	v_sub_co_u32 v28, null, v0, v5
	v_sub_co_u32 v27, null, v4, v9
	v_sub_nc_u32_e32 v6, v28, v27
	s_delay_alu instid0(VALU_DEP_1) | instskip(NEXT) | instid1(VALU_DEP_1)
	v_add_nc_u32_e32 v3, 4, v6
	v_ashrrev_i32_e32 v4, 31, v3
	s_delay_alu instid0(VALU_DEP_1)
	v_cmpx_lt_i64_e64 s[4:5], v[3:4]
	s_cbranch_execz .LBB16_2
; %bb.12:                               ;   in Loop: Header=BB16_3 Depth=1
	s_load_b64 s[2:3], s[20:21], 0x64
	s_and_not1_b32 vcc_lo, exec_lo, s56
	s_wait_kmcnt 0x0
	v_mul_lo_u32 v3, s3, v28
	s_delay_alu instid0(VALU_DEP_1)
	v_mad_co_u64_u32 v[4:5], null, s2, v27, v[3:4]
	s_wait_alu 0xfffe
	s_cbranch_vccnz .LBB16_56
; %bb.13:                               ;   in Loop: Header=BB16_3 Depth=1
	s_mov_b32 s25, s52
	s_and_not1_b32 vcc_lo, exec_lo, s54
	s_mov_b32 s18, s33
	s_mov_b32 s2, s33
	s_wait_alu 0xfffe
	s_cbranch_vccz .LBB16_16
; %bb.14:                               ;   in Loop: Header=BB16_3 Depth=1
	s_and_not1_b32 vcc_lo, exec_lo, s55
	s_wait_alu 0xfffe
	s_cbranch_vccz .LBB16_21
	s_branch .LBB16_56
.LBB16_15:                              ;   in Loop: Header=BB16_16 Depth=2
	s_wait_alu 0xfffe
	s_or_b32 exec_lo, exec_lo, s2
	s_add_nc_u64 s[26:27], s[0:1], s[26:27]
	v_mul_lo_u32 v3, v9, s28
	s_load_b32 s2, s[26:27], 0x6c
	s_add_co_i32 s25, s25, -1
	s_add_co_i32 s18, s18, -1
	s_wait_alu 0xfffe
	s_cmp_lg_u32 s25, 0
	s_delay_alu instid0(VALU_DEP_1) | instskip(SKIP_2) | instid1(VALU_DEP_2)
	v_sub_nc_u32_e32 v3, v7, v3
	v_dual_mov_b32 v7, v9 :: v_dual_mov_b32 v8, v10
	s_wait_kmcnt 0x0
	v_mad_co_u64_u32 v[4:5], null, s2, v3, v[4:5]
	s_cbranch_scc0 .LBB16_20
.LBB16_16:                              ;   Parent Loop BB16_3 Depth=1
                                        ; =>  This Inner Loop Header: Depth=2
	s_lshl_b64 s[26:27], s[18:19], 2
                                        ; implicit-def: $vgpr9_vgpr10
	s_mov_b32 s2, exec_lo
	s_wait_alu 0xfffe
	s_add_nc_u64 s[28:29], s[10:11], s[26:27]
	s_load_b32 s28, s[28:29], 0x8
	s_wait_kmcnt 0x0
	s_ashr_i32 s29, s28, 31
	s_wait_alu 0xfffe
	v_or_b32_e32 v3, s29, v8
	s_delay_alu instid0(VALU_DEP_1)
	v_cmpx_ne_u64_e32 0, v[2:3]
	s_xor_b32 s36, exec_lo, s2
	s_cbranch_execz .LBB16_18
; %bb.17:                               ;   in Loop: Header=BB16_16 Depth=2
	s_ashr_i32 s30, s29, 31
	s_mov_b32 s43, s19
	s_wait_alu 0xfffe
	s_mov_b32 s31, s30
	s_mov_b32 s47, s19
	s_wait_alu 0xfffe
	s_add_nc_u64 s[34:35], s[28:29], s[30:31]
	v_ashrrev_i32_e32 v3, 31, v8
	s_wait_alu 0xfffe
	s_xor_b64 s[34:35], s[34:35], s[30:31]
	s_wait_alu 0xfffe
	s_cvt_f32_u32 s2, s34
	s_cvt_f32_u32 s29, s35
	s_sub_nc_u64 s[40:41], 0, s[34:35]
	v_add_co_u32 v5, vcc_lo, v7, v3
	s_wait_alu 0xfffe
	s_fmamk_f32 s2, s29, 0x4f800000, s2
	s_wait_alu 0xfffd
	v_add_co_ci_u32_e64 v8, null, v8, v3, vcc_lo
	v_xor_b32_e32 v5, v5, v3
	s_wait_alu 0xfffe
	v_s_rcp_f32 s2, s2
	s_delay_alu instid0(VALU_DEP_2) | instskip(SKIP_1) | instid1(TRANS32_DEP_1)
	v_xor_b32_e32 v14, v8, v3
	v_xor_b32_e32 v3, s30, v3
	s_mul_f32 s2, s2, 0x5f7ffffc
	s_wait_alu 0xfffe
	s_delay_alu instid0(SALU_CYCLE_2) | instskip(SKIP_1) | instid1(SALU_CYCLE_2)
	s_mul_f32 s29, s2, 0x2f800000
	s_wait_alu 0xfffe
	s_trunc_f32 s29, s29
	s_wait_alu 0xfffe
	s_delay_alu instid0(SALU_CYCLE_2) | instskip(SKIP_2) | instid1(SALU_CYCLE_1)
	s_fmamk_f32 s2, s29, 0xcf800000, s2
	s_cvt_u32_f32 s39, s29
	s_wait_alu 0xfffe
	s_cvt_u32_f32 s38, s2
	s_wait_alu 0xfffe
	s_delay_alu instid0(SALU_CYCLE_2)
	s_mul_u64 s[44:45], s[40:41], s[38:39]
	s_wait_alu 0xfffe
	s_mul_hi_u32 s49, s38, s45
	s_mul_i32 s48, s38, s45
	s_mul_hi_u32 s42, s38, s44
	s_mul_i32 s29, s39, s44
	s_wait_alu 0xfffe
	s_add_nc_u64 s[42:43], s[42:43], s[48:49]
	s_mul_hi_u32 s2, s39, s44
	s_mul_hi_u32 s31, s39, s45
	s_wait_alu 0xfffe
	s_add_co_u32 s29, s42, s29
	s_add_co_ci_u32 s46, s43, s2
	s_mul_i32 s44, s39, s45
	s_add_co_ci_u32 s45, s31, 0
	s_wait_alu 0xfffe
	s_add_nc_u64 s[42:43], s[46:47], s[44:45]
	s_mov_b32 s45, s19
	s_wait_alu 0xfffe
	s_add_co_u32 s38, s38, s42
	s_cselect_b32 s2, -1, 0
	s_wait_alu 0xfffe
	s_cmp_lg_u32 s2, 0
	s_add_co_ci_u32 s39, s39, s43
	s_mov_b32 s43, s19
	s_wait_alu 0xfffe
	s_mul_u64 s[40:41], s[40:41], s[38:39]
	s_wait_alu 0xfffe
	s_mul_hi_u32 s47, s38, s41
	s_mul_i32 s46, s38, s41
	s_mul_hi_u32 s44, s38, s40
	s_mul_i32 s29, s39, s40
	s_wait_alu 0xfffe
	s_add_nc_u64 s[44:45], s[44:45], s[46:47]
	s_mul_hi_u32 s2, s39, s40
	s_mul_hi_u32 s31, s39, s41
	s_wait_alu 0xfffe
	s_add_co_u32 s29, s44, s29
	s_add_co_ci_u32 s42, s45, s2
	s_mul_i32 s40, s39, s41
	s_add_co_ci_u32 s41, s31, 0
	s_wait_alu 0xfffe
	s_add_nc_u64 s[40:41], s[42:43], s[40:41]
	s_wait_alu 0xfffe
	s_add_co_u32 s2, s38, s40
	s_cselect_b32 s29, -1, 0
	s_wait_alu 0xfffe
	v_mul_hi_u32 v15, v5, s2
	s_cmp_lg_u32 s29, 0
	v_mad_co_u64_u32 v[10:11], null, v14, s2, 0
	s_add_co_ci_u32 s29, s39, s41
	s_wait_alu 0xfffe
	v_mad_co_u64_u32 v[8:9], null, v5, s29, 0
	v_mad_co_u64_u32 v[12:13], null, v14, s29, 0
	s_delay_alu instid0(VALU_DEP_2) | instskip(SKIP_1) | instid1(VALU_DEP_3)
	v_add_co_u32 v8, vcc_lo, v15, v8
	s_wait_alu 0xfffd
	v_add_co_ci_u32_e64 v9, null, 0, v9, vcc_lo
	s_delay_alu instid0(VALU_DEP_2) | instskip(SKIP_1) | instid1(VALU_DEP_2)
	v_add_co_u32 v8, vcc_lo, v8, v10
	s_wait_alu 0xfffd
	v_add_co_ci_u32_e32 v8, vcc_lo, v9, v11, vcc_lo
	s_wait_alu 0xfffd
	v_add_co_ci_u32_e32 v9, vcc_lo, 0, v13, vcc_lo
	s_delay_alu instid0(VALU_DEP_2) | instskip(SKIP_1) | instid1(VALU_DEP_2)
	v_add_co_u32 v10, vcc_lo, v8, v12
	s_wait_alu 0xfffd
	v_add_co_ci_u32_e64 v11, null, 0, v9, vcc_lo
	s_delay_alu instid0(VALU_DEP_2) | instskip(SKIP_1) | instid1(VALU_DEP_3)
	v_mul_lo_u32 v12, s35, v10
	v_mad_co_u64_u32 v[8:9], null, s34, v10, 0
	v_mul_lo_u32 v13, s34, v11
	s_delay_alu instid0(VALU_DEP_2) | instskip(NEXT) | instid1(VALU_DEP_2)
	v_sub_co_u32 v5, vcc_lo, v5, v8
	v_add3_u32 v9, v9, v13, v12
	s_delay_alu instid0(VALU_DEP_1) | instskip(SKIP_2) | instid1(VALU_DEP_2)
	v_sub_nc_u32_e32 v12, v14, v9
	s_wait_alu 0xfffd
	v_sub_co_ci_u32_e64 v9, null, v14, v9, vcc_lo
	v_subrev_co_ci_u32_e64 v8, null, s35, v12, vcc_lo
	v_add_co_u32 v12, s2, v10, 2
	s_wait_alu 0xf1ff
	v_add_co_ci_u32_e64 v13, null, 0, v11, s2
	v_sub_co_u32 v15, s2, v5, s34
	s_wait_alu 0xf1ff
	v_subrev_co_ci_u32_e64 v8, null, 0, v8, s2
	s_delay_alu instid0(VALU_DEP_2) | instskip(SKIP_2) | instid1(VALU_DEP_3)
	v_cmp_le_u32_e32 vcc_lo, s34, v15
	s_wait_alu 0xfffd
	v_cndmask_b32_e64 v14, 0, -1, vcc_lo
	v_cmp_le_u32_e32 vcc_lo, s35, v8
	s_wait_alu 0xfffd
	v_cndmask_b32_e64 v15, 0, -1, vcc_lo
	;; [unrolled: 3-line block ×4, first 2 shown]
	v_cmp_eq_u32_e32 vcc_lo, s35, v8
	s_wait_alu 0xfffd
	v_cndmask_b32_e32 v8, v15, v14, vcc_lo
	v_add_co_u32 v14, vcc_lo, v10, 1
	s_wait_alu 0xfffd
	v_add_co_ci_u32_e64 v15, null, 0, v11, vcc_lo
	v_cmp_eq_u32_e32 vcc_lo, s35, v9
	s_wait_alu 0xfffd
	v_cndmask_b32_e32 v5, v16, v5, vcc_lo
	v_cmp_ne_u32_e32 vcc_lo, 0, v8
	s_delay_alu instid0(VALU_DEP_2) | instskip(SKIP_3) | instid1(VALU_DEP_1)
	v_cmp_ne_u32_e64 s2, 0, v5
	s_wait_alu 0xfffd
	v_dual_cndmask_b32 v8, v15, v13 :: v_dual_cndmask_b32 v5, v14, v12
	s_wait_alu 0xf1ff
	v_cndmask_b32_e64 v8, v11, v8, s2
	s_delay_alu instid0(VALU_DEP_2) | instskip(NEXT) | instid1(VALU_DEP_2)
	v_cndmask_b32_e64 v5, v10, v5, s2
	v_xor_b32_e32 v8, v8, v3
	s_delay_alu instid0(VALU_DEP_2) | instskip(NEXT) | instid1(VALU_DEP_1)
	v_xor_b32_e32 v5, v5, v3
	v_sub_co_u32 v9, vcc_lo, v5, v3
	s_wait_alu 0xfffd
	s_delay_alu instid0(VALU_DEP_3)
	v_sub_co_ci_u32_e64 v10, null, v8, v3, vcc_lo
.LBB16_18:                              ;   in Loop: Header=BB16_16 Depth=2
	s_wait_alu 0xfffe
	s_and_not1_saveexec_b32 s2, s36
	s_cbranch_execz .LBB16_15
; %bb.19:                               ;   in Loop: Header=BB16_16 Depth=2
	v_cvt_f32_u32_e32 v3, s28
	s_sub_co_i32 s29, 0, s28
	v_mov_b32_e32 v10, v2
	s_delay_alu instid0(VALU_DEP_2) | instskip(NEXT) | instid1(TRANS32_DEP_1)
	v_rcp_iflag_f32_e32 v3, v3
	v_mul_f32_e32 v3, 0x4f7ffffe, v3
	s_delay_alu instid0(VALU_DEP_1) | instskip(SKIP_1) | instid1(VALU_DEP_1)
	v_cvt_u32_f32_e32 v3, v3
	s_wait_alu 0xfffe
	v_mul_lo_u32 v5, s29, v3
	s_delay_alu instid0(VALU_DEP_1) | instskip(NEXT) | instid1(VALU_DEP_1)
	v_mul_hi_u32 v5, v3, v5
	v_add_nc_u32_e32 v3, v3, v5
	s_delay_alu instid0(VALU_DEP_1) | instskip(NEXT) | instid1(VALU_DEP_1)
	v_mul_hi_u32 v3, v7, v3
	v_mul_lo_u32 v5, v3, s28
	s_delay_alu instid0(VALU_DEP_1) | instskip(NEXT) | instid1(VALU_DEP_1)
	v_sub_nc_u32_e32 v5, v7, v5
	v_subrev_nc_u32_e32 v9, s28, v5
	v_cmp_le_u32_e32 vcc_lo, s28, v5
	s_wait_alu 0xfffd
	s_delay_alu instid0(VALU_DEP_2) | instskip(NEXT) | instid1(VALU_DEP_1)
	v_dual_cndmask_b32 v5, v5, v9 :: v_dual_add_nc_u32 v8, 1, v3
	v_cndmask_b32_e32 v3, v3, v8, vcc_lo
	s_delay_alu instid0(VALU_DEP_2) | instskip(NEXT) | instid1(VALU_DEP_2)
	v_cmp_le_u32_e32 vcc_lo, s28, v5
	v_add_nc_u32_e32 v8, 1, v3
	s_wait_alu 0xfffd
	s_delay_alu instid0(VALU_DEP_1)
	v_cndmask_b32_e32 v9, v3, v8, vcc_lo
	s_branch .LBB16_15
.LBB16_20:                              ;   in Loop: Header=BB16_3 Depth=1
	s_mov_b32 s2, s18
	s_and_not1_b32 vcc_lo, exec_lo, s55
	s_wait_alu 0xfffe
	s_cbranch_vccnz .LBB16_56
.LBB16_21:                              ;   in Loop: Header=BB16_3 Depth=1
	s_add_co_i32 s26, s2, -7
.LBB16_22:                              ;   Parent Loop BB16_3 Depth=1
                                        ; =>  This Inner Loop Header: Depth=2
	s_wait_alu 0xfffe
	s_add_co_i32 s18, s26, 7
                                        ; implicit-def: $vgpr9_vgpr10
	s_mov_b32 s2, exec_lo
	s_wait_alu 0xfffe
	s_lshl_b64 s[34:35], s[18:19], 2
	s_wait_alu 0xfffe
	s_add_nc_u64 s[28:29], s[10:11], s[34:35]
	s_load_b32 s28, s[28:29], 0x8
	s_wait_kmcnt 0x0
	s_ashr_i32 s29, s28, 31
	s_wait_alu 0xfffe
	v_or_b32_e32 v3, s29, v8
	s_delay_alu instid0(VALU_DEP_1)
	v_cmpx_ne_u64_e32 0, v[2:3]
	s_xor_b32 s25, exec_lo, s2
	s_cbranch_execz .LBB16_24
; %bb.23:                               ;   in Loop: Header=BB16_22 Depth=2
	s_ashr_i32 s30, s29, 31
	v_ashrrev_i32_e32 v3, 31, v8
	s_wait_alu 0xfffe
	s_mov_b32 s31, s30
	s_wait_alu 0xfffe
	s_add_nc_u64 s[36:37], s[28:29], s[30:31]
	v_add_co_u32 v5, vcc_lo, v7, v3
	s_wait_alu 0xfffe
	s_xor_b64 s[36:37], s[36:37], s[30:31]
	s_wait_alu 0xfffd
	v_add_co_ci_u32_e64 v8, null, v8, v3, vcc_lo
	s_wait_alu 0xfffe
	s_cvt_f32_u32 s2, s36
	s_cvt_f32_u32 s18, s37
	s_sub_nc_u64 s[40:41], 0, s[36:37]
	v_xor_b32_e32 v5, v5, v3
	v_xor_b32_e32 v14, v8, v3
	s_wait_alu 0xfffe
	s_fmamk_f32 s2, s18, 0x4f800000, s2
	v_xor_b32_e32 v3, s30, v3
	s_wait_alu 0xfffe
	s_delay_alu instid0(SALU_CYCLE_1) | instskip(NEXT) | instid1(TRANS32_DEP_1)
	v_s_rcp_f32 s2, s2
	s_mul_f32 s2, s2, 0x5f7ffffc
	s_wait_alu 0xfffe
	s_delay_alu instid0(SALU_CYCLE_2) | instskip(SKIP_1) | instid1(SALU_CYCLE_2)
	s_mul_f32 s18, s2, 0x2f800000
	s_wait_alu 0xfffe
	s_trunc_f32 s18, s18
	s_wait_alu 0xfffe
	s_delay_alu instid0(SALU_CYCLE_2) | instskip(SKIP_2) | instid1(SALU_CYCLE_1)
	s_fmamk_f32 s2, s18, 0xcf800000, s2
	s_cvt_u32_f32 s39, s18
	s_wait_alu 0xfffe
	s_cvt_u32_f32 s38, s2
	s_wait_alu 0xfffe
	s_delay_alu instid0(SALU_CYCLE_2)
	s_mul_u64 s[42:43], s[40:41], s[38:39]
	s_wait_alu 0xfffe
	s_mul_hi_u32 s45, s38, s43
	s_mul_i32 s44, s38, s43
	s_mul_hi_u32 s18, s38, s42
	s_mul_i32 s27, s39, s42
	s_wait_alu 0xfffe
	s_add_nc_u64 s[44:45], s[18:19], s[44:45]
	s_mul_hi_u32 s2, s39, s42
	s_mul_hi_u32 s29, s39, s43
	s_wait_alu 0xfffe
	s_add_co_u32 s18, s44, s27
	s_add_co_ci_u32 s18, s45, s2
	s_mul_i32 s42, s39, s43
	s_add_co_ci_u32 s43, s29, 0
	s_wait_alu 0xfffe
	s_add_nc_u64 s[42:43], s[18:19], s[42:43]
	s_wait_alu 0xfffe
	s_add_co_u32 s38, s38, s42
	s_cselect_b32 s2, -1, 0
	s_wait_alu 0xfffe
	s_cmp_lg_u32 s2, 0
	s_add_co_ci_u32 s39, s39, s43
	s_wait_alu 0xfffe
	s_mul_u64 s[40:41], s[40:41], s[38:39]
	s_wait_alu 0xfffe
	s_mul_hi_u32 s43, s38, s41
	s_mul_i32 s42, s38, s41
	s_mul_hi_u32 s18, s38, s40
	s_mul_i32 s27, s39, s40
	s_wait_alu 0xfffe
	s_add_nc_u64 s[42:43], s[18:19], s[42:43]
	s_mul_hi_u32 s2, s39, s40
	s_mul_hi_u32 s29, s39, s41
	s_wait_alu 0xfffe
	s_add_co_u32 s18, s42, s27
	s_add_co_ci_u32 s18, s43, s2
	s_mul_i32 s40, s39, s41
	s_add_co_ci_u32 s41, s29, 0
	s_wait_alu 0xfffe
	s_add_nc_u64 s[40:41], s[18:19], s[40:41]
	s_wait_alu 0xfffe
	s_add_co_u32 s2, s38, s40
	s_cselect_b32 s18, -1, 0
	s_wait_alu 0xfffe
	v_mul_hi_u32 v15, v5, s2
	s_cmp_lg_u32 s18, 0
	v_mad_co_u64_u32 v[10:11], null, v14, s2, 0
	s_add_co_ci_u32 s18, s39, s41
	s_wait_alu 0xfffe
	v_mad_co_u64_u32 v[8:9], null, v5, s18, 0
	v_mad_co_u64_u32 v[12:13], null, v14, s18, 0
	s_delay_alu instid0(VALU_DEP_2) | instskip(SKIP_1) | instid1(VALU_DEP_3)
	v_add_co_u32 v8, vcc_lo, v15, v8
	s_wait_alu 0xfffd
	v_add_co_ci_u32_e64 v9, null, 0, v9, vcc_lo
	s_delay_alu instid0(VALU_DEP_2) | instskip(SKIP_1) | instid1(VALU_DEP_2)
	v_add_co_u32 v8, vcc_lo, v8, v10
	s_wait_alu 0xfffd
	v_add_co_ci_u32_e32 v8, vcc_lo, v9, v11, vcc_lo
	s_wait_alu 0xfffd
	v_add_co_ci_u32_e32 v9, vcc_lo, 0, v13, vcc_lo
	s_delay_alu instid0(VALU_DEP_2) | instskip(SKIP_1) | instid1(VALU_DEP_2)
	v_add_co_u32 v10, vcc_lo, v8, v12
	s_wait_alu 0xfffd
	v_add_co_ci_u32_e64 v11, null, 0, v9, vcc_lo
	s_delay_alu instid0(VALU_DEP_2) | instskip(SKIP_1) | instid1(VALU_DEP_3)
	v_mul_lo_u32 v12, s37, v10
	v_mad_co_u64_u32 v[8:9], null, s36, v10, 0
	v_mul_lo_u32 v13, s36, v11
	s_delay_alu instid0(VALU_DEP_2) | instskip(NEXT) | instid1(VALU_DEP_2)
	v_sub_co_u32 v5, vcc_lo, v5, v8
	v_add3_u32 v9, v9, v13, v12
	s_delay_alu instid0(VALU_DEP_1) | instskip(SKIP_2) | instid1(VALU_DEP_2)
	v_sub_nc_u32_e32 v12, v14, v9
	s_wait_alu 0xfffd
	v_sub_co_ci_u32_e64 v9, null, v14, v9, vcc_lo
	v_subrev_co_ci_u32_e64 v8, null, s37, v12, vcc_lo
	v_add_co_u32 v12, s2, v10, 2
	s_wait_alu 0xf1ff
	v_add_co_ci_u32_e64 v13, null, 0, v11, s2
	v_sub_co_u32 v15, s2, v5, s36
	s_wait_alu 0xf1ff
	v_subrev_co_ci_u32_e64 v8, null, 0, v8, s2
	s_delay_alu instid0(VALU_DEP_2) | instskip(SKIP_2) | instid1(VALU_DEP_3)
	v_cmp_le_u32_e32 vcc_lo, s36, v15
	s_wait_alu 0xfffd
	v_cndmask_b32_e64 v14, 0, -1, vcc_lo
	v_cmp_le_u32_e32 vcc_lo, s37, v8
	s_wait_alu 0xfffd
	v_cndmask_b32_e64 v15, 0, -1, vcc_lo
	;; [unrolled: 3-line block ×4, first 2 shown]
	v_cmp_eq_u32_e32 vcc_lo, s37, v8
	s_wait_alu 0xfffd
	v_cndmask_b32_e32 v8, v15, v14, vcc_lo
	v_add_co_u32 v14, vcc_lo, v10, 1
	s_wait_alu 0xfffd
	v_add_co_ci_u32_e64 v15, null, 0, v11, vcc_lo
	v_cmp_eq_u32_e32 vcc_lo, s37, v9
	s_wait_alu 0xfffd
	v_cndmask_b32_e32 v5, v16, v5, vcc_lo
	v_cmp_ne_u32_e32 vcc_lo, 0, v8
	s_delay_alu instid0(VALU_DEP_2) | instskip(SKIP_3) | instid1(VALU_DEP_1)
	v_cmp_ne_u32_e64 s2, 0, v5
	s_wait_alu 0xfffd
	v_dual_cndmask_b32 v8, v15, v13 :: v_dual_cndmask_b32 v5, v14, v12
	s_wait_alu 0xf1ff
	v_cndmask_b32_e64 v8, v11, v8, s2
	s_delay_alu instid0(VALU_DEP_2) | instskip(NEXT) | instid1(VALU_DEP_2)
	v_cndmask_b32_e64 v5, v10, v5, s2
	v_xor_b32_e32 v8, v8, v3
	s_delay_alu instid0(VALU_DEP_2) | instskip(NEXT) | instid1(VALU_DEP_1)
	v_xor_b32_e32 v5, v5, v3
	v_sub_co_u32 v9, vcc_lo, v5, v3
	s_wait_alu 0xfffd
	s_delay_alu instid0(VALU_DEP_3)
	v_sub_co_ci_u32_e64 v10, null, v8, v3, vcc_lo
.LBB16_24:                              ;   in Loop: Header=BB16_22 Depth=2
	s_wait_alu 0xfffe
	s_and_not1_saveexec_b32 s2, s25
	s_cbranch_execz .LBB16_26
; %bb.25:                               ;   in Loop: Header=BB16_22 Depth=2
	v_cvt_f32_u32_e32 v3, s28
	s_sub_co_i32 s18, 0, s28
	v_mov_b32_e32 v10, v2
	s_delay_alu instid0(VALU_DEP_2) | instskip(NEXT) | instid1(TRANS32_DEP_1)
	v_rcp_iflag_f32_e32 v3, v3
	v_mul_f32_e32 v3, 0x4f7ffffe, v3
	s_delay_alu instid0(VALU_DEP_1) | instskip(SKIP_1) | instid1(VALU_DEP_1)
	v_cvt_u32_f32_e32 v3, v3
	s_wait_alu 0xfffe
	v_mul_lo_u32 v5, s18, v3
	s_delay_alu instid0(VALU_DEP_1) | instskip(NEXT) | instid1(VALU_DEP_1)
	v_mul_hi_u32 v5, v3, v5
	v_add_nc_u32_e32 v3, v3, v5
	s_delay_alu instid0(VALU_DEP_1) | instskip(NEXT) | instid1(VALU_DEP_1)
	v_mul_hi_u32 v3, v7, v3
	v_mul_lo_u32 v5, v3, s28
	s_delay_alu instid0(VALU_DEP_1) | instskip(NEXT) | instid1(VALU_DEP_1)
	v_sub_nc_u32_e32 v5, v7, v5
	v_subrev_nc_u32_e32 v9, s28, v5
	v_cmp_le_u32_e32 vcc_lo, s28, v5
	s_wait_alu 0xfffd
	s_delay_alu instid0(VALU_DEP_2) | instskip(NEXT) | instid1(VALU_DEP_1)
	v_dual_cndmask_b32 v5, v5, v9 :: v_dual_add_nc_u32 v8, 1, v3
	v_cndmask_b32_e32 v3, v3, v8, vcc_lo
	s_delay_alu instid0(VALU_DEP_2) | instskip(NEXT) | instid1(VALU_DEP_2)
	v_cmp_le_u32_e32 vcc_lo, s28, v5
	v_add_nc_u32_e32 v8, 1, v3
	s_wait_alu 0xfffd
	s_delay_alu instid0(VALU_DEP_1)
	v_cndmask_b32_e32 v9, v3, v8, vcc_lo
.LBB16_26:                              ;   in Loop: Header=BB16_22 Depth=2
	s_wait_alu 0xfffe
	s_or_b32 exec_lo, exec_lo, s2
	s_add_co_i32 s18, s26, 6
	s_add_nc_u64 s[34:35], s[0:1], s[34:35]
	s_wait_alu 0xfffe
	s_lshl_b64 s[36:37], s[18:19], 2
                                        ; implicit-def: $vgpr11_vgpr12
	s_mov_b32 s2, exec_lo
	s_wait_alu 0xfffe
	s_add_nc_u64 s[30:31], s[10:11], s[36:37]
	s_clause 0x1
	s_load_b32 s25, s[34:35], 0x6c
	s_load_b32 s30, s[30:31], 0x8
	s_wait_kmcnt 0x0
	s_ashr_i32 s31, s30, 31
	s_wait_alu 0xfffe
	v_or_b32_e32 v3, s31, v10
	s_delay_alu instid0(VALU_DEP_1)
	v_cmpx_ne_u64_e32 0, v[2:3]
	s_xor_b32 s27, exec_lo, s2
	s_cbranch_execz .LBB16_28
; %bb.27:                               ;   in Loop: Header=BB16_22 Depth=2
	s_ashr_i32 s34, s31, 31
	v_ashrrev_i32_e32 v3, 31, v10
	s_wait_alu 0xfffe
	s_mov_b32 s35, s34
	s_wait_alu 0xfffe
	s_add_nc_u64 s[38:39], s[30:31], s[34:35]
	v_add_co_u32 v5, vcc_lo, v9, v3
	s_wait_alu 0xfffe
	s_xor_b64 s[38:39], s[38:39], s[34:35]
	s_wait_alu 0xfffd
	v_add_co_ci_u32_e64 v8, null, v10, v3, vcc_lo
	s_wait_alu 0xfffe
	s_cvt_f32_u32 s2, s38
	s_cvt_f32_u32 s18, s39
	s_sub_nc_u64 s[42:43], 0, s[38:39]
	v_xor_b32_e32 v5, v5, v3
	v_xor_b32_e32 v8, v8, v3
	s_wait_alu 0xfffe
	s_fmamk_f32 s2, s18, 0x4f800000, s2
	v_xor_b32_e32 v3, s34, v3
	s_wait_alu 0xfffe
	s_delay_alu instid0(SALU_CYCLE_1) | instskip(NEXT) | instid1(TRANS32_DEP_1)
	v_s_rcp_f32 s2, s2
	s_mul_f32 s2, s2, 0x5f7ffffc
	s_wait_alu 0xfffe
	s_delay_alu instid0(SALU_CYCLE_2) | instskip(SKIP_1) | instid1(SALU_CYCLE_2)
	s_mul_f32 s18, s2, 0x2f800000
	s_wait_alu 0xfffe
	s_trunc_f32 s18, s18
	s_wait_alu 0xfffe
	s_delay_alu instid0(SALU_CYCLE_2) | instskip(SKIP_2) | instid1(SALU_CYCLE_1)
	s_fmamk_f32 s2, s18, 0xcf800000, s2
	s_cvt_u32_f32 s41, s18
	s_wait_alu 0xfffe
	s_cvt_u32_f32 s40, s2
	s_wait_alu 0xfffe
	s_delay_alu instid0(SALU_CYCLE_2)
	s_mul_u64 s[44:45], s[42:43], s[40:41]
	s_wait_alu 0xfffe
	s_mul_hi_u32 s47, s40, s45
	s_mul_i32 s46, s40, s45
	s_mul_hi_u32 s18, s40, s44
	s_mul_i32 s29, s41, s44
	s_wait_alu 0xfffe
	s_add_nc_u64 s[46:47], s[18:19], s[46:47]
	s_mul_hi_u32 s2, s41, s44
	s_mul_hi_u32 s31, s41, s45
	s_wait_alu 0xfffe
	s_add_co_u32 s18, s46, s29
	s_add_co_ci_u32 s18, s47, s2
	s_mul_i32 s44, s41, s45
	s_add_co_ci_u32 s45, s31, 0
	s_wait_alu 0xfffe
	s_add_nc_u64 s[44:45], s[18:19], s[44:45]
	s_wait_alu 0xfffe
	s_add_co_u32 s40, s40, s44
	s_cselect_b32 s2, -1, 0
	s_wait_alu 0xfffe
	s_cmp_lg_u32 s2, 0
	s_add_co_ci_u32 s41, s41, s45
	s_wait_alu 0xfffe
	s_mul_u64 s[42:43], s[42:43], s[40:41]
	s_wait_alu 0xfffe
	s_mul_hi_u32 s45, s40, s43
	s_mul_i32 s44, s40, s43
	s_mul_hi_u32 s18, s40, s42
	s_mul_i32 s29, s41, s42
	s_wait_alu 0xfffe
	s_add_nc_u64 s[44:45], s[18:19], s[44:45]
	s_mul_hi_u32 s2, s41, s42
	s_mul_hi_u32 s31, s41, s43
	s_wait_alu 0xfffe
	s_add_co_u32 s18, s44, s29
	s_add_co_ci_u32 s18, s45, s2
	s_mul_i32 s42, s41, s43
	s_add_co_ci_u32 s43, s31, 0
	s_wait_alu 0xfffe
	s_add_nc_u64 s[42:43], s[18:19], s[42:43]
	s_wait_alu 0xfffe
	s_add_co_u32 s2, s40, s42
	s_cselect_b32 s18, -1, 0
	s_wait_alu 0xfffe
	v_mul_hi_u32 v16, v5, s2
	s_cmp_lg_u32 s18, 0
	v_mad_co_u64_u32 v[12:13], null, v8, s2, 0
	s_add_co_ci_u32 s18, s41, s43
	s_wait_alu 0xfffe
	v_mad_co_u64_u32 v[10:11], null, v5, s18, 0
	v_mad_co_u64_u32 v[14:15], null, v8, s18, 0
	s_delay_alu instid0(VALU_DEP_2) | instskip(SKIP_1) | instid1(VALU_DEP_3)
	v_add_co_u32 v10, vcc_lo, v16, v10
	s_wait_alu 0xfffd
	v_add_co_ci_u32_e64 v11, null, 0, v11, vcc_lo
	s_delay_alu instid0(VALU_DEP_2) | instskip(SKIP_1) | instid1(VALU_DEP_2)
	v_add_co_u32 v10, vcc_lo, v10, v12
	s_wait_alu 0xfffd
	v_add_co_ci_u32_e32 v10, vcc_lo, v11, v13, vcc_lo
	s_wait_alu 0xfffd
	v_add_co_ci_u32_e32 v11, vcc_lo, 0, v15, vcc_lo
	s_delay_alu instid0(VALU_DEP_2) | instskip(SKIP_1) | instid1(VALU_DEP_2)
	v_add_co_u32 v12, vcc_lo, v10, v14
	s_wait_alu 0xfffd
	v_add_co_ci_u32_e64 v13, null, 0, v11, vcc_lo
	s_delay_alu instid0(VALU_DEP_2) | instskip(SKIP_1) | instid1(VALU_DEP_3)
	v_mul_lo_u32 v14, s39, v12
	v_mad_co_u64_u32 v[10:11], null, s38, v12, 0
	v_mul_lo_u32 v15, s38, v13
	s_delay_alu instid0(VALU_DEP_2) | instskip(NEXT) | instid1(VALU_DEP_2)
	v_sub_co_u32 v5, vcc_lo, v5, v10
	v_add3_u32 v11, v11, v15, v14
	s_delay_alu instid0(VALU_DEP_1) | instskip(SKIP_2) | instid1(VALU_DEP_2)
	v_sub_nc_u32_e32 v14, v8, v11
	s_wait_alu 0xfffd
	v_sub_co_ci_u32_e64 v8, null, v8, v11, vcc_lo
	v_subrev_co_ci_u32_e64 v10, null, s39, v14, vcc_lo
	v_add_co_u32 v14, s2, v12, 2
	s_wait_alu 0xf1ff
	v_add_co_ci_u32_e64 v15, null, 0, v13, s2
	v_sub_co_u32 v16, s2, v5, s38
	s_wait_alu 0xf1ff
	v_subrev_co_ci_u32_e64 v10, null, 0, v10, s2
	s_delay_alu instid0(VALU_DEP_2) | instskip(SKIP_2) | instid1(VALU_DEP_3)
	v_cmp_le_u32_e32 vcc_lo, s38, v16
	s_wait_alu 0xfffd
	v_cndmask_b32_e64 v11, 0, -1, vcc_lo
	v_cmp_le_u32_e32 vcc_lo, s39, v10
	s_wait_alu 0xfffd
	v_cndmask_b32_e64 v16, 0, -1, vcc_lo
	;; [unrolled: 3-line block ×4, first 2 shown]
	v_cmp_eq_u32_e32 vcc_lo, s39, v10
	s_wait_alu 0xfffd
	v_cndmask_b32_e32 v10, v16, v11, vcc_lo
	v_add_co_u32 v11, vcc_lo, v12, 1
	s_wait_alu 0xfffd
	v_add_co_ci_u32_e64 v16, null, 0, v13, vcc_lo
	v_cmp_eq_u32_e32 vcc_lo, s39, v8
	s_wait_alu 0xfffd
	v_cndmask_b32_e32 v5, v17, v5, vcc_lo
	v_cmp_ne_u32_e32 vcc_lo, 0, v10
	s_delay_alu instid0(VALU_DEP_2) | instskip(SKIP_3) | instid1(VALU_DEP_1)
	v_cmp_ne_u32_e64 s2, 0, v5
	s_wait_alu 0xfffd
	v_dual_cndmask_b32 v8, v16, v15 :: v_dual_cndmask_b32 v5, v11, v14
	s_wait_alu 0xf1ff
	v_cndmask_b32_e64 v8, v13, v8, s2
	s_delay_alu instid0(VALU_DEP_2) | instskip(NEXT) | instid1(VALU_DEP_2)
	v_cndmask_b32_e64 v5, v12, v5, s2
	v_xor_b32_e32 v8, v8, v3
	s_delay_alu instid0(VALU_DEP_2) | instskip(NEXT) | instid1(VALU_DEP_1)
	v_xor_b32_e32 v5, v5, v3
	v_sub_co_u32 v11, vcc_lo, v5, v3
	s_wait_alu 0xfffd
	s_delay_alu instid0(VALU_DEP_3)
	v_sub_co_ci_u32_e64 v12, null, v8, v3, vcc_lo
.LBB16_28:                              ;   in Loop: Header=BB16_22 Depth=2
	s_wait_alu 0xfffe
	s_and_not1_saveexec_b32 s2, s27
	s_cbranch_execz .LBB16_30
; %bb.29:                               ;   in Loop: Header=BB16_22 Depth=2
	v_cvt_f32_u32_e32 v3, s30
	s_sub_co_i32 s18, 0, s30
	v_mov_b32_e32 v12, v2
	s_delay_alu instid0(VALU_DEP_2) | instskip(NEXT) | instid1(TRANS32_DEP_1)
	v_rcp_iflag_f32_e32 v3, v3
	v_mul_f32_e32 v3, 0x4f7ffffe, v3
	s_delay_alu instid0(VALU_DEP_1) | instskip(SKIP_1) | instid1(VALU_DEP_1)
	v_cvt_u32_f32_e32 v3, v3
	s_wait_alu 0xfffe
	v_mul_lo_u32 v5, s18, v3
	s_delay_alu instid0(VALU_DEP_1) | instskip(NEXT) | instid1(VALU_DEP_1)
	v_mul_hi_u32 v5, v3, v5
	v_add_nc_u32_e32 v3, v3, v5
	s_delay_alu instid0(VALU_DEP_1) | instskip(NEXT) | instid1(VALU_DEP_1)
	v_mul_hi_u32 v3, v9, v3
	v_mul_lo_u32 v5, v3, s30
	s_delay_alu instid0(VALU_DEP_1) | instskip(NEXT) | instid1(VALU_DEP_1)
	v_sub_nc_u32_e32 v5, v9, v5
	v_subrev_nc_u32_e32 v10, s30, v5
	v_cmp_le_u32_e32 vcc_lo, s30, v5
	s_wait_alu 0xfffd
	s_delay_alu instid0(VALU_DEP_2) | instskip(NEXT) | instid1(VALU_DEP_1)
	v_dual_cndmask_b32 v5, v5, v10 :: v_dual_add_nc_u32 v8, 1, v3
	v_cndmask_b32_e32 v3, v3, v8, vcc_lo
	s_delay_alu instid0(VALU_DEP_2) | instskip(NEXT) | instid1(VALU_DEP_2)
	v_cmp_le_u32_e32 vcc_lo, s30, v5
	v_add_nc_u32_e32 v8, 1, v3
	s_wait_alu 0xfffd
	s_delay_alu instid0(VALU_DEP_1)
	v_cndmask_b32_e32 v11, v3, v8, vcc_lo
.LBB16_30:                              ;   in Loop: Header=BB16_22 Depth=2
	s_wait_alu 0xfffe
	s_or_b32 exec_lo, exec_lo, s2
	s_add_co_i32 s18, s26, 5
	s_add_nc_u64 s[36:37], s[0:1], s[36:37]
	s_wait_alu 0xfffe
	s_lshl_b64 s[38:39], s[18:19], 2
                                        ; implicit-def: $vgpr13_vgpr14
	s_mov_b32 s2, exec_lo
	s_wait_alu 0xfffe
	s_add_nc_u64 s[34:35], s[10:11], s[38:39]
	s_clause 0x1
	s_load_b32 s29, s[36:37], 0x6c
	s_load_b32 s34, s[34:35], 0x8
	s_wait_kmcnt 0x0
	s_ashr_i32 s35, s34, 31
	s_wait_alu 0xfffe
	v_or_b32_e32 v3, s35, v12
	s_delay_alu instid0(VALU_DEP_1)
	v_cmpx_ne_u64_e32 0, v[2:3]
	s_xor_b32 s27, exec_lo, s2
	s_cbranch_execz .LBB16_32
; %bb.31:                               ;   in Loop: Header=BB16_22 Depth=2
	s_ashr_i32 s36, s35, 31
	v_ashrrev_i32_e32 v3, 31, v12
	s_wait_alu 0xfffe
	s_mov_b32 s37, s36
	s_wait_alu 0xfffe
	s_add_nc_u64 s[40:41], s[34:35], s[36:37]
	v_add_co_u32 v5, vcc_lo, v11, v3
	s_wait_alu 0xfffe
	s_xor_b64 s[40:41], s[40:41], s[36:37]
	s_wait_alu 0xfffd
	v_add_co_ci_u32_e64 v8, null, v12, v3, vcc_lo
	s_wait_alu 0xfffe
	s_cvt_f32_u32 s2, s40
	s_cvt_f32_u32 s18, s41
	s_sub_nc_u64 s[44:45], 0, s[40:41]
	v_xor_b32_e32 v5, v5, v3
	v_xor_b32_e32 v8, v8, v3
	s_wait_alu 0xfffe
	s_fmamk_f32 s2, s18, 0x4f800000, s2
	v_xor_b32_e32 v3, s36, v3
	s_wait_alu 0xfffe
	s_delay_alu instid0(SALU_CYCLE_1) | instskip(NEXT) | instid1(TRANS32_DEP_1)
	v_s_rcp_f32 s2, s2
	s_mul_f32 s2, s2, 0x5f7ffffc
	s_wait_alu 0xfffe
	s_delay_alu instid0(SALU_CYCLE_2) | instskip(SKIP_1) | instid1(SALU_CYCLE_2)
	s_mul_f32 s18, s2, 0x2f800000
	s_wait_alu 0xfffe
	s_trunc_f32 s18, s18
	s_wait_alu 0xfffe
	s_delay_alu instid0(SALU_CYCLE_2) | instskip(SKIP_2) | instid1(SALU_CYCLE_1)
	s_fmamk_f32 s2, s18, 0xcf800000, s2
	s_cvt_u32_f32 s43, s18
	s_wait_alu 0xfffe
	s_cvt_u32_f32 s42, s2
	s_wait_alu 0xfffe
	s_delay_alu instid0(SALU_CYCLE_2)
	s_mul_u64 s[46:47], s[44:45], s[42:43]
	s_wait_alu 0xfffe
	s_mul_hi_u32 s49, s42, s47
	s_mul_i32 s48, s42, s47
	s_mul_hi_u32 s18, s42, s46
	s_mul_i32 s31, s43, s46
	s_wait_alu 0xfffe
	s_add_nc_u64 s[48:49], s[18:19], s[48:49]
	s_mul_hi_u32 s2, s43, s46
	s_mul_hi_u32 s35, s43, s47
	s_wait_alu 0xfffe
	s_add_co_u32 s18, s48, s31
	s_add_co_ci_u32 s18, s49, s2
	s_mul_i32 s46, s43, s47
	s_add_co_ci_u32 s47, s35, 0
	s_wait_alu 0xfffe
	s_add_nc_u64 s[46:47], s[18:19], s[46:47]
	s_wait_alu 0xfffe
	s_add_co_u32 s42, s42, s46
	s_cselect_b32 s2, -1, 0
	s_wait_alu 0xfffe
	s_cmp_lg_u32 s2, 0
	s_add_co_ci_u32 s43, s43, s47
	s_wait_alu 0xfffe
	s_mul_u64 s[44:45], s[44:45], s[42:43]
	s_wait_alu 0xfffe
	s_mul_hi_u32 s47, s42, s45
	s_mul_i32 s46, s42, s45
	s_mul_hi_u32 s18, s42, s44
	s_mul_i32 s31, s43, s44
	s_wait_alu 0xfffe
	s_add_nc_u64 s[46:47], s[18:19], s[46:47]
	s_mul_hi_u32 s2, s43, s44
	s_mul_hi_u32 s35, s43, s45
	s_wait_alu 0xfffe
	s_add_co_u32 s18, s46, s31
	s_add_co_ci_u32 s18, s47, s2
	s_mul_i32 s44, s43, s45
	s_add_co_ci_u32 s45, s35, 0
	s_wait_alu 0xfffe
	s_add_nc_u64 s[44:45], s[18:19], s[44:45]
	s_wait_alu 0xfffe
	s_add_co_u32 s2, s42, s44
	s_cselect_b32 s18, -1, 0
	s_wait_alu 0xfffe
	v_mul_hi_u32 v10, v5, s2
	s_cmp_lg_u32 s18, 0
	v_mad_co_u64_u32 v[14:15], null, v8, s2, 0
	s_add_co_ci_u32 s18, s43, s45
	s_wait_alu 0xfffe
	v_mad_co_u64_u32 v[12:13], null, v5, s18, 0
	v_mad_co_u64_u32 v[16:17], null, v8, s18, 0
	s_delay_alu instid0(VALU_DEP_2) | instskip(SKIP_1) | instid1(VALU_DEP_3)
	v_add_co_u32 v10, vcc_lo, v10, v12
	s_wait_alu 0xfffd
	v_add_co_ci_u32_e64 v12, null, 0, v13, vcc_lo
	s_delay_alu instid0(VALU_DEP_2) | instskip(SKIP_1) | instid1(VALU_DEP_2)
	v_add_co_u32 v10, vcc_lo, v10, v14
	s_wait_alu 0xfffd
	v_add_co_ci_u32_e32 v10, vcc_lo, v12, v15, vcc_lo
	s_wait_alu 0xfffd
	v_add_co_ci_u32_e32 v12, vcc_lo, 0, v17, vcc_lo
	s_delay_alu instid0(VALU_DEP_2) | instskip(SKIP_1) | instid1(VALU_DEP_2)
	v_add_co_u32 v10, vcc_lo, v10, v16
	s_wait_alu 0xfffd
	v_add_co_ci_u32_e64 v14, null, 0, v12, vcc_lo
	s_delay_alu instid0(VALU_DEP_2) | instskip(SKIP_1) | instid1(VALU_DEP_3)
	v_mul_lo_u32 v15, s41, v10
	v_mad_co_u64_u32 v[12:13], null, s40, v10, 0
	v_mul_lo_u32 v16, s40, v14
	s_delay_alu instid0(VALU_DEP_2) | instskip(NEXT) | instid1(VALU_DEP_2)
	v_sub_co_u32 v5, vcc_lo, v5, v12
	v_add3_u32 v13, v13, v16, v15
	s_delay_alu instid0(VALU_DEP_1) | instskip(SKIP_2) | instid1(VALU_DEP_2)
	v_sub_nc_u32_e32 v15, v8, v13
	s_wait_alu 0xfffd
	v_sub_co_ci_u32_e64 v8, null, v8, v13, vcc_lo
	v_subrev_co_ci_u32_e64 v12, null, s41, v15, vcc_lo
	v_add_co_u32 v15, s2, v10, 2
	s_wait_alu 0xf1ff
	v_add_co_ci_u32_e64 v16, null, 0, v14, s2
	v_sub_co_u32 v17, s2, v5, s40
	s_wait_alu 0xf1ff
	v_subrev_co_ci_u32_e64 v12, null, 0, v12, s2
	s_delay_alu instid0(VALU_DEP_2) | instskip(SKIP_2) | instid1(VALU_DEP_3)
	v_cmp_le_u32_e32 vcc_lo, s40, v17
	s_wait_alu 0xfffd
	v_cndmask_b32_e64 v13, 0, -1, vcc_lo
	v_cmp_le_u32_e32 vcc_lo, s41, v12
	s_wait_alu 0xfffd
	v_cndmask_b32_e64 v17, 0, -1, vcc_lo
	;; [unrolled: 3-line block ×4, first 2 shown]
	v_cmp_eq_u32_e32 vcc_lo, s41, v12
	s_wait_alu 0xfffd
	v_cndmask_b32_e32 v12, v17, v13, vcc_lo
	v_add_co_u32 v13, vcc_lo, v10, 1
	s_wait_alu 0xfffd
	v_add_co_ci_u32_e64 v17, null, 0, v14, vcc_lo
	v_cmp_eq_u32_e32 vcc_lo, s41, v8
	s_wait_alu 0xfffd
	v_cndmask_b32_e32 v5, v18, v5, vcc_lo
	v_cmp_ne_u32_e32 vcc_lo, 0, v12
	s_wait_alu 0xfffd
	v_cndmask_b32_e32 v8, v17, v16, vcc_lo
	s_delay_alu instid0(VALU_DEP_3) | instskip(SKIP_2) | instid1(VALU_DEP_2)
	v_cmp_ne_u32_e64 s2, 0, v5
	v_cndmask_b32_e32 v5, v13, v15, vcc_lo
	s_wait_alu 0xf1ff
	v_cndmask_b32_e64 v8, v14, v8, s2
	s_delay_alu instid0(VALU_DEP_2) | instskip(NEXT) | instid1(VALU_DEP_2)
	v_cndmask_b32_e64 v5, v10, v5, s2
	v_xor_b32_e32 v8, v8, v3
	s_delay_alu instid0(VALU_DEP_2) | instskip(NEXT) | instid1(VALU_DEP_1)
	v_xor_b32_e32 v5, v5, v3
	v_sub_co_u32 v13, vcc_lo, v5, v3
	s_wait_alu 0xfffd
	s_delay_alu instid0(VALU_DEP_3)
	v_sub_co_ci_u32_e64 v14, null, v8, v3, vcc_lo
.LBB16_32:                              ;   in Loop: Header=BB16_22 Depth=2
	s_wait_alu 0xfffe
	s_and_not1_saveexec_b32 s2, s27
	s_cbranch_execz .LBB16_34
; %bb.33:                               ;   in Loop: Header=BB16_22 Depth=2
	v_cvt_f32_u32_e32 v3, s34
	s_sub_co_i32 s18, 0, s34
	v_mov_b32_e32 v14, v2
	s_delay_alu instid0(VALU_DEP_2) | instskip(NEXT) | instid1(TRANS32_DEP_1)
	v_rcp_iflag_f32_e32 v3, v3
	v_mul_f32_e32 v3, 0x4f7ffffe, v3
	s_delay_alu instid0(VALU_DEP_1) | instskip(SKIP_1) | instid1(VALU_DEP_1)
	v_cvt_u32_f32_e32 v3, v3
	s_wait_alu 0xfffe
	v_mul_lo_u32 v5, s18, v3
	s_delay_alu instid0(VALU_DEP_1) | instskip(NEXT) | instid1(VALU_DEP_1)
	v_mul_hi_u32 v5, v3, v5
	v_add_nc_u32_e32 v3, v3, v5
	s_delay_alu instid0(VALU_DEP_1) | instskip(NEXT) | instid1(VALU_DEP_1)
	v_mul_hi_u32 v3, v11, v3
	v_mul_lo_u32 v5, v3, s34
	s_delay_alu instid0(VALU_DEP_1) | instskip(NEXT) | instid1(VALU_DEP_1)
	v_sub_nc_u32_e32 v5, v11, v5
	v_subrev_nc_u32_e32 v10, s34, v5
	v_cmp_le_u32_e32 vcc_lo, s34, v5
	s_wait_alu 0xfffd
	s_delay_alu instid0(VALU_DEP_2) | instskip(NEXT) | instid1(VALU_DEP_1)
	v_dual_cndmask_b32 v5, v5, v10 :: v_dual_add_nc_u32 v8, 1, v3
	v_cndmask_b32_e32 v3, v3, v8, vcc_lo
	s_delay_alu instid0(VALU_DEP_2) | instskip(NEXT) | instid1(VALU_DEP_2)
	v_cmp_le_u32_e32 vcc_lo, s34, v5
	v_add_nc_u32_e32 v8, 1, v3
	s_wait_alu 0xfffd
	s_delay_alu instid0(VALU_DEP_1)
	v_cndmask_b32_e32 v13, v3, v8, vcc_lo
.LBB16_34:                              ;   in Loop: Header=BB16_22 Depth=2
	s_wait_alu 0xfffe
	s_or_b32 exec_lo, exec_lo, s2
	s_add_co_i32 s18, s26, 4
	s_add_nc_u64 s[38:39], s[0:1], s[38:39]
	s_wait_alu 0xfffe
	s_lshl_b64 s[40:41], s[18:19], 2
                                        ; implicit-def: $vgpr15_vgpr16
	s_mov_b32 s2, exec_lo
	s_wait_alu 0xfffe
	s_add_nc_u64 s[36:37], s[10:11], s[40:41]
	s_clause 0x1
	s_load_b32 s31, s[38:39], 0x6c
	s_load_b32 s36, s[36:37], 0x8
	s_wait_kmcnt 0x0
	s_ashr_i32 s37, s36, 31
	s_wait_alu 0xfffe
	v_or_b32_e32 v3, s37, v14
	s_delay_alu instid0(VALU_DEP_1)
	v_cmpx_ne_u64_e32 0, v[2:3]
	s_xor_b32 s27, exec_lo, s2
	s_cbranch_execz .LBB16_36
; %bb.35:                               ;   in Loop: Header=BB16_22 Depth=2
	s_ashr_i32 s38, s37, 31
	v_ashrrev_i32_e32 v3, 31, v14
	s_wait_alu 0xfffe
	s_mov_b32 s39, s38
	s_wait_alu 0xfffe
	s_add_nc_u64 s[42:43], s[36:37], s[38:39]
	v_add_co_u32 v5, vcc_lo, v13, v3
	s_wait_alu 0xfffe
	s_xor_b64 s[42:43], s[42:43], s[38:39]
	s_wait_alu 0xfffd
	v_add_co_ci_u32_e64 v8, null, v14, v3, vcc_lo
	s_wait_alu 0xfffe
	s_cvt_f32_u32 s2, s42
	s_cvt_f32_u32 s18, s43
	s_sub_nc_u64 s[46:47], 0, s[42:43]
	v_xor_b32_e32 v5, v5, v3
	v_xor_b32_e32 v8, v8, v3
	s_wait_alu 0xfffe
	s_fmamk_f32 s2, s18, 0x4f800000, s2
	v_xor_b32_e32 v3, s38, v3
	s_wait_alu 0xfffe
	s_delay_alu instid0(SALU_CYCLE_1) | instskip(NEXT) | instid1(TRANS32_DEP_1)
	v_s_rcp_f32 s2, s2
	s_mul_f32 s2, s2, 0x5f7ffffc
	s_wait_alu 0xfffe
	s_delay_alu instid0(SALU_CYCLE_2) | instskip(SKIP_1) | instid1(SALU_CYCLE_2)
	s_mul_f32 s18, s2, 0x2f800000
	s_wait_alu 0xfffe
	s_trunc_f32 s18, s18
	s_wait_alu 0xfffe
	s_delay_alu instid0(SALU_CYCLE_2) | instskip(SKIP_2) | instid1(SALU_CYCLE_1)
	s_fmamk_f32 s2, s18, 0xcf800000, s2
	s_cvt_u32_f32 s45, s18
	s_wait_alu 0xfffe
	s_cvt_u32_f32 s44, s2
	s_wait_alu 0xfffe
	s_delay_alu instid0(SALU_CYCLE_2)
	s_mul_u64 s[48:49], s[46:47], s[44:45]
	s_wait_alu 0xfffe
	s_mul_hi_u32 s51, s44, s49
	s_mul_i32 s50, s44, s49
	s_mul_hi_u32 s18, s44, s48
	s_mul_i32 s35, s45, s48
	s_wait_alu 0xfffe
	s_add_nc_u64 s[50:51], s[18:19], s[50:51]
	s_mul_hi_u32 s2, s45, s48
	s_mul_hi_u32 s37, s45, s49
	s_wait_alu 0xfffe
	s_add_co_u32 s18, s50, s35
	s_add_co_ci_u32 s18, s51, s2
	s_mul_i32 s48, s45, s49
	s_add_co_ci_u32 s49, s37, 0
	s_wait_alu 0xfffe
	s_add_nc_u64 s[48:49], s[18:19], s[48:49]
	s_wait_alu 0xfffe
	s_add_co_u32 s44, s44, s48
	s_cselect_b32 s2, -1, 0
	s_wait_alu 0xfffe
	s_cmp_lg_u32 s2, 0
	s_add_co_ci_u32 s45, s45, s49
	s_wait_alu 0xfffe
	s_mul_u64 s[46:47], s[46:47], s[44:45]
	s_wait_alu 0xfffe
	s_mul_hi_u32 s49, s44, s47
	s_mul_i32 s48, s44, s47
	s_mul_hi_u32 s18, s44, s46
	s_mul_i32 s35, s45, s46
	s_wait_alu 0xfffe
	s_add_nc_u64 s[48:49], s[18:19], s[48:49]
	s_mul_hi_u32 s2, s45, s46
	s_mul_hi_u32 s37, s45, s47
	s_wait_alu 0xfffe
	s_add_co_u32 s18, s48, s35
	s_add_co_ci_u32 s18, s49, s2
	s_mul_i32 s46, s45, s47
	s_add_co_ci_u32 s47, s37, 0
	s_wait_alu 0xfffe
	s_add_nc_u64 s[46:47], s[18:19], s[46:47]
	s_wait_alu 0xfffe
	s_add_co_u32 s2, s44, s46
	s_cselect_b32 s18, -1, 0
	s_wait_alu 0xfffe
	v_mul_hi_u32 v10, v5, s2
	s_cmp_lg_u32 s18, 0
	v_mad_co_u64_u32 v[16:17], null, v8, s2, 0
	s_add_co_ci_u32 s18, s45, s47
	s_wait_alu 0xfffe
	v_mad_co_u64_u32 v[14:15], null, v5, s18, 0
	v_mad_co_u64_u32 v[18:19], null, v8, s18, 0
	s_delay_alu instid0(VALU_DEP_2) | instskip(SKIP_1) | instid1(VALU_DEP_3)
	v_add_co_u32 v10, vcc_lo, v10, v14
	s_wait_alu 0xfffd
	v_add_co_ci_u32_e64 v12, null, 0, v15, vcc_lo
	s_delay_alu instid0(VALU_DEP_2) | instskip(SKIP_1) | instid1(VALU_DEP_2)
	v_add_co_u32 v10, vcc_lo, v10, v16
	s_wait_alu 0xfffd
	v_add_co_ci_u32_e32 v10, vcc_lo, v12, v17, vcc_lo
	s_wait_alu 0xfffd
	v_add_co_ci_u32_e32 v12, vcc_lo, 0, v19, vcc_lo
	s_delay_alu instid0(VALU_DEP_2) | instskip(SKIP_1) | instid1(VALU_DEP_2)
	v_add_co_u32 v10, vcc_lo, v10, v18
	s_wait_alu 0xfffd
	v_add_co_ci_u32_e64 v12, null, 0, v12, vcc_lo
	s_delay_alu instid0(VALU_DEP_2) | instskip(SKIP_1) | instid1(VALU_DEP_3)
	v_mul_lo_u32 v16, s43, v10
	v_mad_co_u64_u32 v[14:15], null, s42, v10, 0
	v_mul_lo_u32 v17, s42, v12
	s_delay_alu instid0(VALU_DEP_2) | instskip(NEXT) | instid1(VALU_DEP_2)
	v_sub_co_u32 v5, vcc_lo, v5, v14
	v_add3_u32 v15, v15, v17, v16
	s_delay_alu instid0(VALU_DEP_1) | instskip(SKIP_2) | instid1(VALU_DEP_2)
	v_sub_nc_u32_e32 v16, v8, v15
	s_wait_alu 0xfffd
	v_sub_co_ci_u32_e64 v8, null, v8, v15, vcc_lo
	v_subrev_co_ci_u32_e64 v14, null, s43, v16, vcc_lo
	v_add_co_u32 v16, s2, v10, 2
	s_wait_alu 0xf1ff
	v_add_co_ci_u32_e64 v17, null, 0, v12, s2
	v_sub_co_u32 v18, s2, v5, s42
	s_wait_alu 0xf1ff
	v_subrev_co_ci_u32_e64 v14, null, 0, v14, s2
	s_delay_alu instid0(VALU_DEP_2) | instskip(SKIP_2) | instid1(VALU_DEP_3)
	v_cmp_le_u32_e32 vcc_lo, s42, v18
	s_wait_alu 0xfffd
	v_cndmask_b32_e64 v15, 0, -1, vcc_lo
	v_cmp_le_u32_e32 vcc_lo, s43, v14
	s_wait_alu 0xfffd
	v_cndmask_b32_e64 v18, 0, -1, vcc_lo
	;; [unrolled: 3-line block ×4, first 2 shown]
	v_cmp_eq_u32_e32 vcc_lo, s43, v14
	s_wait_alu 0xfffd
	v_cndmask_b32_e32 v14, v18, v15, vcc_lo
	v_add_co_u32 v15, vcc_lo, v10, 1
	s_wait_alu 0xfffd
	v_add_co_ci_u32_e64 v18, null, 0, v12, vcc_lo
	v_cmp_eq_u32_e32 vcc_lo, s43, v8
	s_wait_alu 0xfffd
	v_cndmask_b32_e32 v5, v19, v5, vcc_lo
	v_cmp_ne_u32_e32 vcc_lo, 0, v14
	s_delay_alu instid0(VALU_DEP_2) | instskip(SKIP_3) | instid1(VALU_DEP_1)
	v_cmp_ne_u32_e64 s2, 0, v5
	s_wait_alu 0xfffd
	v_dual_cndmask_b32 v8, v18, v17 :: v_dual_cndmask_b32 v5, v15, v16
	s_wait_alu 0xf1ff
	v_cndmask_b32_e64 v8, v12, v8, s2
	s_delay_alu instid0(VALU_DEP_2) | instskip(NEXT) | instid1(VALU_DEP_2)
	v_cndmask_b32_e64 v5, v10, v5, s2
	v_xor_b32_e32 v8, v8, v3
	s_delay_alu instid0(VALU_DEP_2) | instskip(NEXT) | instid1(VALU_DEP_1)
	v_xor_b32_e32 v5, v5, v3
	v_sub_co_u32 v15, vcc_lo, v5, v3
	s_wait_alu 0xfffd
	s_delay_alu instid0(VALU_DEP_3)
	v_sub_co_ci_u32_e64 v16, null, v8, v3, vcc_lo
.LBB16_36:                              ;   in Loop: Header=BB16_22 Depth=2
	s_wait_alu 0xfffe
	s_and_not1_saveexec_b32 s2, s27
	s_cbranch_execz .LBB16_38
; %bb.37:                               ;   in Loop: Header=BB16_22 Depth=2
	v_cvt_f32_u32_e32 v3, s36
	s_sub_co_i32 s18, 0, s36
	v_mov_b32_e32 v16, v2
	s_delay_alu instid0(VALU_DEP_2) | instskip(NEXT) | instid1(TRANS32_DEP_1)
	v_rcp_iflag_f32_e32 v3, v3
	v_mul_f32_e32 v3, 0x4f7ffffe, v3
	s_delay_alu instid0(VALU_DEP_1) | instskip(SKIP_1) | instid1(VALU_DEP_1)
	v_cvt_u32_f32_e32 v3, v3
	s_wait_alu 0xfffe
	v_mul_lo_u32 v5, s18, v3
	s_delay_alu instid0(VALU_DEP_1) | instskip(NEXT) | instid1(VALU_DEP_1)
	v_mul_hi_u32 v5, v3, v5
	v_add_nc_u32_e32 v3, v3, v5
	s_delay_alu instid0(VALU_DEP_1) | instskip(NEXT) | instid1(VALU_DEP_1)
	v_mul_hi_u32 v3, v13, v3
	v_mul_lo_u32 v5, v3, s36
	s_delay_alu instid0(VALU_DEP_1) | instskip(NEXT) | instid1(VALU_DEP_1)
	v_sub_nc_u32_e32 v5, v13, v5
	v_subrev_nc_u32_e32 v10, s36, v5
	v_cmp_le_u32_e32 vcc_lo, s36, v5
	s_wait_alu 0xfffd
	s_delay_alu instid0(VALU_DEP_2) | instskip(NEXT) | instid1(VALU_DEP_1)
	v_dual_cndmask_b32 v5, v5, v10 :: v_dual_add_nc_u32 v8, 1, v3
	v_cndmask_b32_e32 v3, v3, v8, vcc_lo
	s_delay_alu instid0(VALU_DEP_2) | instskip(NEXT) | instid1(VALU_DEP_2)
	v_cmp_le_u32_e32 vcc_lo, s36, v5
	v_add_nc_u32_e32 v8, 1, v3
	s_wait_alu 0xfffd
	s_delay_alu instid0(VALU_DEP_1)
	v_cndmask_b32_e32 v15, v3, v8, vcc_lo
.LBB16_38:                              ;   in Loop: Header=BB16_22 Depth=2
	s_wait_alu 0xfffe
	s_or_b32 exec_lo, exec_lo, s2
	s_add_co_i32 s18, s26, 3
	s_add_nc_u64 s[40:41], s[0:1], s[40:41]
	s_wait_alu 0xfffe
	s_lshl_b64 s[42:43], s[18:19], 2
                                        ; implicit-def: $vgpr17_vgpr18
	s_mov_b32 s2, exec_lo
	s_wait_alu 0xfffe
	s_add_nc_u64 s[38:39], s[10:11], s[42:43]
	s_clause 0x1
	s_load_b32 s35, s[40:41], 0x6c
	s_load_b32 s38, s[38:39], 0x8
	s_wait_kmcnt 0x0
	s_ashr_i32 s39, s38, 31
	s_wait_alu 0xfffe
	v_or_b32_e32 v3, s39, v16
	s_delay_alu instid0(VALU_DEP_1)
	v_cmpx_ne_u64_e32 0, v[2:3]
	s_xor_b32 s27, exec_lo, s2
	s_cbranch_execz .LBB16_40
; %bb.39:                               ;   in Loop: Header=BB16_22 Depth=2
	s_ashr_i32 s40, s39, 31
	v_ashrrev_i32_e32 v3, 31, v16
	s_wait_alu 0xfffe
	s_mov_b32 s41, s40
	s_wait_alu 0xfffe
	s_add_nc_u64 s[44:45], s[38:39], s[40:41]
	v_add_co_u32 v5, vcc_lo, v15, v3
	s_wait_alu 0xfffe
	s_xor_b64 s[44:45], s[44:45], s[40:41]
	s_wait_alu 0xfffd
	v_add_co_ci_u32_e64 v8, null, v16, v3, vcc_lo
	s_wait_alu 0xfffe
	s_cvt_f32_u32 s2, s44
	s_cvt_f32_u32 s18, s45
	s_sub_nc_u64 s[48:49], 0, s[44:45]
	v_xor_b32_e32 v5, v5, v3
	v_xor_b32_e32 v8, v8, v3
	s_wait_alu 0xfffe
	s_fmamk_f32 s2, s18, 0x4f800000, s2
	v_xor_b32_e32 v3, s40, v3
	s_wait_alu 0xfffe
	s_delay_alu instid0(SALU_CYCLE_1) | instskip(NEXT) | instid1(TRANS32_DEP_1)
	v_s_rcp_f32 s2, s2
	s_mul_f32 s2, s2, 0x5f7ffffc
	s_wait_alu 0xfffe
	s_delay_alu instid0(SALU_CYCLE_2) | instskip(SKIP_1) | instid1(SALU_CYCLE_2)
	s_mul_f32 s18, s2, 0x2f800000
	s_wait_alu 0xfffe
	s_trunc_f32 s18, s18
	s_wait_alu 0xfffe
	s_delay_alu instid0(SALU_CYCLE_2) | instskip(SKIP_2) | instid1(SALU_CYCLE_1)
	s_fmamk_f32 s2, s18, 0xcf800000, s2
	s_cvt_u32_f32 s47, s18
	s_wait_alu 0xfffe
	s_cvt_u32_f32 s46, s2
	s_wait_alu 0xfffe
	s_delay_alu instid0(SALU_CYCLE_2)
	s_mul_u64 s[50:51], s[48:49], s[46:47]
	s_wait_alu 0xfffe
	s_mul_hi_u32 s59, s46, s51
	s_mul_i32 s58, s46, s51
	s_mul_hi_u32 s18, s46, s50
	s_mul_i32 s37, s47, s50
	s_wait_alu 0xfffe
	s_add_nc_u64 s[58:59], s[18:19], s[58:59]
	s_mul_hi_u32 s2, s47, s50
	s_mul_hi_u32 s39, s47, s51
	s_add_co_u32 s18, s58, s37
	s_wait_alu 0xfffe
	s_add_co_ci_u32 s18, s59, s2
	s_mul_i32 s50, s47, s51
	s_add_co_ci_u32 s51, s39, 0
	s_wait_alu 0xfffe
	s_add_nc_u64 s[50:51], s[18:19], s[50:51]
	s_wait_alu 0xfffe
	s_add_co_u32 s46, s46, s50
	s_cselect_b32 s2, -1, 0
	s_wait_alu 0xfffe
	s_cmp_lg_u32 s2, 0
	s_add_co_ci_u32 s47, s47, s51
	s_wait_alu 0xfffe
	s_mul_u64 s[48:49], s[48:49], s[46:47]
	s_wait_alu 0xfffe
	s_mul_hi_u32 s51, s46, s49
	s_mul_i32 s50, s46, s49
	s_mul_hi_u32 s18, s46, s48
	s_mul_i32 s37, s47, s48
	s_wait_alu 0xfffe
	s_add_nc_u64 s[50:51], s[18:19], s[50:51]
	s_mul_hi_u32 s2, s47, s48
	s_mul_hi_u32 s39, s47, s49
	s_wait_alu 0xfffe
	s_add_co_u32 s18, s50, s37
	s_add_co_ci_u32 s18, s51, s2
	s_mul_i32 s48, s47, s49
	s_add_co_ci_u32 s49, s39, 0
	s_wait_alu 0xfffe
	s_add_nc_u64 s[48:49], s[18:19], s[48:49]
	s_wait_alu 0xfffe
	s_add_co_u32 s2, s46, s48
	s_cselect_b32 s18, -1, 0
	s_wait_alu 0xfffe
	v_mul_hi_u32 v10, v5, s2
	s_cmp_lg_u32 s18, 0
	v_mad_co_u64_u32 v[18:19], null, v8, s2, 0
	s_add_co_ci_u32 s18, s47, s49
	s_wait_alu 0xfffe
	v_mad_co_u64_u32 v[16:17], null, v5, s18, 0
	v_mad_co_u64_u32 v[20:21], null, v8, s18, 0
	s_delay_alu instid0(VALU_DEP_2) | instskip(SKIP_1) | instid1(VALU_DEP_3)
	v_add_co_u32 v10, vcc_lo, v10, v16
	s_wait_alu 0xfffd
	v_add_co_ci_u32_e64 v12, null, 0, v17, vcc_lo
	s_delay_alu instid0(VALU_DEP_2) | instskip(SKIP_1) | instid1(VALU_DEP_2)
	v_add_co_u32 v10, vcc_lo, v10, v18
	s_wait_alu 0xfffd
	v_add_co_ci_u32_e32 v10, vcc_lo, v12, v19, vcc_lo
	s_wait_alu 0xfffd
	v_add_co_ci_u32_e32 v12, vcc_lo, 0, v21, vcc_lo
	s_delay_alu instid0(VALU_DEP_2) | instskip(SKIP_1) | instid1(VALU_DEP_2)
	v_add_co_u32 v10, vcc_lo, v10, v20
	s_wait_alu 0xfffd
	v_add_co_ci_u32_e64 v12, null, 0, v12, vcc_lo
	s_delay_alu instid0(VALU_DEP_2) | instskip(SKIP_1) | instid1(VALU_DEP_3)
	v_mul_lo_u32 v14, s45, v10
	v_mad_co_u64_u32 v[16:17], null, s44, v10, 0
	v_mul_lo_u32 v18, s44, v12
	s_delay_alu instid0(VALU_DEP_2) | instskip(NEXT) | instid1(VALU_DEP_2)
	v_sub_co_u32 v5, vcc_lo, v5, v16
	v_add3_u32 v14, v17, v18, v14
	s_delay_alu instid0(VALU_DEP_1) | instskip(SKIP_2) | instid1(VALU_DEP_2)
	v_sub_nc_u32_e32 v17, v8, v14
	s_wait_alu 0xfffd
	v_sub_co_ci_u32_e64 v8, null, v8, v14, vcc_lo
	v_subrev_co_ci_u32_e64 v16, null, s45, v17, vcc_lo
	v_add_co_u32 v17, s2, v10, 2
	s_wait_alu 0xf1ff
	v_add_co_ci_u32_e64 v18, null, 0, v12, s2
	v_sub_co_u32 v19, s2, v5, s44
	s_wait_alu 0xf1ff
	v_subrev_co_ci_u32_e64 v16, null, 0, v16, s2
	s_delay_alu instid0(VALU_DEP_2) | instskip(SKIP_2) | instid1(VALU_DEP_3)
	v_cmp_le_u32_e32 vcc_lo, s44, v19
	s_wait_alu 0xfffd
	v_cndmask_b32_e64 v14, 0, -1, vcc_lo
	v_cmp_le_u32_e32 vcc_lo, s45, v16
	s_wait_alu 0xfffd
	v_cndmask_b32_e64 v19, 0, -1, vcc_lo
	;; [unrolled: 3-line block ×4, first 2 shown]
	v_cmp_eq_u32_e32 vcc_lo, s45, v16
	s_wait_alu 0xfffd
	v_cndmask_b32_e32 v14, v19, v14, vcc_lo
	v_add_co_u32 v16, vcc_lo, v10, 1
	s_wait_alu 0xfffd
	v_add_co_ci_u32_e64 v19, null, 0, v12, vcc_lo
	v_cmp_eq_u32_e32 vcc_lo, s45, v8
	s_wait_alu 0xfffd
	v_cndmask_b32_e32 v5, v20, v5, vcc_lo
	v_cmp_ne_u32_e32 vcc_lo, 0, v14
	s_delay_alu instid0(VALU_DEP_2) | instskip(SKIP_3) | instid1(VALU_DEP_1)
	v_cmp_ne_u32_e64 s2, 0, v5
	s_wait_alu 0xfffd
	v_dual_cndmask_b32 v8, v19, v18 :: v_dual_cndmask_b32 v5, v16, v17
	s_wait_alu 0xf1ff
	v_cndmask_b32_e64 v8, v12, v8, s2
	s_delay_alu instid0(VALU_DEP_2) | instskip(NEXT) | instid1(VALU_DEP_2)
	v_cndmask_b32_e64 v5, v10, v5, s2
	v_xor_b32_e32 v8, v8, v3
	s_delay_alu instid0(VALU_DEP_2) | instskip(NEXT) | instid1(VALU_DEP_1)
	v_xor_b32_e32 v5, v5, v3
	v_sub_co_u32 v17, vcc_lo, v5, v3
	s_wait_alu 0xfffd
	s_delay_alu instid0(VALU_DEP_3)
	v_sub_co_ci_u32_e64 v18, null, v8, v3, vcc_lo
.LBB16_40:                              ;   in Loop: Header=BB16_22 Depth=2
	s_wait_alu 0xfffe
	s_and_not1_saveexec_b32 s2, s27
	s_cbranch_execz .LBB16_42
; %bb.41:                               ;   in Loop: Header=BB16_22 Depth=2
	v_cvt_f32_u32_e32 v3, s38
	s_sub_co_i32 s18, 0, s38
	v_mov_b32_e32 v18, v2
	s_delay_alu instid0(VALU_DEP_2) | instskip(NEXT) | instid1(TRANS32_DEP_1)
	v_rcp_iflag_f32_e32 v3, v3
	v_mul_f32_e32 v3, 0x4f7ffffe, v3
	s_delay_alu instid0(VALU_DEP_1) | instskip(SKIP_1) | instid1(VALU_DEP_1)
	v_cvt_u32_f32_e32 v3, v3
	s_wait_alu 0xfffe
	v_mul_lo_u32 v5, s18, v3
	s_delay_alu instid0(VALU_DEP_1) | instskip(NEXT) | instid1(VALU_DEP_1)
	v_mul_hi_u32 v5, v3, v5
	v_add_nc_u32_e32 v3, v3, v5
	s_delay_alu instid0(VALU_DEP_1) | instskip(NEXT) | instid1(VALU_DEP_1)
	v_mul_hi_u32 v3, v15, v3
	v_mul_lo_u32 v5, v3, s38
	s_delay_alu instid0(VALU_DEP_1) | instskip(NEXT) | instid1(VALU_DEP_1)
	v_sub_nc_u32_e32 v5, v15, v5
	v_subrev_nc_u32_e32 v10, s38, v5
	v_cmp_le_u32_e32 vcc_lo, s38, v5
	s_wait_alu 0xfffd
	s_delay_alu instid0(VALU_DEP_2) | instskip(NEXT) | instid1(VALU_DEP_1)
	v_dual_cndmask_b32 v5, v5, v10 :: v_dual_add_nc_u32 v8, 1, v3
	v_cndmask_b32_e32 v3, v3, v8, vcc_lo
	s_delay_alu instid0(VALU_DEP_2) | instskip(NEXT) | instid1(VALU_DEP_2)
	v_cmp_le_u32_e32 vcc_lo, s38, v5
	v_add_nc_u32_e32 v8, 1, v3
	s_wait_alu 0xfffd
	s_delay_alu instid0(VALU_DEP_1)
	v_cndmask_b32_e32 v17, v3, v8, vcc_lo
.LBB16_42:                              ;   in Loop: Header=BB16_22 Depth=2
	s_wait_alu 0xfffe
	s_or_b32 exec_lo, exec_lo, s2
	s_add_co_i32 s18, s26, 2
	s_add_nc_u64 s[42:43], s[0:1], s[42:43]
	s_wait_alu 0xfffe
	s_lshl_b64 s[44:45], s[18:19], 2
                                        ; implicit-def: $vgpr19_vgpr20
	s_mov_b32 s2, exec_lo
	s_wait_alu 0xfffe
	s_add_nc_u64 s[40:41], s[10:11], s[44:45]
	s_clause 0x1
	s_load_b32 s37, s[42:43], 0x6c
	s_load_b32 s40, s[40:41], 0x8
	s_wait_kmcnt 0x0
	s_ashr_i32 s41, s40, 31
	s_wait_alu 0xfffe
	v_or_b32_e32 v3, s41, v18
	s_delay_alu instid0(VALU_DEP_1)
	v_cmpx_ne_u64_e32 0, v[2:3]
	s_xor_b32 s27, exec_lo, s2
	s_cbranch_execz .LBB16_44
; %bb.43:                               ;   in Loop: Header=BB16_22 Depth=2
	s_ashr_i32 s42, s41, 31
	v_ashrrev_i32_e32 v3, 31, v18
	s_wait_alu 0xfffe
	s_mov_b32 s43, s42
	s_wait_alu 0xfffe
	s_add_nc_u64 s[46:47], s[40:41], s[42:43]
	v_add_co_u32 v5, vcc_lo, v17, v3
	s_wait_alu 0xfffe
	s_xor_b64 s[46:47], s[46:47], s[42:43]
	s_wait_alu 0xfffd
	v_add_co_ci_u32_e64 v8, null, v18, v3, vcc_lo
	s_wait_alu 0xfffe
	s_cvt_f32_u32 s2, s46
	s_cvt_f32_u32 s18, s47
	s_sub_nc_u64 s[50:51], 0, s[46:47]
	v_xor_b32_e32 v5, v5, v3
	v_xor_b32_e32 v8, v8, v3
	s_wait_alu 0xfffe
	s_fmamk_f32 s2, s18, 0x4f800000, s2
	v_xor_b32_e32 v3, s42, v3
	s_wait_alu 0xfffe
	s_delay_alu instid0(SALU_CYCLE_1) | instskip(NEXT) | instid1(TRANS32_DEP_1)
	v_s_rcp_f32 s2, s2
	s_mul_f32 s2, s2, 0x5f7ffffc
	s_wait_alu 0xfffe
	s_delay_alu instid0(SALU_CYCLE_2) | instskip(SKIP_1) | instid1(SALU_CYCLE_2)
	s_mul_f32 s18, s2, 0x2f800000
	s_wait_alu 0xfffe
	s_trunc_f32 s18, s18
	s_wait_alu 0xfffe
	s_delay_alu instid0(SALU_CYCLE_2) | instskip(SKIP_2) | instid1(SALU_CYCLE_1)
	s_fmamk_f32 s2, s18, 0xcf800000, s2
	s_cvt_u32_f32 s49, s18
	s_wait_alu 0xfffe
	s_cvt_u32_f32 s48, s2
	s_wait_alu 0xfffe
	s_delay_alu instid0(SALU_CYCLE_2) | instskip(NEXT) | instid1(SALU_CYCLE_1)
	s_mul_u64 s[58:59], s[50:51], s[48:49]
	s_mul_hi_u32 s61, s48, s59
	s_mul_i32 s60, s48, s59
	s_mul_hi_u32 s18, s48, s58
	s_mul_i32 s39, s49, s58
	s_wait_alu 0xfffe
	s_add_nc_u64 s[60:61], s[18:19], s[60:61]
	s_mul_hi_u32 s2, s49, s58
	s_mul_hi_u32 s41, s49, s59
	s_add_co_u32 s18, s60, s39
	s_wait_alu 0xfffe
	s_add_co_ci_u32 s18, s61, s2
	s_mul_i32 s58, s49, s59
	s_add_co_ci_u32 s59, s41, 0
	s_wait_alu 0xfffe
	s_add_nc_u64 s[58:59], s[18:19], s[58:59]
	s_delay_alu instid0(SALU_CYCLE_1)
	s_add_co_u32 s48, s48, s58
	s_cselect_b32 s2, -1, 0
	s_wait_alu 0xfffe
	s_cmp_lg_u32 s2, 0
	s_add_co_ci_u32 s49, s49, s59
	s_wait_alu 0xfffe
	s_mul_u64 s[50:51], s[50:51], s[48:49]
	s_wait_alu 0xfffe
	s_mul_hi_u32 s59, s48, s51
	s_mul_i32 s58, s48, s51
	s_mul_hi_u32 s18, s48, s50
	s_mul_i32 s39, s49, s50
	s_wait_alu 0xfffe
	s_add_nc_u64 s[58:59], s[18:19], s[58:59]
	s_mul_hi_u32 s2, s49, s50
	s_mul_hi_u32 s41, s49, s51
	s_add_co_u32 s18, s58, s39
	s_wait_alu 0xfffe
	s_add_co_ci_u32 s18, s59, s2
	s_mul_i32 s50, s49, s51
	s_add_co_ci_u32 s51, s41, 0
	s_wait_alu 0xfffe
	s_add_nc_u64 s[50:51], s[18:19], s[50:51]
	s_wait_alu 0xfffe
	s_add_co_u32 s2, s48, s50
	s_cselect_b32 s18, -1, 0
	s_wait_alu 0xfffe
	v_mul_hi_u32 v10, v5, s2
	s_cmp_lg_u32 s18, 0
	v_mad_co_u64_u32 v[20:21], null, v8, s2, 0
	s_add_co_ci_u32 s18, s49, s51
	s_wait_alu 0xfffe
	v_mad_co_u64_u32 v[18:19], null, v5, s18, 0
	v_mad_co_u64_u32 v[22:23], null, v8, s18, 0
	s_delay_alu instid0(VALU_DEP_2) | instskip(SKIP_1) | instid1(VALU_DEP_3)
	v_add_co_u32 v10, vcc_lo, v10, v18
	s_wait_alu 0xfffd
	v_add_co_ci_u32_e64 v12, null, 0, v19, vcc_lo
	s_delay_alu instid0(VALU_DEP_2) | instskip(SKIP_1) | instid1(VALU_DEP_2)
	v_add_co_u32 v10, vcc_lo, v10, v20
	s_wait_alu 0xfffd
	v_add_co_ci_u32_e32 v10, vcc_lo, v12, v21, vcc_lo
	s_wait_alu 0xfffd
	v_add_co_ci_u32_e32 v12, vcc_lo, 0, v23, vcc_lo
	s_delay_alu instid0(VALU_DEP_2) | instskip(SKIP_1) | instid1(VALU_DEP_2)
	v_add_co_u32 v10, vcc_lo, v10, v22
	s_wait_alu 0xfffd
	v_add_co_ci_u32_e64 v12, null, 0, v12, vcc_lo
	s_delay_alu instid0(VALU_DEP_2) | instskip(SKIP_1) | instid1(VALU_DEP_3)
	v_mul_lo_u32 v14, s47, v10
	v_mad_co_u64_u32 v[18:19], null, s46, v10, 0
	v_mul_lo_u32 v16, s46, v12
	s_delay_alu instid0(VALU_DEP_2) | instskip(NEXT) | instid1(VALU_DEP_2)
	v_sub_co_u32 v5, vcc_lo, v5, v18
	v_add3_u32 v14, v19, v16, v14
	v_add_co_u32 v18, s2, v10, 2
	s_wait_alu 0xf1ff
	v_add_co_ci_u32_e64 v19, null, 0, v12, s2
	s_delay_alu instid0(VALU_DEP_3) | instskip(SKIP_3) | instid1(VALU_DEP_3)
	v_sub_nc_u32_e32 v16, v8, v14
	v_sub_co_u32 v20, s2, v5, s46
	s_wait_alu 0xfffd
	v_sub_co_ci_u32_e64 v8, null, v8, v14, vcc_lo
	v_subrev_co_ci_u32_e64 v16, null, s47, v16, vcc_lo
	s_delay_alu instid0(VALU_DEP_3) | instskip(SKIP_1) | instid1(VALU_DEP_2)
	v_cmp_le_u32_e32 vcc_lo, s46, v20
	s_wait_alu 0xf1ff
	v_subrev_co_ci_u32_e64 v16, null, 0, v16, s2
	s_wait_alu 0xfffd
	v_cndmask_b32_e64 v14, 0, -1, vcc_lo
	s_delay_alu instid0(VALU_DEP_2)
	v_cmp_le_u32_e32 vcc_lo, s47, v16
	s_wait_alu 0xfffd
	v_cndmask_b32_e64 v20, 0, -1, vcc_lo
	v_cmp_le_u32_e32 vcc_lo, s46, v5
	s_wait_alu 0xfffd
	v_cndmask_b32_e64 v5, 0, -1, vcc_lo
	;; [unrolled: 3-line block ×3, first 2 shown]
	v_cmp_eq_u32_e32 vcc_lo, s47, v16
	s_wait_alu 0xfffd
	v_cndmask_b32_e32 v14, v20, v14, vcc_lo
	v_add_co_u32 v16, vcc_lo, v10, 1
	s_wait_alu 0xfffd
	v_add_co_ci_u32_e64 v20, null, 0, v12, vcc_lo
	v_cmp_eq_u32_e32 vcc_lo, s47, v8
	s_wait_alu 0xfffd
	v_cndmask_b32_e32 v5, v21, v5, vcc_lo
	v_cmp_ne_u32_e32 vcc_lo, 0, v14
	s_delay_alu instid0(VALU_DEP_2) | instskip(SKIP_4) | instid1(VALU_DEP_2)
	v_cmp_ne_u32_e64 s2, 0, v5
	s_wait_alu 0xfffd
	v_cndmask_b32_e32 v5, v16, v18, vcc_lo
	v_cndmask_b32_e32 v8, v20, v19, vcc_lo
	s_wait_alu 0xf1ff
	v_cndmask_b32_e64 v5, v10, v5, s2
	s_delay_alu instid0(VALU_DEP_2) | instskip(NEXT) | instid1(VALU_DEP_2)
	v_cndmask_b32_e64 v8, v12, v8, s2
	v_xor_b32_e32 v5, v5, v3
	s_delay_alu instid0(VALU_DEP_2) | instskip(NEXT) | instid1(VALU_DEP_2)
	v_xor_b32_e32 v8, v8, v3
	v_sub_co_u32 v19, vcc_lo, v5, v3
	s_wait_alu 0xfffd
	s_delay_alu instid0(VALU_DEP_2)
	v_sub_co_ci_u32_e64 v20, null, v8, v3, vcc_lo
.LBB16_44:                              ;   in Loop: Header=BB16_22 Depth=2
	s_wait_alu 0xfffe
	s_and_not1_saveexec_b32 s2, s27
	s_cbranch_execz .LBB16_46
; %bb.45:                               ;   in Loop: Header=BB16_22 Depth=2
	v_cvt_f32_u32_e32 v3, s40
	s_sub_co_i32 s18, 0, s40
	v_mov_b32_e32 v20, v2
	s_delay_alu instid0(VALU_DEP_2) | instskip(NEXT) | instid1(TRANS32_DEP_1)
	v_rcp_iflag_f32_e32 v3, v3
	v_mul_f32_e32 v3, 0x4f7ffffe, v3
	s_delay_alu instid0(VALU_DEP_1) | instskip(SKIP_1) | instid1(VALU_DEP_1)
	v_cvt_u32_f32_e32 v3, v3
	s_wait_alu 0xfffe
	v_mul_lo_u32 v5, s18, v3
	s_delay_alu instid0(VALU_DEP_1) | instskip(NEXT) | instid1(VALU_DEP_1)
	v_mul_hi_u32 v5, v3, v5
	v_add_nc_u32_e32 v3, v3, v5
	s_delay_alu instid0(VALU_DEP_1) | instskip(NEXT) | instid1(VALU_DEP_1)
	v_mul_hi_u32 v3, v17, v3
	v_mul_lo_u32 v5, v3, s40
	s_delay_alu instid0(VALU_DEP_1) | instskip(NEXT) | instid1(VALU_DEP_1)
	v_sub_nc_u32_e32 v5, v17, v5
	v_subrev_nc_u32_e32 v10, s40, v5
	v_cmp_le_u32_e32 vcc_lo, s40, v5
	s_wait_alu 0xfffd
	s_delay_alu instid0(VALU_DEP_2) | instskip(NEXT) | instid1(VALU_DEP_1)
	v_dual_cndmask_b32 v5, v5, v10 :: v_dual_add_nc_u32 v8, 1, v3
	v_cndmask_b32_e32 v3, v3, v8, vcc_lo
	s_delay_alu instid0(VALU_DEP_2) | instskip(NEXT) | instid1(VALU_DEP_2)
	v_cmp_le_u32_e32 vcc_lo, s40, v5
	v_add_nc_u32_e32 v8, 1, v3
	s_wait_alu 0xfffd
	s_delay_alu instid0(VALU_DEP_1)
	v_cndmask_b32_e32 v19, v3, v8, vcc_lo
.LBB16_46:                              ;   in Loop: Header=BB16_22 Depth=2
	s_wait_alu 0xfffe
	s_or_b32 exec_lo, exec_lo, s2
	s_add_co_i32 s18, s26, 1
	s_add_nc_u64 s[44:45], s[0:1], s[44:45]
	s_wait_alu 0xfffe
	s_lshl_b64 s[48:49], s[18:19], 2
                                        ; implicit-def: $vgpr21_vgpr22
	s_mov_b32 s2, exec_lo
	s_wait_alu 0xfffe
	s_add_nc_u64 s[42:43], s[10:11], s[48:49]
	s_clause 0x1
	s_load_b32 s39, s[44:45], 0x6c
	s_load_b32 s42, s[42:43], 0x8
	s_wait_kmcnt 0x0
	s_ashr_i32 s43, s42, 31
	s_wait_alu 0xfffe
	v_or_b32_e32 v3, s43, v20
	s_delay_alu instid0(VALU_DEP_1)
	v_cmpx_ne_u64_e32 0, v[2:3]
	s_xor_b32 s27, exec_lo, s2
	s_cbranch_execz .LBB16_48
; %bb.47:                               ;   in Loop: Header=BB16_22 Depth=2
	s_ashr_i32 s44, s43, 31
	v_ashrrev_i32_e32 v3, 31, v20
	s_wait_alu 0xfffe
	s_mov_b32 s45, s44
	s_wait_alu 0xfffe
	s_add_nc_u64 s[46:47], s[42:43], s[44:45]
	v_add_co_u32 v5, vcc_lo, v19, v3
	s_wait_alu 0xfffe
	s_xor_b64 s[46:47], s[46:47], s[44:45]
	s_wait_alu 0xfffd
	v_add_co_ci_u32_e64 v8, null, v20, v3, vcc_lo
	s_wait_alu 0xfffe
	s_cvt_f32_u32 s2, s46
	s_cvt_f32_u32 s18, s47
	s_sub_nc_u64 s[58:59], 0, s[46:47]
	v_xor_b32_e32 v5, v5, v3
	v_xor_b32_e32 v8, v8, v3
	s_wait_alu 0xfffe
	s_fmamk_f32 s2, s18, 0x4f800000, s2
	v_xor_b32_e32 v3, s44, v3
	s_wait_alu 0xfffe
	s_delay_alu instid0(SALU_CYCLE_1) | instskip(NEXT) | instid1(TRANS32_DEP_1)
	v_s_rcp_f32 s2, s2
	s_mul_f32 s2, s2, 0x5f7ffffc
	s_wait_alu 0xfffe
	s_delay_alu instid0(SALU_CYCLE_2) | instskip(SKIP_1) | instid1(SALU_CYCLE_2)
	s_mul_f32 s18, s2, 0x2f800000
	s_wait_alu 0xfffe
	s_trunc_f32 s18, s18
	s_wait_alu 0xfffe
	s_delay_alu instid0(SALU_CYCLE_2) | instskip(SKIP_2) | instid1(SALU_CYCLE_1)
	s_fmamk_f32 s2, s18, 0xcf800000, s2
	s_cvt_u32_f32 s51, s18
	s_wait_alu 0xfffe
	s_cvt_u32_f32 s50, s2
	s_wait_alu 0xfffe
	s_delay_alu instid0(SALU_CYCLE_2) | instskip(NEXT) | instid1(SALU_CYCLE_1)
	s_mul_u64 s[60:61], s[58:59], s[50:51]
	s_mul_hi_u32 s63, s50, s61
	s_mul_i32 s62, s50, s61
	s_mul_hi_u32 s18, s50, s60
	s_mul_i32 s41, s51, s60
	s_wait_alu 0xfffe
	s_add_nc_u64 s[62:63], s[18:19], s[62:63]
	s_mul_hi_u32 s2, s51, s60
	s_mul_hi_u32 s43, s51, s61
	s_add_co_u32 s18, s62, s41
	s_wait_alu 0xfffe
	s_add_co_ci_u32 s18, s63, s2
	s_mul_i32 s60, s51, s61
	s_add_co_ci_u32 s61, s43, 0
	s_wait_alu 0xfffe
	s_add_nc_u64 s[60:61], s[18:19], s[60:61]
	s_delay_alu instid0(SALU_CYCLE_1)
	s_add_co_u32 s50, s50, s60
	s_cselect_b32 s2, -1, 0
	s_wait_alu 0xfffe
	s_cmp_lg_u32 s2, 0
	s_add_co_ci_u32 s51, s51, s61
	s_wait_alu 0xfffe
	s_mul_u64 s[58:59], s[58:59], s[50:51]
	s_delay_alu instid0(SALU_CYCLE_1)
	s_mul_hi_u32 s61, s50, s59
	s_mul_i32 s60, s50, s59
	s_mul_hi_u32 s18, s50, s58
	s_mul_i32 s41, s51, s58
	s_wait_alu 0xfffe
	s_add_nc_u64 s[60:61], s[18:19], s[60:61]
	s_mul_hi_u32 s2, s51, s58
	s_mul_hi_u32 s43, s51, s59
	s_add_co_u32 s18, s60, s41
	s_wait_alu 0xfffe
	s_add_co_ci_u32 s18, s61, s2
	s_mul_i32 s58, s51, s59
	s_add_co_ci_u32 s59, s43, 0
	s_wait_alu 0xfffe
	s_add_nc_u64 s[58:59], s[18:19], s[58:59]
	s_delay_alu instid0(SALU_CYCLE_1)
	s_add_co_u32 s2, s50, s58
	s_cselect_b32 s18, -1, 0
	s_wait_alu 0xfffe
	v_mul_hi_u32 v10, v5, s2
	s_cmp_lg_u32 s18, 0
	v_mad_co_u64_u32 v[22:23], null, v8, s2, 0
	s_add_co_ci_u32 s18, s51, s59
	s_wait_alu 0xfffe
	v_mad_co_u64_u32 v[20:21], null, v5, s18, 0
	v_mad_co_u64_u32 v[29:30], null, v8, s18, 0
	s_delay_alu instid0(VALU_DEP_2) | instskip(SKIP_1) | instid1(VALU_DEP_3)
	v_add_co_u32 v10, vcc_lo, v10, v20
	s_wait_alu 0xfffd
	v_add_co_ci_u32_e64 v12, null, 0, v21, vcc_lo
	s_delay_alu instid0(VALU_DEP_2) | instskip(SKIP_1) | instid1(VALU_DEP_2)
	v_add_co_u32 v10, vcc_lo, v10, v22
	s_wait_alu 0xfffd
	v_add_co_ci_u32_e32 v10, vcc_lo, v12, v23, vcc_lo
	s_wait_alu 0xfffd
	v_add_co_ci_u32_e32 v12, vcc_lo, 0, v30, vcc_lo
	s_delay_alu instid0(VALU_DEP_2) | instskip(SKIP_1) | instid1(VALU_DEP_2)
	v_add_co_u32 v10, vcc_lo, v10, v29
	s_wait_alu 0xfffd
	v_add_co_ci_u32_e64 v12, null, 0, v12, vcc_lo
	s_delay_alu instid0(VALU_DEP_2) | instskip(SKIP_1) | instid1(VALU_DEP_3)
	v_mul_lo_u32 v14, s47, v10
	v_mad_co_u64_u32 v[20:21], null, s46, v10, 0
	v_mul_lo_u32 v16, s46, v12
	v_add_co_u32 v18, s2, v10, 2
	s_delay_alu instid0(VALU_DEP_3) | instskip(NEXT) | instid1(VALU_DEP_3)
	v_sub_co_u32 v5, vcc_lo, v5, v20
	v_add3_u32 v14, v21, v16, v14
	s_wait_alu 0xf1ff
	v_add_co_ci_u32_e64 v20, null, 0, v12, s2
	s_delay_alu instid0(VALU_DEP_3) | instskip(NEXT) | instid1(VALU_DEP_3)
	v_sub_co_u32 v21, s2, v5, s46
	v_sub_nc_u32_e32 v16, v8, v14
	s_wait_alu 0xfffd
	v_sub_co_ci_u32_e64 v8, null, v8, v14, vcc_lo
	s_delay_alu instid0(VALU_DEP_2) | instskip(SKIP_2) | instid1(VALU_DEP_2)
	v_subrev_co_ci_u32_e64 v16, null, s47, v16, vcc_lo
	v_cmp_le_u32_e32 vcc_lo, s46, v21
	s_wait_alu 0xf1ff
	v_subrev_co_ci_u32_e64 v16, null, 0, v16, s2
	s_wait_alu 0xfffd
	v_cndmask_b32_e64 v14, 0, -1, vcc_lo
	s_delay_alu instid0(VALU_DEP_2)
	v_cmp_le_u32_e32 vcc_lo, s47, v16
	s_wait_alu 0xfffd
	v_cndmask_b32_e64 v21, 0, -1, vcc_lo
	v_cmp_le_u32_e32 vcc_lo, s46, v5
	s_wait_alu 0xfffd
	v_cndmask_b32_e64 v5, 0, -1, vcc_lo
	;; [unrolled: 3-line block ×3, first 2 shown]
	v_cmp_eq_u32_e32 vcc_lo, s47, v16
	s_wait_alu 0xfffd
	v_cndmask_b32_e32 v14, v21, v14, vcc_lo
	v_add_co_u32 v16, vcc_lo, v10, 1
	s_wait_alu 0xfffd
	v_add_co_ci_u32_e64 v21, null, 0, v12, vcc_lo
	v_cmp_eq_u32_e32 vcc_lo, s47, v8
	s_wait_alu 0xfffd
	v_cndmask_b32_e32 v5, v22, v5, vcc_lo
	v_cmp_ne_u32_e32 vcc_lo, 0, v14
	s_delay_alu instid0(VALU_DEP_2) | instskip(SKIP_3) | instid1(VALU_DEP_1)
	v_cmp_ne_u32_e64 s2, 0, v5
	s_wait_alu 0xfffd
	v_dual_cndmask_b32 v8, v21, v20 :: v_dual_cndmask_b32 v5, v16, v18
	s_wait_alu 0xf1ff
	v_cndmask_b32_e64 v8, v12, v8, s2
	s_delay_alu instid0(VALU_DEP_2) | instskip(NEXT) | instid1(VALU_DEP_2)
	v_cndmask_b32_e64 v5, v10, v5, s2
	v_xor_b32_e32 v8, v8, v3
	s_delay_alu instid0(VALU_DEP_2) | instskip(NEXT) | instid1(VALU_DEP_1)
	v_xor_b32_e32 v5, v5, v3
	v_sub_co_u32 v21, vcc_lo, v5, v3
	s_wait_alu 0xfffd
	s_delay_alu instid0(VALU_DEP_3)
	v_sub_co_ci_u32_e64 v22, null, v8, v3, vcc_lo
.LBB16_48:                              ;   in Loop: Header=BB16_22 Depth=2
	s_wait_alu 0xfffe
	s_and_not1_saveexec_b32 s2, s27
	s_cbranch_execz .LBB16_50
; %bb.49:                               ;   in Loop: Header=BB16_22 Depth=2
	v_cvt_f32_u32_e32 v3, s42
	s_sub_co_i32 s18, 0, s42
	v_mov_b32_e32 v22, v2
	s_delay_alu instid0(VALU_DEP_2) | instskip(NEXT) | instid1(TRANS32_DEP_1)
	v_rcp_iflag_f32_e32 v3, v3
	v_mul_f32_e32 v3, 0x4f7ffffe, v3
	s_delay_alu instid0(VALU_DEP_1) | instskip(SKIP_1) | instid1(VALU_DEP_1)
	v_cvt_u32_f32_e32 v3, v3
	s_wait_alu 0xfffe
	v_mul_lo_u32 v5, s18, v3
	s_delay_alu instid0(VALU_DEP_1) | instskip(NEXT) | instid1(VALU_DEP_1)
	v_mul_hi_u32 v5, v3, v5
	v_add_nc_u32_e32 v3, v3, v5
	s_delay_alu instid0(VALU_DEP_1) | instskip(NEXT) | instid1(VALU_DEP_1)
	v_mul_hi_u32 v3, v19, v3
	v_mul_lo_u32 v5, v3, s42
	s_delay_alu instid0(VALU_DEP_1) | instskip(NEXT) | instid1(VALU_DEP_1)
	v_sub_nc_u32_e32 v5, v19, v5
	v_subrev_nc_u32_e32 v10, s42, v5
	v_cmp_le_u32_e32 vcc_lo, s42, v5
	s_wait_alu 0xfffd
	s_delay_alu instid0(VALU_DEP_2) | instskip(NEXT) | instid1(VALU_DEP_1)
	v_dual_cndmask_b32 v5, v5, v10 :: v_dual_add_nc_u32 v8, 1, v3
	v_cndmask_b32_e32 v3, v3, v8, vcc_lo
	s_delay_alu instid0(VALU_DEP_2) | instskip(NEXT) | instid1(VALU_DEP_2)
	v_cmp_le_u32_e32 vcc_lo, s42, v5
	v_add_nc_u32_e32 v8, 1, v3
	s_wait_alu 0xfffd
	s_delay_alu instid0(VALU_DEP_1)
	v_cndmask_b32_e32 v21, v3, v8, vcc_lo
.LBB16_50:                              ;   in Loop: Header=BB16_22 Depth=2
	s_wait_alu 0xfffe
	s_or_b32 exec_lo, exec_lo, s2
	s_mov_b32 s27, s19
	s_add_nc_u64 s[48:49], s[0:1], s[48:49]
	s_wait_alu 0xfffe
	s_lshl_b64 s[46:47], s[26:27], 2
                                        ; implicit-def: $vgpr23_vgpr24
	s_mov_b32 s2, exec_lo
	s_wait_alu 0xfffe
	s_add_nc_u64 s[44:45], s[10:11], s[46:47]
	s_clause 0x1
	s_load_b32 s27, s[48:49], 0x6c
	s_load_b32 s44, s[44:45], 0x8
	s_wait_kmcnt 0x0
	s_ashr_i32 s45, s44, 31
	s_wait_alu 0xfffe
	v_or_b32_e32 v3, s45, v22
	s_delay_alu instid0(VALU_DEP_1)
	v_cmpx_ne_u64_e32 0, v[2:3]
	s_xor_b32 s41, exec_lo, s2
	s_cbranch_execz .LBB16_52
; %bb.51:                               ;   in Loop: Header=BB16_22 Depth=2
	s_ashr_i32 s48, s45, 31
	v_ashrrev_i32_e32 v3, 31, v22
	s_wait_alu 0xfffe
	s_mov_b32 s49, s48
	s_wait_alu 0xfffe
	s_add_nc_u64 s[50:51], s[44:45], s[48:49]
	v_add_co_u32 v5, vcc_lo, v21, v3
	s_wait_alu 0xfffe
	s_xor_b64 s[50:51], s[50:51], s[48:49]
	s_wait_alu 0xfffd
	v_add_co_ci_u32_e64 v8, null, v22, v3, vcc_lo
	s_wait_alu 0xfffe
	s_cvt_f32_u32 s2, s50
	s_cvt_f32_u32 s18, s51
	s_sub_nc_u64 s[60:61], 0, s[50:51]
	v_xor_b32_e32 v5, v5, v3
	v_xor_b32_e32 v8, v8, v3
	s_wait_alu 0xfffe
	s_fmamk_f32 s2, s18, 0x4f800000, s2
	v_xor_b32_e32 v3, s48, v3
	s_wait_alu 0xfffe
	s_delay_alu instid0(SALU_CYCLE_1) | instskip(NEXT) | instid1(TRANS32_DEP_1)
	v_s_rcp_f32 s2, s2
	s_mul_f32 s2, s2, 0x5f7ffffc
	s_wait_alu 0xfffe
	s_delay_alu instid0(SALU_CYCLE_2) | instskip(SKIP_1) | instid1(SALU_CYCLE_2)
	s_mul_f32 s18, s2, 0x2f800000
	s_wait_alu 0xfffe
	s_trunc_f32 s18, s18
	s_wait_alu 0xfffe
	s_delay_alu instid0(SALU_CYCLE_2) | instskip(SKIP_2) | instid1(SALU_CYCLE_1)
	s_fmamk_f32 s2, s18, 0xcf800000, s2
	s_cvt_u32_f32 s59, s18
	s_wait_alu 0xfffe
	s_cvt_u32_f32 s58, s2
	s_delay_alu instid0(SALU_CYCLE_3) | instskip(NEXT) | instid1(SALU_CYCLE_1)
	s_mul_u64 s[62:63], s[60:61], s[58:59]
	s_mul_hi_u32 s65, s58, s63
	s_mul_i32 s64, s58, s63
	s_mul_hi_u32 s18, s58, s62
	s_mul_i32 s43, s59, s62
	s_wait_alu 0xfffe
	s_add_nc_u64 s[64:65], s[18:19], s[64:65]
	s_mul_hi_u32 s2, s59, s62
	s_mul_hi_u32 s45, s59, s63
	s_add_co_u32 s18, s64, s43
	s_wait_alu 0xfffe
	s_add_co_ci_u32 s18, s65, s2
	s_mul_i32 s62, s59, s63
	s_add_co_ci_u32 s63, s45, 0
	s_wait_alu 0xfffe
	s_add_nc_u64 s[62:63], s[18:19], s[62:63]
	s_delay_alu instid0(SALU_CYCLE_1) | instskip(SKIP_4) | instid1(SALU_CYCLE_1)
	s_add_co_u32 s58, s58, s62
	s_cselect_b32 s2, -1, 0
	s_wait_alu 0xfffe
	s_cmp_lg_u32 s2, 0
	s_add_co_ci_u32 s59, s59, s63
	s_mul_u64 s[60:61], s[60:61], s[58:59]
	s_delay_alu instid0(SALU_CYCLE_1)
	s_mul_hi_u32 s63, s58, s61
	s_mul_i32 s62, s58, s61
	s_mul_hi_u32 s18, s58, s60
	s_mul_i32 s43, s59, s60
	s_wait_alu 0xfffe
	s_add_nc_u64 s[62:63], s[18:19], s[62:63]
	s_mul_hi_u32 s2, s59, s60
	s_mul_hi_u32 s45, s59, s61
	s_add_co_u32 s18, s62, s43
	s_wait_alu 0xfffe
	s_add_co_ci_u32 s18, s63, s2
	s_mul_i32 s60, s59, s61
	s_add_co_ci_u32 s61, s45, 0
	s_wait_alu 0xfffe
	s_add_nc_u64 s[60:61], s[18:19], s[60:61]
	s_delay_alu instid0(SALU_CYCLE_1)
	s_add_co_u32 s2, s58, s60
	s_cselect_b32 s18, -1, 0
	s_wait_alu 0xfffe
	v_mul_hi_u32 v10, v5, s2
	s_cmp_lg_u32 s18, 0
	v_mad_co_u64_u32 v[29:30], null, v8, s2, 0
	s_add_co_ci_u32 s18, s59, s61
	s_wait_alu 0xfffe
	v_mad_co_u64_u32 v[22:23], null, v5, s18, 0
	v_mad_co_u64_u32 v[31:32], null, v8, s18, 0
	s_delay_alu instid0(VALU_DEP_2) | instskip(SKIP_1) | instid1(VALU_DEP_3)
	v_add_co_u32 v10, vcc_lo, v10, v22
	s_wait_alu 0xfffd
	v_add_co_ci_u32_e64 v12, null, 0, v23, vcc_lo
	s_delay_alu instid0(VALU_DEP_2) | instskip(SKIP_1) | instid1(VALU_DEP_2)
	v_add_co_u32 v10, vcc_lo, v10, v29
	s_wait_alu 0xfffd
	v_add_co_ci_u32_e32 v10, vcc_lo, v12, v30, vcc_lo
	s_wait_alu 0xfffd
	v_add_co_ci_u32_e32 v12, vcc_lo, 0, v32, vcc_lo
	s_delay_alu instid0(VALU_DEP_2) | instskip(SKIP_1) | instid1(VALU_DEP_2)
	v_add_co_u32 v10, vcc_lo, v10, v31
	s_wait_alu 0xfffd
	v_add_co_ci_u32_e64 v12, null, 0, v12, vcc_lo
	s_delay_alu instid0(VALU_DEP_2) | instskip(SKIP_1) | instid1(VALU_DEP_3)
	v_mul_lo_u32 v14, s51, v10
	v_mad_co_u64_u32 v[22:23], null, s50, v10, 0
	v_mul_lo_u32 v16, s50, v12
	v_add_co_u32 v18, s2, v10, 2
	s_wait_alu 0xf1ff
	v_add_co_ci_u32_e64 v20, null, 0, v12, s2
	s_delay_alu instid0(VALU_DEP_4) | instskip(NEXT) | instid1(VALU_DEP_4)
	v_sub_co_u32 v5, vcc_lo, v5, v22
	v_add3_u32 v14, v23, v16, v14
	s_delay_alu instid0(VALU_DEP_2) | instskip(NEXT) | instid1(VALU_DEP_2)
	v_sub_co_u32 v22, s2, v5, s50
	v_sub_nc_u32_e32 v16, v8, v14
	s_wait_alu 0xfffd
	v_sub_co_ci_u32_e64 v8, null, v8, v14, vcc_lo
	s_delay_alu instid0(VALU_DEP_2) | instskip(SKIP_2) | instid1(VALU_DEP_2)
	v_subrev_co_ci_u32_e64 v16, null, s51, v16, vcc_lo
	v_cmp_le_u32_e32 vcc_lo, s50, v22
	s_wait_alu 0xf1ff
	v_subrev_co_ci_u32_e64 v16, null, 0, v16, s2
	s_wait_alu 0xfffd
	v_cndmask_b32_e64 v14, 0, -1, vcc_lo
	s_delay_alu instid0(VALU_DEP_2)
	v_cmp_le_u32_e32 vcc_lo, s51, v16
	s_wait_alu 0xfffd
	v_cndmask_b32_e64 v22, 0, -1, vcc_lo
	v_cmp_le_u32_e32 vcc_lo, s50, v5
	s_wait_alu 0xfffd
	v_cndmask_b32_e64 v5, 0, -1, vcc_lo
	;; [unrolled: 3-line block ×3, first 2 shown]
	v_cmp_eq_u32_e32 vcc_lo, s51, v16
	s_wait_alu 0xfffd
	v_cndmask_b32_e32 v14, v22, v14, vcc_lo
	v_add_co_u32 v16, vcc_lo, v10, 1
	s_wait_alu 0xfffd
	v_add_co_ci_u32_e64 v22, null, 0, v12, vcc_lo
	v_cmp_eq_u32_e32 vcc_lo, s51, v8
	s_wait_alu 0xfffd
	v_cndmask_b32_e32 v5, v23, v5, vcc_lo
	v_cmp_ne_u32_e32 vcc_lo, 0, v14
	s_delay_alu instid0(VALU_DEP_2) | instskip(SKIP_3) | instid1(VALU_DEP_1)
	v_cmp_ne_u32_e64 s2, 0, v5
	s_wait_alu 0xfffd
	v_dual_cndmask_b32 v8, v22, v20 :: v_dual_cndmask_b32 v5, v16, v18
	s_wait_alu 0xf1ff
	v_cndmask_b32_e64 v8, v12, v8, s2
	s_delay_alu instid0(VALU_DEP_2) | instskip(NEXT) | instid1(VALU_DEP_2)
	v_cndmask_b32_e64 v5, v10, v5, s2
	v_xor_b32_e32 v8, v8, v3
	s_delay_alu instid0(VALU_DEP_2) | instskip(NEXT) | instid1(VALU_DEP_1)
	v_xor_b32_e32 v5, v5, v3
	v_sub_co_u32 v23, vcc_lo, v5, v3
	s_wait_alu 0xfffd
	s_delay_alu instid0(VALU_DEP_3)
	v_sub_co_ci_u32_e64 v24, null, v8, v3, vcc_lo
.LBB16_52:                              ;   in Loop: Header=BB16_22 Depth=2
	s_wait_alu 0xfffe
	s_and_not1_saveexec_b32 s2, s41
	s_cbranch_execz .LBB16_54
; %bb.53:                               ;   in Loop: Header=BB16_22 Depth=2
	v_cvt_f32_u32_e32 v3, s44
	s_sub_co_i32 s18, 0, s44
	v_mov_b32_e32 v24, v2
	s_delay_alu instid0(VALU_DEP_2) | instskip(NEXT) | instid1(TRANS32_DEP_1)
	v_rcp_iflag_f32_e32 v3, v3
	v_mul_f32_e32 v3, 0x4f7ffffe, v3
	s_delay_alu instid0(VALU_DEP_1) | instskip(SKIP_1) | instid1(VALU_DEP_1)
	v_cvt_u32_f32_e32 v3, v3
	s_wait_alu 0xfffe
	v_mul_lo_u32 v5, s18, v3
	s_delay_alu instid0(VALU_DEP_1) | instskip(NEXT) | instid1(VALU_DEP_1)
	v_mul_hi_u32 v5, v3, v5
	v_add_nc_u32_e32 v3, v3, v5
	s_delay_alu instid0(VALU_DEP_1) | instskip(NEXT) | instid1(VALU_DEP_1)
	v_mul_hi_u32 v3, v21, v3
	v_mul_lo_u32 v5, v3, s44
	s_delay_alu instid0(VALU_DEP_1) | instskip(NEXT) | instid1(VALU_DEP_1)
	v_sub_nc_u32_e32 v5, v21, v5
	v_subrev_nc_u32_e32 v10, s44, v5
	v_cmp_le_u32_e32 vcc_lo, s44, v5
	s_wait_alu 0xfffd
	s_delay_alu instid0(VALU_DEP_2) | instskip(NEXT) | instid1(VALU_DEP_1)
	v_dual_cndmask_b32 v5, v5, v10 :: v_dual_add_nc_u32 v8, 1, v3
	v_cndmask_b32_e32 v3, v3, v8, vcc_lo
	s_delay_alu instid0(VALU_DEP_2) | instskip(NEXT) | instid1(VALU_DEP_2)
	v_cmp_le_u32_e32 vcc_lo, s44, v5
	v_add_nc_u32_e32 v8, 1, v3
	s_wait_alu 0xfffd
	s_delay_alu instid0(VALU_DEP_1)
	v_cndmask_b32_e32 v23, v3, v8, vcc_lo
.LBB16_54:                              ;   in Loop: Header=BB16_22 Depth=2
	s_wait_alu 0xfffe
	s_or_b32 exec_lo, exec_lo, s2
	v_mul_lo_u32 v3, v9, s28
	v_mul_lo_u32 v5, v11, s30
	;; [unrolled: 1-line block ×5, first 2 shown]
	s_add_nc_u64 s[40:41], s[0:1], s[46:47]
	v_mul_lo_u32 v12, v17, s38
	s_load_b32 s2, s[40:41], 0x6c
	v_sub_nc_u32_e32 v3, v7, v3
	v_sub_nc_u32_e32 v5, v9, v5
	;; [unrolled: 1-line block ×4, first 2 shown]
	v_mul_lo_u32 v9, v21, s42
	v_mul_lo_u32 v3, s25, v3
	;; [unrolled: 1-line block ×4, first 2 shown]
	v_sub_nc_u32_e32 v11, v15, v12
	v_sub_nc_u32_e32 v12, v17, v14
	v_mul_lo_u32 v7, s31, v7
	v_mul_lo_u32 v8, s35, v8
	s_add_co_i32 s26, s26, -8
	v_mul_lo_u32 v11, s37, v11
	v_add3_u32 v3, v3, v4, v5
	v_sub_nc_u32_e32 v4, v19, v9
	v_sub_nc_u32_e32 v5, v21, v10
	v_mul_lo_u32 v9, s39, v12
	s_wait_alu 0xfffe
	s_cmp_eq_u32 s26, -8
	v_add3_u32 v3, v7, v3, v8
	v_mul_lo_u32 v4, s27, v4
	s_wait_kmcnt 0x0
	v_mul_lo_u32 v5, s2, v5
	s_delay_alu instid0(VALU_DEP_3) | instskip(NEXT) | instid1(VALU_DEP_1)
	v_add3_u32 v3, v11, v3, v9
	v_add3_u32 v4, v4, v3, v5
	s_cbranch_scc1 .LBB16_56
; %bb.55:                               ;   in Loop: Header=BB16_22 Depth=2
	v_dual_mov_b32 v7, v23 :: v_dual_mov_b32 v8, v24
	s_branch .LBB16_22
.LBB16_56:                              ;   in Loop: Header=BB16_3 Depth=1
	s_load_b32 s2, s[12:13], 0x4
	s_wait_kmcnt 0x0
	v_cmp_gt_i32_e32 vcc_lo, s2, v28
	s_and_b32 exec_lo, exec_lo, vcc_lo
	s_cbranch_execz .LBB16_2
; %bb.57:                               ;   in Loop: Header=BB16_3 Depth=1
	v_ashrrev_i32_e32 v7, 31, v6
	s_mov_b32 s18, exec_lo
	s_delay_alu instid0(VALU_DEP_1)
	v_cmpx_lt_i64_e64 s[4:5], v[6:7]
	s_cbranch_execz .LBB16_59
; %bb.58:                               ;   in Loop: Header=BB16_3 Depth=1
	v_ashrrev_i32_e32 v5, 31, v4
	s_delay_alu instid0(VALU_DEP_1) | instskip(NEXT) | instid1(VALU_DEP_1)
	v_lshlrev_b64_e32 v[5:6], 1, v[4:5]
	v_add_co_u32 v5, vcc_lo, s16, v5
	s_wait_alu 0xfffd
	s_delay_alu instid0(VALU_DEP_2)
	v_add_co_ci_u32_e64 v6, null, s17, v6, vcc_lo
	global_store_b16 v[5:6], v2, off
.LBB16_59:                              ;   in Loop: Header=BB16_3 Depth=1
	s_wait_alu 0xfffe
	s_or_b32 exec_lo, exec_lo, s18
	v_add_nc_u32_e32 v3, 1, v28
	s_delay_alu instid0(VALU_DEP_1)
	v_cmp_gt_i32_e32 vcc_lo, s2, v3
	s_and_b32 exec_lo, exec_lo, vcc_lo
	s_cbranch_execz .LBB16_2
; %bb.60:                               ;   in Loop: Header=BB16_3 Depth=1
	v_sub_nc_u32_e32 v5, v3, v27
	s_mov_b32 s18, exec_lo
	s_delay_alu instid0(VALU_DEP_1) | instskip(NEXT) | instid1(VALU_DEP_1)
	v_ashrrev_i32_e32 v6, 31, v5
	v_cmpx_lt_i64_e64 s[4:5], v[5:6]
	s_cbranch_execz .LBB16_62
; %bb.61:                               ;   in Loop: Header=BB16_3 Depth=1
	v_add_nc_u32_e32 v5, s3, v4
	s_delay_alu instid0(VALU_DEP_1) | instskip(NEXT) | instid1(VALU_DEP_1)
	v_ashrrev_i32_e32 v6, 31, v5
	v_lshlrev_b64_e32 v[5:6], 1, v[5:6]
	s_delay_alu instid0(VALU_DEP_1) | instskip(SKIP_1) | instid1(VALU_DEP_2)
	v_add_co_u32 v5, vcc_lo, s16, v5
	s_wait_alu 0xfffd
	v_add_co_ci_u32_e64 v6, null, s17, v6, vcc_lo
	global_store_b16 v[5:6], v2, off
.LBB16_62:                              ;   in Loop: Header=BB16_3 Depth=1
	s_wait_alu 0xfffe
	s_or_b32 exec_lo, exec_lo, s18
	v_add_nc_u32_e32 v3, 2, v28
	s_delay_alu instid0(VALU_DEP_1)
	v_cmp_gt_i32_e32 vcc_lo, s2, v3
	s_and_b32 exec_lo, exec_lo, vcc_lo
	s_cbranch_execz .LBB16_2
; %bb.63:                               ;   in Loop: Header=BB16_3 Depth=1
	v_sub_nc_u32_e32 v5, v3, v27
	s_mov_b32 s18, exec_lo
	s_delay_alu instid0(VALU_DEP_1) | instskip(NEXT) | instid1(VALU_DEP_1)
	v_ashrrev_i32_e32 v6, 31, v5
	v_cmpx_lt_i64_e64 s[4:5], v[5:6]
	s_cbranch_execz .LBB16_65
; %bb.64:                               ;   in Loop: Header=BB16_3 Depth=1
	v_lshl_add_u32 v5, s3, 1, v4
	s_delay_alu instid0(VALU_DEP_1) | instskip(NEXT) | instid1(VALU_DEP_1)
	v_ashrrev_i32_e32 v6, 31, v5
	v_lshlrev_b64_e32 v[5:6], 1, v[5:6]
	s_delay_alu instid0(VALU_DEP_1) | instskip(SKIP_1) | instid1(VALU_DEP_2)
	v_add_co_u32 v5, vcc_lo, s16, v5
	s_wait_alu 0xfffd
	v_add_co_ci_u32_e64 v6, null, s17, v6, vcc_lo
	global_store_b16 v[5:6], v2, off
.LBB16_65:                              ;   in Loop: Header=BB16_3 Depth=1
	s_wait_alu 0xfffe
	s_or_b32 exec_lo, exec_lo, s18
	v_add_nc_u32_e32 v3, 3, v28
	s_delay_alu instid0(VALU_DEP_1)
	v_cmp_gt_i32_e32 vcc_lo, s2, v3
	s_and_b32 exec_lo, exec_lo, vcc_lo
	s_cbranch_execz .LBB16_2
; %bb.66:                               ;   in Loop: Header=BB16_3 Depth=1
	v_sub_nc_u32_e32 v5, v3, v27
	s_delay_alu instid0(VALU_DEP_1) | instskip(NEXT) | instid1(VALU_DEP_1)
	v_ashrrev_i32_e32 v6, 31, v5
	v_cmp_lt_i64_e32 vcc_lo, s[4:5], v[5:6]
	s_and_b32 exec_lo, exec_lo, vcc_lo
	s_cbranch_execz .LBB16_2
; %bb.67:                               ;   in Loop: Header=BB16_3 Depth=1
	v_mad_co_u64_u32 v[3:4], null, s3, 3, v[4:5]
	s_delay_alu instid0(VALU_DEP_1) | instskip(NEXT) | instid1(VALU_DEP_1)
	v_ashrrev_i32_e32 v4, 31, v3
	v_lshlrev_b64_e32 v[3:4], 1, v[3:4]
	s_delay_alu instid0(VALU_DEP_1) | instskip(SKIP_1) | instid1(VALU_DEP_2)
	v_add_co_u32 v3, vcc_lo, s16, v3
	s_wait_alu 0xfffd
	v_add_co_ci_u32_e64 v4, null, s17, v4, vcc_lo
	global_store_b16 v[3:4], v2, off
	s_branch .LBB16_2
.LBB16_68:
	s_endpgm
	.section	.rodata,"a",@progbits
	.p2align	6, 0x0
	.amdhsa_kernel _ZN2at6native16triu_tril_kernelIsiLb0ELi4ELb1EEEvNS_4cuda6detail10TensorInfoIT_T0_EENS4_IKS5_S6_EEllS6_
		.amdhsa_group_segment_fixed_size 0
		.amdhsa_private_segment_fixed_size 0
		.amdhsa_kernarg_size 712
		.amdhsa_user_sgpr_count 2
		.amdhsa_user_sgpr_dispatch_ptr 0
		.amdhsa_user_sgpr_queue_ptr 0
		.amdhsa_user_sgpr_kernarg_segment_ptr 1
		.amdhsa_user_sgpr_dispatch_id 0
		.amdhsa_user_sgpr_private_segment_size 0
		.amdhsa_wavefront_size32 1
		.amdhsa_uses_dynamic_stack 0
		.amdhsa_enable_private_segment 0
		.amdhsa_system_sgpr_workgroup_id_x 1
		.amdhsa_system_sgpr_workgroup_id_y 0
		.amdhsa_system_sgpr_workgroup_id_z 0
		.amdhsa_system_sgpr_workgroup_info 0
		.amdhsa_system_vgpr_workitem_id 0
		.amdhsa_next_free_vgpr 33
		.amdhsa_next_free_sgpr 66
		.amdhsa_reserve_vcc 1
		.amdhsa_float_round_mode_32 0
		.amdhsa_float_round_mode_16_64 0
		.amdhsa_float_denorm_mode_32 3
		.amdhsa_float_denorm_mode_16_64 3
		.amdhsa_fp16_overflow 0
		.amdhsa_workgroup_processor_mode 1
		.amdhsa_memory_ordered 1
		.amdhsa_forward_progress 1
		.amdhsa_inst_pref_size 98
		.amdhsa_round_robin_scheduling 0
		.amdhsa_exception_fp_ieee_invalid_op 0
		.amdhsa_exception_fp_denorm_src 0
		.amdhsa_exception_fp_ieee_div_zero 0
		.amdhsa_exception_fp_ieee_overflow 0
		.amdhsa_exception_fp_ieee_underflow 0
		.amdhsa_exception_fp_ieee_inexact 0
		.amdhsa_exception_int_div_zero 0
	.end_amdhsa_kernel
	.section	.text._ZN2at6native16triu_tril_kernelIsiLb0ELi4ELb1EEEvNS_4cuda6detail10TensorInfoIT_T0_EENS4_IKS5_S6_EEllS6_,"axG",@progbits,_ZN2at6native16triu_tril_kernelIsiLb0ELi4ELb1EEEvNS_4cuda6detail10TensorInfoIT_T0_EENS4_IKS5_S6_EEllS6_,comdat
.Lfunc_end16:
	.size	_ZN2at6native16triu_tril_kernelIsiLb0ELi4ELb1EEEvNS_4cuda6detail10TensorInfoIT_T0_EENS4_IKS5_S6_EEllS6_, .Lfunc_end16-_ZN2at6native16triu_tril_kernelIsiLb0ELi4ELb1EEEvNS_4cuda6detail10TensorInfoIT_T0_EENS4_IKS5_S6_EEllS6_
                                        ; -- End function
	.set _ZN2at6native16triu_tril_kernelIsiLb0ELi4ELb1EEEvNS_4cuda6detail10TensorInfoIT_T0_EENS4_IKS5_S6_EEllS6_.num_vgpr, 33
	.set _ZN2at6native16triu_tril_kernelIsiLb0ELi4ELb1EEEvNS_4cuda6detail10TensorInfoIT_T0_EENS4_IKS5_S6_EEllS6_.num_agpr, 0
	.set _ZN2at6native16triu_tril_kernelIsiLb0ELi4ELb1EEEvNS_4cuda6detail10TensorInfoIT_T0_EENS4_IKS5_S6_EEllS6_.numbered_sgpr, 66
	.set _ZN2at6native16triu_tril_kernelIsiLb0ELi4ELb1EEEvNS_4cuda6detail10TensorInfoIT_T0_EENS4_IKS5_S6_EEllS6_.num_named_barrier, 0
	.set _ZN2at6native16triu_tril_kernelIsiLb0ELi4ELb1EEEvNS_4cuda6detail10TensorInfoIT_T0_EENS4_IKS5_S6_EEllS6_.private_seg_size, 0
	.set _ZN2at6native16triu_tril_kernelIsiLb0ELi4ELb1EEEvNS_4cuda6detail10TensorInfoIT_T0_EENS4_IKS5_S6_EEllS6_.uses_vcc, 1
	.set _ZN2at6native16triu_tril_kernelIsiLb0ELi4ELb1EEEvNS_4cuda6detail10TensorInfoIT_T0_EENS4_IKS5_S6_EEllS6_.uses_flat_scratch, 0
	.set _ZN2at6native16triu_tril_kernelIsiLb0ELi4ELb1EEEvNS_4cuda6detail10TensorInfoIT_T0_EENS4_IKS5_S6_EEllS6_.has_dyn_sized_stack, 0
	.set _ZN2at6native16triu_tril_kernelIsiLb0ELi4ELb1EEEvNS_4cuda6detail10TensorInfoIT_T0_EENS4_IKS5_S6_EEllS6_.has_recursion, 0
	.set _ZN2at6native16triu_tril_kernelIsiLb0ELi4ELb1EEEvNS_4cuda6detail10TensorInfoIT_T0_EENS4_IKS5_S6_EEllS6_.has_indirect_call, 0
	.section	.AMDGPU.csdata,"",@progbits
; Kernel info:
; codeLenInByte = 12452
; TotalNumSgprs: 68
; NumVgprs: 33
; ScratchSize: 0
; MemoryBound: 0
; FloatMode: 240
; IeeeMode: 1
; LDSByteSize: 0 bytes/workgroup (compile time only)
; SGPRBlocks: 0
; VGPRBlocks: 4
; NumSGPRsForWavesPerEU: 68
; NumVGPRsForWavesPerEU: 33
; Occupancy: 16
; WaveLimiterHint : 0
; COMPUTE_PGM_RSRC2:SCRATCH_EN: 0
; COMPUTE_PGM_RSRC2:USER_SGPR: 2
; COMPUTE_PGM_RSRC2:TRAP_HANDLER: 0
; COMPUTE_PGM_RSRC2:TGID_X_EN: 1
; COMPUTE_PGM_RSRC2:TGID_Y_EN: 0
; COMPUTE_PGM_RSRC2:TGID_Z_EN: 0
; COMPUTE_PGM_RSRC2:TIDIG_COMP_CNT: 0
	.section	.text._ZN2at6native16triu_tril_kernelIsiLb0ELi4ELb0EEEvNS_4cuda6detail10TensorInfoIT_T0_EENS4_IKS5_S6_EEllS6_,"axG",@progbits,_ZN2at6native16triu_tril_kernelIsiLb0ELi4ELb0EEEvNS_4cuda6detail10TensorInfoIT_T0_EENS4_IKS5_S6_EEllS6_,comdat
	.protected	_ZN2at6native16triu_tril_kernelIsiLb0ELi4ELb0EEEvNS_4cuda6detail10TensorInfoIT_T0_EENS4_IKS5_S6_EEllS6_ ; -- Begin function _ZN2at6native16triu_tril_kernelIsiLb0ELi4ELb0EEEvNS_4cuda6detail10TensorInfoIT_T0_EENS4_IKS5_S6_EEllS6_
	.globl	_ZN2at6native16triu_tril_kernelIsiLb0ELi4ELb0EEEvNS_4cuda6detail10TensorInfoIT_T0_EENS4_IKS5_S6_EEllS6_
	.p2align	8
	.type	_ZN2at6native16triu_tril_kernelIsiLb0ELi4ELb0EEEvNS_4cuda6detail10TensorInfoIT_T0_EENS4_IKS5_S6_EEllS6_,@function
_ZN2at6native16triu_tril_kernelIsiLb0ELi4ELb0EEEvNS_4cuda6detail10TensorInfoIT_T0_EENS4_IKS5_S6_EEllS6_: ; @_ZN2at6native16triu_tril_kernelIsiLb0ELi4ELb0EEEvNS_4cuda6detail10TensorInfoIT_T0_EENS4_IKS5_S6_EEllS6_
; %bb.0:
	s_clause 0x1
	s_load_b32 s2, s[0:1], 0x1d4
	s_load_b128 s[4:7], s[0:1], 0x1b0
	v_mov_b32_e32 v2, 0
	s_delay_alu instid0(VALU_DEP_1) | instskip(SKIP_3) | instid1(VALU_DEP_1)
	v_mov_b32_e32 v1, v2
	s_wait_kmcnt 0x0
	s_and_b32 s16, s2, 0xffff
	s_mov_b32 s2, exec_lo
	v_mad_co_u64_u32 v[0:1], null, s16, ttmp9, v[0:1]
	s_delay_alu instid0(VALU_DEP_1) | instskip(NEXT) | instid1(VALU_DEP_1)
	v_lshlrev_b64_e32 v[0:1], 2, v[0:1]
	v_cmpx_gt_i64_e64 s[6:7], v[0:1]
	s_cbranch_execz .LBB17_53
; %bb.1:
	s_clause 0x2
	s_load_b32 s34, s[0:1], 0x1a8
	s_load_b32 s8, s[0:1], 0x1c0
	s_load_b64 s[10:11], s[0:1], 0xd8
	s_add_nc_u64 s[12:13], s[0:1], 0xd8
	s_add_nc_u64 s[18:19], s[0:1], 0x1c8
	s_mov_b32 s17, 0
	s_mov_b32 s20, s4
	;; [unrolled: 1-line block ×6, first 2 shown]
	s_wait_kmcnt 0x0
	s_ashr_i32 s35, s34, 31
	v_cvt_f32_u32_e32 v3, s8
	s_lshl_b64 s[22:23], s[34:35], 2
	s_and_b32 s56, s34, 3
	s_add_nc_u64 s[24:25], s[12:13], s[22:23]
	s_add_nc_u64 s[26:27], s[0:1], s[22:23]
	s_clause 0x1
	s_load_b64 s[2:3], s[24:25], 0x0
	s_load_b64 s[14:15], s[0:1], 0x0
	s_load_b32 s31, s[18:19], 0x0
	v_rcp_iflag_f32_e32 v3, v3
	s_clause 0x1
	s_load_b64 s[22:23], s[24:25], 0x64
	s_load_b64 s[26:27], s[26:27], 0x64
	s_ashr_i32 s9, s8, 31
	s_add_co_i32 s33, s34, -3
	v_cmp_gt_i64_e64 s57, s[34:35], 2
	s_mov_b32 s18, s4
	s_mov_b32 s19, s5
	;; [unrolled: 1-line block ×4, first 2 shown]
	v_mul_f32_e32 v3, 0x4f7ffffe, v3
	s_delay_alu instid0(VALU_DEP_1)
	v_cvt_u32_f32_e32 v18, v3
	s_wait_kmcnt 0x0
	s_mov_b32 s30, s2
	s_mul_i32 s31, s31, s16
	v_cvt_f32_u32_e32 v4, s30
	s_lshl_b32 s58, s31, 2
	s_ashr_i32 s31, s2, 31
	s_cmp_lg_u32 s56, 2
	s_mov_b32 s34, s23
	v_rcp_iflag_f32_e32 v4, v4
	s_cselect_b32 s59, -1, 0
	s_cmp_gt_u32 s33, 2
	s_mov_b32 s36, s27
	s_cselect_b32 s60, -1, 0
	s_ashr_i32 s35, s23, 31
	s_add_co_i32 s23, s23, s23
	s_ashr_i32 s37, s27, 31
	s_add_co_i32 s27, s27, s27
	s_wait_alu 0xfffe
	s_ashr_i32 s38, s9, 31
	v_mul_f32_e32 v3, 0x4f7ffffe, v4
	s_delay_alu instid0(VALU_DEP_1)
	v_cvt_u32_f32_e32 v19, v3
	s_branch .LBB17_3
.LBB17_2:                               ;   in Loop: Header=BB17_3 Depth=1
	s_wait_alu 0xfffe
	s_or_b32 exec_lo, exec_lo, s2
	v_add_co_u32 v0, vcc_lo, v0, s58
	s_wait_alu 0xfffd
	v_add_co_ci_u32_e64 v1, null, 0, v1, vcc_lo
	s_delay_alu instid0(VALU_DEP_1) | instskip(SKIP_1) | instid1(SALU_CYCLE_1)
	v_cmp_le_i64_e32 vcc_lo, s[6:7], v[0:1]
	s_or_b32 s61, vcc_lo, s61
	s_and_not1_b32 exec_lo, exec_lo, s61
	s_cbranch_execz .LBB17_53
.LBB17_3:                               ; =>This Loop Header: Depth=1
                                        ;     Child Loop BB17_15 Depth 2
                                        ;     Child Loop BB17_20 Depth 2
	v_or_b32_e32 v3, s9, v1
                                        ; implicit-def: $vgpr4_vgpr5
	s_mov_b32 s2, exec_lo
	s_delay_alu instid0(VALU_DEP_1)
	v_cmpx_ne_u64_e32 0, v[2:3]
	s_wait_alu 0xfffe
	s_xor_b32 s42, exec_lo, s2
	s_cbranch_execz .LBB17_5
; %bb.4:                                ;   in Loop: Header=BB17_3 Depth=1
	s_mov_b32 s39, s38
	v_ashrrev_i32_e32 v9, 31, v1
	s_wait_alu 0xfffe
	s_add_nc_u64 s[40:41], s[8:9], s[38:39]
	s_wait_alu 0xfffe
	s_xor_b64 s[40:41], s[40:41], s[38:39]
	v_add_co_u32 v3, vcc_lo, v0, v9
	s_wait_alu 0xfffe
	s_cvt_f32_u32 s2, s40
	s_cvt_f32_u32 s16, s41
	s_sub_nc_u64 s[46:47], 0, s[40:41]
	s_wait_alu 0xfffd
	v_add_co_ci_u32_e64 v4, null, v1, v9, vcc_lo
	s_wait_alu 0xfffe
	s_fmamk_f32 s2, s16, 0x4f800000, s2
	v_xor_b32_e32 v10, v3, v9
	s_delay_alu instid0(VALU_DEP_2) | instskip(SKIP_2) | instid1(TRANS32_DEP_1)
	v_xor_b32_e32 v11, v4, v9
	s_wait_alu 0xfffe
	v_s_rcp_f32 s2, s2
	s_mul_f32 s2, s2, 0x5f7ffffc
	s_wait_alu 0xfffe
	s_delay_alu instid0(SALU_CYCLE_2) | instskip(SKIP_1) | instid1(SALU_CYCLE_2)
	s_mul_f32 s16, s2, 0x2f800000
	s_wait_alu 0xfffe
	s_trunc_f32 s16, s16
	s_wait_alu 0xfffe
	s_delay_alu instid0(SALU_CYCLE_2) | instskip(SKIP_2) | instid1(SALU_CYCLE_1)
	s_fmamk_f32 s2, s16, 0xcf800000, s2
	s_cvt_u32_f32 s45, s16
	s_wait_alu 0xfffe
	s_cvt_u32_f32 s44, s2
	s_wait_alu 0xfffe
	s_delay_alu instid0(SALU_CYCLE_2)
	s_mul_u64 s[48:49], s[46:47], s[44:45]
	s_wait_alu 0xfffe
	s_mul_hi_u32 s51, s44, s49
	s_mul_i32 s50, s44, s49
	s_mul_hi_u32 s16, s44, s48
	s_mul_i32 s39, s45, s48
	s_wait_alu 0xfffe
	s_add_nc_u64 s[50:51], s[16:17], s[50:51]
	s_mul_hi_u32 s2, s45, s48
	s_mul_hi_u32 s43, s45, s49
	s_wait_alu 0xfffe
	s_add_co_u32 s16, s50, s39
	s_add_co_ci_u32 s16, s51, s2
	s_mul_i32 s48, s45, s49
	s_add_co_ci_u32 s49, s43, 0
	s_wait_alu 0xfffe
	s_add_nc_u64 s[48:49], s[16:17], s[48:49]
	s_wait_alu 0xfffe
	s_add_co_u32 s44, s44, s48
	s_cselect_b32 s2, -1, 0
	s_wait_alu 0xfffe
	s_cmp_lg_u32 s2, 0
	s_add_co_ci_u32 s45, s45, s49
	s_wait_alu 0xfffe
	s_mul_u64 s[46:47], s[46:47], s[44:45]
	s_wait_alu 0xfffe
	s_mul_hi_u32 s49, s44, s47
	s_mul_i32 s48, s44, s47
	s_mul_hi_u32 s16, s44, s46
	s_mul_i32 s39, s45, s46
	s_wait_alu 0xfffe
	s_add_nc_u64 s[48:49], s[16:17], s[48:49]
	s_mul_hi_u32 s2, s45, s46
	s_mul_hi_u32 s43, s45, s47
	s_wait_alu 0xfffe
	s_add_co_u32 s16, s48, s39
	s_add_co_ci_u32 s16, s49, s2
	s_mul_i32 s46, s45, s47
	s_add_co_ci_u32 s47, s43, 0
	s_wait_alu 0xfffe
	s_add_nc_u64 s[46:47], s[16:17], s[46:47]
	s_wait_alu 0xfffe
	s_add_co_u32 s2, s44, s46
	s_cselect_b32 s16, -1, 0
	s_wait_alu 0xfffe
	v_mul_hi_u32 v12, v10, s2
	s_cmp_lg_u32 s16, 0
	v_mad_co_u64_u32 v[5:6], null, v11, s2, 0
	s_add_co_ci_u32 s16, s45, s47
	s_wait_alu 0xfffe
	v_mad_co_u64_u32 v[3:4], null, v10, s16, 0
	v_mad_co_u64_u32 v[7:8], null, v11, s16, 0
	s_delay_alu instid0(VALU_DEP_2) | instskip(SKIP_1) | instid1(VALU_DEP_3)
	v_add_co_u32 v3, vcc_lo, v12, v3
	s_wait_alu 0xfffd
	v_add_co_ci_u32_e64 v4, null, 0, v4, vcc_lo
	s_delay_alu instid0(VALU_DEP_2) | instskip(SKIP_1) | instid1(VALU_DEP_2)
	v_add_co_u32 v3, vcc_lo, v3, v5
	s_wait_alu 0xfffd
	v_add_co_ci_u32_e32 v3, vcc_lo, v4, v6, vcc_lo
	s_wait_alu 0xfffd
	v_add_co_ci_u32_e32 v4, vcc_lo, 0, v8, vcc_lo
	s_delay_alu instid0(VALU_DEP_2) | instskip(SKIP_1) | instid1(VALU_DEP_2)
	v_add_co_u32 v5, vcc_lo, v3, v7
	s_wait_alu 0xfffd
	v_add_co_ci_u32_e64 v6, null, 0, v4, vcc_lo
	s_delay_alu instid0(VALU_DEP_2) | instskip(SKIP_1) | instid1(VALU_DEP_3)
	v_mul_lo_u32 v7, s41, v5
	v_mad_co_u64_u32 v[3:4], null, s40, v5, 0
	v_mul_lo_u32 v8, s40, v6
	s_delay_alu instid0(VALU_DEP_2) | instskip(NEXT) | instid1(VALU_DEP_2)
	v_sub_co_u32 v3, vcc_lo, v10, v3
	v_add3_u32 v4, v4, v8, v7
	v_add_co_u32 v8, s2, v5, 2
	s_wait_alu 0xf1ff
	v_add_co_ci_u32_e64 v10, null, 0, v6, s2
	s_delay_alu instid0(VALU_DEP_3) | instskip(SKIP_3) | instid1(VALU_DEP_3)
	v_sub_nc_u32_e32 v7, v11, v4
	v_sub_co_u32 v12, s2, v3, s40
	s_wait_alu 0xfffd
	v_sub_co_ci_u32_e64 v4, null, v11, v4, vcc_lo
	v_subrev_co_ci_u32_e64 v7, null, s41, v7, vcc_lo
	s_delay_alu instid0(VALU_DEP_3) | instskip(SKIP_1) | instid1(VALU_DEP_2)
	v_cmp_le_u32_e32 vcc_lo, s40, v12
	s_wait_alu 0xf1ff
	v_subrev_co_ci_u32_e64 v7, null, 0, v7, s2
	s_wait_alu 0xfffd
	v_cndmask_b32_e64 v11, 0, -1, vcc_lo
	s_delay_alu instid0(VALU_DEP_2)
	v_cmp_le_u32_e32 vcc_lo, s41, v7
	s_wait_alu 0xfffd
	v_cndmask_b32_e64 v12, 0, -1, vcc_lo
	v_cmp_le_u32_e32 vcc_lo, s40, v3
	s_wait_alu 0xfffd
	v_cndmask_b32_e64 v3, 0, -1, vcc_lo
	v_cmp_le_u32_e32 vcc_lo, s41, v4
	s_wait_alu 0xfffd
	v_cndmask_b32_e64 v13, 0, -1, vcc_lo
	v_cmp_eq_u32_e32 vcc_lo, s41, v7
	s_wait_alu 0xfffd
	v_cndmask_b32_e32 v7, v12, v11, vcc_lo
	v_add_co_u32 v11, vcc_lo, v5, 1
	s_wait_alu 0xfffd
	v_add_co_ci_u32_e64 v12, null, 0, v6, vcc_lo
	v_cmp_eq_u32_e32 vcc_lo, s41, v4
	s_wait_alu 0xfffd
	v_cndmask_b32_e32 v3, v13, v3, vcc_lo
	v_cmp_ne_u32_e32 vcc_lo, 0, v7
	v_xor_b32_e32 v7, s38, v9
	s_wait_alu 0xfffd
	v_cndmask_b32_e32 v4, v12, v10, vcc_lo
	v_cmp_ne_u32_e64 s2, 0, v3
	v_cndmask_b32_e32 v3, v11, v8, vcc_lo
	s_wait_alu 0xf1ff
	s_delay_alu instid0(VALU_DEP_2) | instskip(NEXT) | instid1(VALU_DEP_2)
	v_cndmask_b32_e64 v4, v6, v4, s2
	v_cndmask_b32_e64 v3, v5, v3, s2
	s_delay_alu instid0(VALU_DEP_2) | instskip(NEXT) | instid1(VALU_DEP_2)
	v_xor_b32_e32 v5, v4, v7
	v_xor_b32_e32 v3, v3, v7
	s_delay_alu instid0(VALU_DEP_1) | instskip(SKIP_1) | instid1(VALU_DEP_3)
	v_sub_co_u32 v4, vcc_lo, v3, v7
	s_wait_alu 0xfffd
	v_sub_co_ci_u32_e64 v5, null, v5, v7, vcc_lo
.LBB17_5:                               ;   in Loop: Header=BB17_3 Depth=1
	s_wait_alu 0xfffe
	s_and_not1_saveexec_b32 s2, s42
	s_cbranch_execz .LBB17_7
; %bb.6:                                ;   in Loop: Header=BB17_3 Depth=1
	s_sub_co_i32 s16, 0, s8
	s_wait_alu 0xfffe
	v_mul_lo_u32 v3, s16, v18
	s_delay_alu instid0(VALU_DEP_1) | instskip(NEXT) | instid1(VALU_DEP_1)
	v_mul_hi_u32 v3, v18, v3
	v_add_nc_u32_e32 v3, v18, v3
	s_delay_alu instid0(VALU_DEP_1) | instskip(NEXT) | instid1(VALU_DEP_1)
	v_mul_hi_u32 v3, v0, v3
	v_mul_lo_u32 v4, v3, s8
	v_add_nc_u32_e32 v5, 1, v3
	s_delay_alu instid0(VALU_DEP_2) | instskip(NEXT) | instid1(VALU_DEP_1)
	v_sub_nc_u32_e32 v4, v0, v4
	v_subrev_nc_u32_e32 v6, s8, v4
	v_cmp_le_u32_e32 vcc_lo, s8, v4
	s_wait_alu 0xfffd
	s_delay_alu instid0(VALU_DEP_2) | instskip(NEXT) | instid1(VALU_DEP_1)
	v_dual_cndmask_b32 v4, v4, v6 :: v_dual_cndmask_b32 v3, v3, v5
	v_cmp_le_u32_e32 vcc_lo, s8, v4
	s_delay_alu instid0(VALU_DEP_2) | instskip(SKIP_1) | instid1(VALU_DEP_1)
	v_add_nc_u32_e32 v5, 1, v3
	s_wait_alu 0xfffd
	v_dual_cndmask_b32 v4, v3, v5 :: v_dual_mov_b32 v5, v2
.LBB17_7:                               ;   in Loop: Header=BB17_3 Depth=1
	s_wait_alu 0xfffe
	s_or_b32 exec_lo, exec_lo, s2
	s_delay_alu instid0(VALU_DEP_1) | instskip(SKIP_1) | instid1(VALU_DEP_1)
	v_or_b32_e32 v3, s31, v5
                                        ; implicit-def: $vgpr8_vgpr9
	s_mov_b32 s2, exec_lo
	v_cmpx_ne_u64_e32 0, v[2:3]
	s_wait_alu 0xfffe
	s_xor_b32 s39, exec_lo, s2
	s_cbranch_execz .LBB17_9
; %bb.8:                                ;   in Loop: Header=BB17_3 Depth=1
	s_ashr_i32 s40, s31, 31
	v_ashrrev_i32_e32 v3, 31, v5
	s_wait_alu 0xfffe
	s_mov_b32 s41, s40
	s_wait_alu 0xfffe
	s_add_nc_u64 s[42:43], s[30:31], s[40:41]
	v_add_co_u32 v6, vcc_lo, v4, v3
	s_wait_alu 0xfffe
	s_xor_b64 s[42:43], s[42:43], s[40:41]
	s_wait_alu 0xfffd
	v_add_co_ci_u32_e64 v5, null, v5, v3, vcc_lo
	s_wait_alu 0xfffe
	s_cvt_f32_u32 s2, s42
	s_cvt_f32_u32 s16, s43
	s_sub_nc_u64 s[46:47], 0, s[42:43]
	v_xor_b32_e32 v11, v6, v3
	v_xor_b32_e32 v12, v5, v3
	s_wait_alu 0xfffe
	s_fmamk_f32 s2, s16, 0x4f800000, s2
	v_xor_b32_e32 v3, s40, v3
	s_wait_alu 0xfffe
	s_delay_alu instid0(SALU_CYCLE_1) | instskip(NEXT) | instid1(TRANS32_DEP_1)
	v_s_rcp_f32 s2, s2
	s_mul_f32 s2, s2, 0x5f7ffffc
	s_wait_alu 0xfffe
	s_delay_alu instid0(SALU_CYCLE_2) | instskip(SKIP_1) | instid1(SALU_CYCLE_2)
	s_mul_f32 s16, s2, 0x2f800000
	s_wait_alu 0xfffe
	s_trunc_f32 s16, s16
	s_wait_alu 0xfffe
	s_delay_alu instid0(SALU_CYCLE_2) | instskip(SKIP_2) | instid1(SALU_CYCLE_1)
	s_fmamk_f32 s2, s16, 0xcf800000, s2
	s_cvt_u32_f32 s45, s16
	s_wait_alu 0xfffe
	s_cvt_u32_f32 s44, s2
	s_wait_alu 0xfffe
	s_delay_alu instid0(SALU_CYCLE_2)
	s_mul_u64 s[48:49], s[46:47], s[44:45]
	s_wait_alu 0xfffe
	s_mul_hi_u32 s51, s44, s49
	s_mul_i32 s50, s44, s49
	s_mul_hi_u32 s16, s44, s48
	s_mul_i32 s41, s45, s48
	s_wait_alu 0xfffe
	s_add_nc_u64 s[50:51], s[16:17], s[50:51]
	s_mul_hi_u32 s2, s45, s48
	s_mul_hi_u32 s52, s45, s49
	s_wait_alu 0xfffe
	s_add_co_u32 s16, s50, s41
	s_add_co_ci_u32 s16, s51, s2
	s_mul_i32 s48, s45, s49
	s_add_co_ci_u32 s49, s52, 0
	s_wait_alu 0xfffe
	s_add_nc_u64 s[48:49], s[16:17], s[48:49]
	s_wait_alu 0xfffe
	s_add_co_u32 s44, s44, s48
	s_cselect_b32 s2, -1, 0
	s_wait_alu 0xfffe
	s_cmp_lg_u32 s2, 0
	s_add_co_ci_u32 s45, s45, s49
	s_wait_alu 0xfffe
	s_mul_u64 s[46:47], s[46:47], s[44:45]
	s_wait_alu 0xfffe
	s_mul_hi_u32 s49, s44, s47
	s_mul_i32 s48, s44, s47
	s_mul_hi_u32 s16, s44, s46
	s_mul_i32 s41, s45, s46
	s_wait_alu 0xfffe
	s_add_nc_u64 s[48:49], s[16:17], s[48:49]
	s_mul_hi_u32 s2, s45, s46
	s_mul_hi_u32 s50, s45, s47
	s_wait_alu 0xfffe
	s_add_co_u32 s16, s48, s41
	s_add_co_ci_u32 s16, s49, s2
	s_mul_i32 s46, s45, s47
	s_add_co_ci_u32 s47, s50, 0
	s_wait_alu 0xfffe
	s_add_nc_u64 s[46:47], s[16:17], s[46:47]
	s_wait_alu 0xfffe
	s_add_co_u32 s2, s44, s46
	s_cselect_b32 s16, -1, 0
	s_wait_alu 0xfffe
	v_mul_hi_u32 v13, v11, s2
	s_cmp_lg_u32 s16, 0
	v_mad_co_u64_u32 v[7:8], null, v12, s2, 0
	s_add_co_ci_u32 s16, s45, s47
	s_wait_alu 0xfffe
	v_mad_co_u64_u32 v[5:6], null, v11, s16, 0
	v_mad_co_u64_u32 v[9:10], null, v12, s16, 0
	s_delay_alu instid0(VALU_DEP_2) | instskip(SKIP_1) | instid1(VALU_DEP_3)
	v_add_co_u32 v5, vcc_lo, v13, v5
	s_wait_alu 0xfffd
	v_add_co_ci_u32_e64 v6, null, 0, v6, vcc_lo
	s_delay_alu instid0(VALU_DEP_2) | instskip(SKIP_1) | instid1(VALU_DEP_2)
	v_add_co_u32 v5, vcc_lo, v5, v7
	s_wait_alu 0xfffd
	v_add_co_ci_u32_e32 v5, vcc_lo, v6, v8, vcc_lo
	s_wait_alu 0xfffd
	v_add_co_ci_u32_e32 v6, vcc_lo, 0, v10, vcc_lo
	s_delay_alu instid0(VALU_DEP_2) | instskip(SKIP_1) | instid1(VALU_DEP_2)
	v_add_co_u32 v7, vcc_lo, v5, v9
	s_wait_alu 0xfffd
	v_add_co_ci_u32_e64 v8, null, 0, v6, vcc_lo
	s_delay_alu instid0(VALU_DEP_2) | instskip(SKIP_1) | instid1(VALU_DEP_3)
	v_mul_lo_u32 v9, s43, v7
	v_mad_co_u64_u32 v[5:6], null, s42, v7, 0
	v_mul_lo_u32 v10, s42, v8
	s_delay_alu instid0(VALU_DEP_2) | instskip(NEXT) | instid1(VALU_DEP_2)
	v_sub_co_u32 v5, vcc_lo, v11, v5
	v_add3_u32 v6, v6, v10, v9
	v_add_co_u32 v10, s2, v7, 2
	s_wait_alu 0xf1ff
	v_add_co_ci_u32_e64 v11, null, 0, v8, s2
	s_delay_alu instid0(VALU_DEP_3) | instskip(SKIP_3) | instid1(VALU_DEP_3)
	v_sub_nc_u32_e32 v9, v12, v6
	v_sub_co_u32 v13, s2, v5, s42
	s_wait_alu 0xfffd
	v_sub_co_ci_u32_e64 v6, null, v12, v6, vcc_lo
	v_subrev_co_ci_u32_e64 v9, null, s43, v9, vcc_lo
	s_delay_alu instid0(VALU_DEP_3) | instskip(SKIP_1) | instid1(VALU_DEP_2)
	v_cmp_le_u32_e32 vcc_lo, s42, v13
	s_wait_alu 0xf1ff
	v_subrev_co_ci_u32_e64 v9, null, 0, v9, s2
	s_wait_alu 0xfffd
	v_cndmask_b32_e64 v12, 0, -1, vcc_lo
	s_delay_alu instid0(VALU_DEP_2)
	v_cmp_le_u32_e32 vcc_lo, s43, v9
	s_wait_alu 0xfffd
	v_cndmask_b32_e64 v13, 0, -1, vcc_lo
	v_cmp_le_u32_e32 vcc_lo, s42, v5
	s_wait_alu 0xfffd
	v_cndmask_b32_e64 v5, 0, -1, vcc_lo
	;; [unrolled: 3-line block ×3, first 2 shown]
	v_cmp_eq_u32_e32 vcc_lo, s43, v9
	s_wait_alu 0xfffd
	v_cndmask_b32_e32 v9, v13, v12, vcc_lo
	v_add_co_u32 v12, vcc_lo, v7, 1
	s_wait_alu 0xfffd
	v_add_co_ci_u32_e64 v13, null, 0, v8, vcc_lo
	v_cmp_eq_u32_e32 vcc_lo, s43, v6
	s_wait_alu 0xfffd
	v_cndmask_b32_e32 v5, v14, v5, vcc_lo
	v_cmp_ne_u32_e32 vcc_lo, 0, v9
	s_wait_alu 0xfffd
	v_cndmask_b32_e32 v6, v13, v11, vcc_lo
	s_delay_alu instid0(VALU_DEP_3) | instskip(SKIP_2) | instid1(VALU_DEP_2)
	v_cmp_ne_u32_e64 s2, 0, v5
	v_cndmask_b32_e32 v5, v12, v10, vcc_lo
	s_wait_alu 0xf1ff
	v_cndmask_b32_e64 v6, v8, v6, s2
	s_delay_alu instid0(VALU_DEP_2) | instskip(NEXT) | instid1(VALU_DEP_2)
	v_cndmask_b32_e64 v5, v7, v5, s2
	v_xor_b32_e32 v6, v6, v3
	s_delay_alu instid0(VALU_DEP_2) | instskip(NEXT) | instid1(VALU_DEP_1)
	v_xor_b32_e32 v5, v5, v3
	v_sub_co_u32 v8, vcc_lo, v5, v3
	s_wait_alu 0xfffd
	s_delay_alu instid0(VALU_DEP_3)
	v_sub_co_ci_u32_e64 v9, null, v6, v3, vcc_lo
.LBB17_9:                               ;   in Loop: Header=BB17_3 Depth=1
	s_wait_alu 0xfffe
	s_and_not1_saveexec_b32 s2, s39
	s_cbranch_execz .LBB17_11
; %bb.10:                               ;   in Loop: Header=BB17_3 Depth=1
	s_sub_co_i32 s16, 0, s30
	v_mov_b32_e32 v9, v2
	s_wait_alu 0xfffe
	v_mul_lo_u32 v3, s16, v19
	s_delay_alu instid0(VALU_DEP_1) | instskip(NEXT) | instid1(VALU_DEP_1)
	v_mul_hi_u32 v3, v19, v3
	v_add_nc_u32_e32 v3, v19, v3
	s_delay_alu instid0(VALU_DEP_1) | instskip(NEXT) | instid1(VALU_DEP_1)
	v_mul_hi_u32 v3, v4, v3
	v_mul_lo_u32 v5, v3, s30
	v_add_nc_u32_e32 v6, 1, v3
	s_delay_alu instid0(VALU_DEP_2) | instskip(NEXT) | instid1(VALU_DEP_1)
	v_sub_nc_u32_e32 v5, v4, v5
	v_cmp_le_u32_e32 vcc_lo, s30, v5
	v_subrev_nc_u32_e32 v7, s30, v5
	s_wait_alu 0xfffd
	v_cndmask_b32_e32 v3, v3, v6, vcc_lo
	s_delay_alu instid0(VALU_DEP_1) | instskip(NEXT) | instid1(VALU_DEP_3)
	v_add_nc_u32_e32 v6, 1, v3
	v_cndmask_b32_e32 v5, v5, v7, vcc_lo
	s_delay_alu instid0(VALU_DEP_1) | instskip(SKIP_1) | instid1(VALU_DEP_3)
	v_cmp_le_u32_e32 vcc_lo, s30, v5
	s_wait_alu 0xfffd
	v_cndmask_b32_e32 v8, v3, v6, vcc_lo
.LBB17_11:                              ;   in Loop: Header=BB17_3 Depth=1
	s_wait_alu 0xfffe
	s_or_b32 exec_lo, exec_lo, s2
	v_mad_co_u64_u32 v[5:6], null, v4, s8, 0
	s_delay_alu instid0(VALU_DEP_2) | instskip(SKIP_3) | instid1(VALU_DEP_2)
	v_mad_co_u64_u32 v[6:7], null, v8, s30, 0
	s_and_not1_b32 vcc_lo, exec_lo, s57
	v_sub_co_u32 v20, null, v0, v5
	v_sub_co_u32 v21, null, v4, v6
	v_mul_lo_u32 v3, s34, v20
	v_mul_lo_u32 v5, s36, v20
	s_delay_alu instid0(VALU_DEP_2) | instskip(NEXT) | instid1(VALU_DEP_1)
	v_mad_co_u64_u32 v[6:7], null, s22, v21, v[3:4]
	v_mad_co_u64_u32 v[4:5], null, s26, v21, v[5:6]
	s_wait_alu 0xfffe
	s_cbranch_vccnz .LBB17_38
; %bb.12:                               ;   in Loop: Header=BB17_3 Depth=1
	s_mov_b32 s39, 1
	s_and_not1_b32 vcc_lo, exec_lo, s59
	s_mov_b32 s16, s33
	s_mov_b32 s2, s33
	s_wait_alu 0xfffe
	s_cbranch_vccz .LBB17_15
; %bb.13:                               ;   in Loop: Header=BB17_3 Depth=1
	s_and_b32 vcc_lo, exec_lo, s60
	s_mov_b32 s16, s2
	s_wait_alu 0xfffe
	s_cbranch_vccnz .LBB17_20
	s_branch .LBB17_38
.LBB17_14:                              ;   in Loop: Header=BB17_15 Depth=2
	s_wait_alu 0xfffe
	s_or_b32 exec_lo, exec_lo, s2
	s_add_nc_u64 s[44:45], s[0:1], s[44:45]
	s_clause 0x1
	s_load_b32 s2, s[42:43], 0x6c
	s_load_b32 s41, s[44:45], 0x6c
	v_mul_lo_u32 v3, v10, s40
	s_add_co_i32 s16, s16, -1
	s_delay_alu instid0(VALU_DEP_1) | instskip(SKIP_2) | instid1(VALU_DEP_2)
	v_sub_nc_u32_e32 v3, v8, v3
	v_dual_mov_b32 v8, v10 :: v_dual_mov_b32 v9, v11
	s_wait_kmcnt 0x0
	v_mad_co_u64_u32 v[6:7], null, s2, v3, v[6:7]
	v_mad_co_u64_u32 v[4:5], null, s41, v3, v[4:5]
	s_xor_b32 s2, s56, s39
	s_add_co_i32 s39, s39, 1
	s_wait_alu 0xfffe
	s_cmp_lg_u32 s2, 2
	s_cbranch_scc0 .LBB17_19
.LBB17_15:                              ;   Parent Loop BB17_3 Depth=1
                                        ; =>  This Inner Loop Header: Depth=2
	s_lshl_b64 s[44:45], s[16:17], 2
                                        ; implicit-def: $vgpr10_vgpr11
	s_mov_b32 s2, exec_lo
	s_wait_alu 0xfffe
	s_add_nc_u64 s[42:43], s[12:13], s[44:45]
	s_load_b32 s40, s[42:43], 0x8
	s_wait_kmcnt 0x0
	s_ashr_i32 s41, s40, 31
	s_wait_alu 0xfffe
	v_or_b32_e32 v3, s41, v9
	s_delay_alu instid0(VALU_DEP_1)
	v_cmpx_ne_u64_e32 0, v[2:3]
	s_xor_b32 s50, exec_lo, s2
	s_cbranch_execz .LBB17_17
; %bb.16:                               ;   in Loop: Header=BB17_15 Depth=2
	s_ashr_i32 s46, s41, 31
	s_mov_b32 s63, s17
	s_wait_alu 0xfffe
	s_mov_b32 s47, s46
	s_mov_b32 s67, s17
	s_wait_alu 0xfffe
	s_add_nc_u64 s[48:49], s[40:41], s[46:47]
	v_ashrrev_i32_e32 v3, 31, v9
	s_wait_alu 0xfffe
	s_xor_b64 s[48:49], s[48:49], s[46:47]
	s_wait_alu 0xfffe
	s_cvt_f32_u32 s2, s48
	s_cvt_f32_u32 s41, s49
	s_sub_nc_u64 s[54:55], 0, s[48:49]
	v_add_co_u32 v5, vcc_lo, v8, v3
	s_wait_alu 0xfffe
	s_fmamk_f32 s2, s41, 0x4f800000, s2
	s_wait_alu 0xfffd
	v_add_co_ci_u32_e64 v7, null, v9, v3, vcc_lo
	v_xor_b32_e32 v5, v5, v3
	s_wait_alu 0xfffe
	v_s_rcp_f32 s2, s2
	s_delay_alu instid0(VALU_DEP_2) | instskip(SKIP_1) | instid1(TRANS32_DEP_1)
	v_xor_b32_e32 v7, v7, v3
	v_xor_b32_e32 v3, s46, v3
	s_mul_f32 s2, s2, 0x5f7ffffc
	s_wait_alu 0xfffe
	s_delay_alu instid0(SALU_CYCLE_2) | instskip(SKIP_1) | instid1(SALU_CYCLE_2)
	s_mul_f32 s41, s2, 0x2f800000
	s_wait_alu 0xfffe
	s_trunc_f32 s41, s41
	s_wait_alu 0xfffe
	s_delay_alu instid0(SALU_CYCLE_2) | instskip(SKIP_2) | instid1(SALU_CYCLE_1)
	s_fmamk_f32 s2, s41, 0xcf800000, s2
	s_cvt_u32_f32 s53, s41
	s_wait_alu 0xfffe
	s_cvt_u32_f32 s52, s2
	s_wait_alu 0xfffe
	s_delay_alu instid0(SALU_CYCLE_2) | instskip(NEXT) | instid1(SALU_CYCLE_1)
	s_mul_u64 s[64:65], s[54:55], s[52:53]
	s_mul_hi_u32 s69, s52, s65
	s_mul_i32 s68, s52, s65
	s_mul_hi_u32 s62, s52, s64
	s_mul_i32 s41, s53, s64
	s_wait_alu 0xfffe
	s_add_nc_u64 s[62:63], s[62:63], s[68:69]
	s_mul_hi_u32 s2, s53, s64
	s_mul_hi_u32 s47, s53, s65
	s_wait_alu 0xfffe
	s_add_co_u32 s41, s62, s41
	s_add_co_ci_u32 s66, s63, s2
	s_mul_i32 s64, s53, s65
	s_add_co_ci_u32 s65, s47, 0
	s_delay_alu instid0(SALU_CYCLE_1)
	s_add_nc_u64 s[62:63], s[66:67], s[64:65]
	s_mov_b32 s65, s17
	s_wait_alu 0xfffe
	s_add_co_u32 s52, s52, s62
	s_cselect_b32 s2, -1, 0
	s_wait_alu 0xfffe
	s_cmp_lg_u32 s2, 0
	s_add_co_ci_u32 s53, s53, s63
	s_mov_b32 s63, s17
	s_wait_alu 0xfffe
	s_mul_u64 s[54:55], s[54:55], s[52:53]
	s_wait_alu 0xfffe
	s_mul_hi_u32 s67, s52, s55
	s_mul_i32 s66, s52, s55
	s_mul_hi_u32 s64, s52, s54
	s_mul_i32 s41, s53, s54
	s_add_nc_u64 s[64:65], s[64:65], s[66:67]
	s_mul_hi_u32 s2, s53, s54
	s_mul_hi_u32 s47, s53, s55
	s_wait_alu 0xfffe
	s_add_co_u32 s41, s64, s41
	s_add_co_ci_u32 s62, s65, s2
	s_mul_i32 s54, s53, s55
	s_add_co_ci_u32 s55, s47, 0
	s_wait_alu 0xfffe
	s_add_nc_u64 s[54:55], s[62:63], s[54:55]
	s_wait_alu 0xfffe
	s_add_co_u32 s2, s52, s54
	s_cselect_b32 s41, -1, 0
	s_wait_alu 0xfffe
	v_mul_hi_u32 v15, v5, s2
	s_cmp_lg_u32 s41, 0
	v_mad_co_u64_u32 v[11:12], null, v7, s2, 0
	s_add_co_ci_u32 s41, s53, s55
	s_wait_alu 0xfffe
	v_mad_co_u64_u32 v[9:10], null, v5, s41, 0
	v_mad_co_u64_u32 v[13:14], null, v7, s41, 0
	s_delay_alu instid0(VALU_DEP_2) | instskip(SKIP_1) | instid1(VALU_DEP_3)
	v_add_co_u32 v9, vcc_lo, v15, v9
	s_wait_alu 0xfffd
	v_add_co_ci_u32_e64 v10, null, 0, v10, vcc_lo
	s_delay_alu instid0(VALU_DEP_2) | instskip(SKIP_1) | instid1(VALU_DEP_2)
	v_add_co_u32 v9, vcc_lo, v9, v11
	s_wait_alu 0xfffd
	v_add_co_ci_u32_e32 v9, vcc_lo, v10, v12, vcc_lo
	s_wait_alu 0xfffd
	v_add_co_ci_u32_e32 v10, vcc_lo, 0, v14, vcc_lo
	s_delay_alu instid0(VALU_DEP_2) | instskip(SKIP_1) | instid1(VALU_DEP_2)
	v_add_co_u32 v11, vcc_lo, v9, v13
	s_wait_alu 0xfffd
	v_add_co_ci_u32_e64 v12, null, 0, v10, vcc_lo
	s_delay_alu instid0(VALU_DEP_2) | instskip(SKIP_1) | instid1(VALU_DEP_3)
	v_mul_lo_u32 v13, s49, v11
	v_mad_co_u64_u32 v[9:10], null, s48, v11, 0
	v_mul_lo_u32 v14, s48, v12
	s_delay_alu instid0(VALU_DEP_2) | instskip(NEXT) | instid1(VALU_DEP_2)
	v_sub_co_u32 v5, vcc_lo, v5, v9
	v_add3_u32 v10, v10, v14, v13
	s_delay_alu instid0(VALU_DEP_1) | instskip(SKIP_2) | instid1(VALU_DEP_2)
	v_sub_nc_u32_e32 v13, v7, v10
	s_wait_alu 0xfffd
	v_sub_co_ci_u32_e64 v7, null, v7, v10, vcc_lo
	v_subrev_co_ci_u32_e64 v9, null, s49, v13, vcc_lo
	v_add_co_u32 v13, s2, v11, 2
	s_wait_alu 0xf1ff
	v_add_co_ci_u32_e64 v14, null, 0, v12, s2
	v_sub_co_u32 v15, s2, v5, s48
	s_wait_alu 0xf1ff
	v_subrev_co_ci_u32_e64 v9, null, 0, v9, s2
	s_delay_alu instid0(VALU_DEP_2) | instskip(SKIP_2) | instid1(VALU_DEP_3)
	v_cmp_le_u32_e32 vcc_lo, s48, v15
	s_wait_alu 0xfffd
	v_cndmask_b32_e64 v10, 0, -1, vcc_lo
	v_cmp_le_u32_e32 vcc_lo, s49, v9
	s_wait_alu 0xfffd
	v_cndmask_b32_e64 v15, 0, -1, vcc_lo
	;; [unrolled: 3-line block ×4, first 2 shown]
	v_cmp_eq_u32_e32 vcc_lo, s49, v9
	s_wait_alu 0xfffd
	v_cndmask_b32_e32 v9, v15, v10, vcc_lo
	v_add_co_u32 v10, vcc_lo, v11, 1
	s_wait_alu 0xfffd
	v_add_co_ci_u32_e64 v15, null, 0, v12, vcc_lo
	v_cmp_eq_u32_e32 vcc_lo, s49, v7
	s_wait_alu 0xfffd
	v_cndmask_b32_e32 v5, v16, v5, vcc_lo
	v_cmp_ne_u32_e32 vcc_lo, 0, v9
	s_delay_alu instid0(VALU_DEP_2) | instskip(SKIP_4) | instid1(VALU_DEP_2)
	v_cmp_ne_u32_e64 s2, 0, v5
	s_wait_alu 0xfffd
	v_cndmask_b32_e32 v5, v10, v13, vcc_lo
	v_cndmask_b32_e32 v7, v15, v14, vcc_lo
	s_wait_alu 0xf1ff
	v_cndmask_b32_e64 v5, v11, v5, s2
	s_delay_alu instid0(VALU_DEP_2) | instskip(NEXT) | instid1(VALU_DEP_2)
	v_cndmask_b32_e64 v7, v12, v7, s2
	v_xor_b32_e32 v5, v5, v3
	s_delay_alu instid0(VALU_DEP_2) | instskip(NEXT) | instid1(VALU_DEP_2)
	v_xor_b32_e32 v7, v7, v3
	v_sub_co_u32 v10, vcc_lo, v5, v3
	s_wait_alu 0xfffd
	s_delay_alu instid0(VALU_DEP_2)
	v_sub_co_ci_u32_e64 v11, null, v7, v3, vcc_lo
.LBB17_17:                              ;   in Loop: Header=BB17_15 Depth=2
	s_wait_alu 0xfffe
	s_and_not1_saveexec_b32 s2, s50
	s_cbranch_execz .LBB17_14
; %bb.18:                               ;   in Loop: Header=BB17_15 Depth=2
	v_cvt_f32_u32_e32 v3, s40
	s_sub_co_i32 s41, 0, s40
	v_mov_b32_e32 v11, v2
	s_delay_alu instid0(VALU_DEP_2) | instskip(NEXT) | instid1(TRANS32_DEP_1)
	v_rcp_iflag_f32_e32 v3, v3
	v_mul_f32_e32 v3, 0x4f7ffffe, v3
	s_delay_alu instid0(VALU_DEP_1) | instskip(SKIP_1) | instid1(VALU_DEP_1)
	v_cvt_u32_f32_e32 v3, v3
	s_wait_alu 0xfffe
	v_mul_lo_u32 v5, s41, v3
	s_delay_alu instid0(VALU_DEP_1) | instskip(NEXT) | instid1(VALU_DEP_1)
	v_mul_hi_u32 v5, v3, v5
	v_add_nc_u32_e32 v3, v3, v5
	s_delay_alu instid0(VALU_DEP_1) | instskip(NEXT) | instid1(VALU_DEP_1)
	v_mul_hi_u32 v3, v8, v3
	v_mul_lo_u32 v5, v3, s40
	v_add_nc_u32_e32 v7, 1, v3
	s_delay_alu instid0(VALU_DEP_2) | instskip(NEXT) | instid1(VALU_DEP_1)
	v_sub_nc_u32_e32 v5, v8, v5
	v_cmp_le_u32_e32 vcc_lo, s40, v5
	v_subrev_nc_u32_e32 v9, s40, v5
	s_wait_alu 0xfffd
	v_cndmask_b32_e32 v3, v3, v7, vcc_lo
	s_delay_alu instid0(VALU_DEP_1) | instskip(NEXT) | instid1(VALU_DEP_3)
	v_add_nc_u32_e32 v7, 1, v3
	v_cndmask_b32_e32 v5, v5, v9, vcc_lo
	s_delay_alu instid0(VALU_DEP_1) | instskip(SKIP_1) | instid1(VALU_DEP_3)
	v_cmp_le_u32_e32 vcc_lo, s40, v5
	s_wait_alu 0xfffd
	v_cndmask_b32_e32 v10, v3, v7, vcc_lo
	s_branch .LBB17_14
.LBB17_19:                              ;   in Loop: Header=BB17_3 Depth=1
	s_mov_b32 s2, s16
	s_and_b32 vcc_lo, exec_lo, s60
	s_wait_alu 0xfffe
	s_mov_b32 s16, s2
	s_cbranch_vccz .LBB17_38
.LBB17_20:                              ;   Parent Loop BB17_3 Depth=1
                                        ; =>  This Inner Loop Header: Depth=2
	s_wait_alu 0xfffe
	s_lshl_b64 s[50:51], s[16:17], 2
                                        ; implicit-def: $vgpr10_vgpr11
	s_mov_b32 s2, exec_lo
	s_wait_alu 0xfffe
	s_add_nc_u64 s[44:45], s[12:13], s[50:51]
	s_load_b32 s40, s[44:45], 0x8
	s_wait_kmcnt 0x0
	s_ashr_i32 s41, s40, 31
	s_wait_alu 0xfffe
	v_or_b32_e32 v3, s41, v9
	s_delay_alu instid0(VALU_DEP_1)
	v_cmpx_ne_u64_e32 0, v[2:3]
	s_xor_b32 s39, exec_lo, s2
	s_cbranch_execz .LBB17_22
; %bb.21:                               ;   in Loop: Header=BB17_20 Depth=2
	s_ashr_i32 s42, s41, 31
	s_mov_b32 s55, s17
	s_wait_alu 0xfffe
	s_mov_b32 s43, s42
	s_mov_b32 s65, s17
	s_wait_alu 0xfffe
	s_add_nc_u64 s[46:47], s[40:41], s[42:43]
	v_ashrrev_i32_e32 v3, 31, v9
	s_wait_alu 0xfffe
	s_xor_b64 s[46:47], s[46:47], s[42:43]
	s_wait_alu 0xfffe
	s_cvt_f32_u32 s2, s46
	s_cvt_f32_u32 s41, s47
	s_sub_nc_u64 s[52:53], 0, s[46:47]
	v_add_co_u32 v5, vcc_lo, v8, v3
	s_wait_alu 0xfffe
	s_fmamk_f32 s2, s41, 0x4f800000, s2
	s_wait_alu 0xfffd
	v_add_co_ci_u32_e64 v7, null, v9, v3, vcc_lo
	v_xor_b32_e32 v5, v5, v3
	s_wait_alu 0xfffe
	v_s_rcp_f32 s2, s2
	s_delay_alu instid0(VALU_DEP_2) | instskip(SKIP_1) | instid1(TRANS32_DEP_1)
	v_xor_b32_e32 v7, v7, v3
	v_xor_b32_e32 v3, s42, v3
	s_mul_f32 s2, s2, 0x5f7ffffc
	s_wait_alu 0xfffe
	s_delay_alu instid0(SALU_CYCLE_2) | instskip(SKIP_1) | instid1(SALU_CYCLE_2)
	s_mul_f32 s41, s2, 0x2f800000
	s_wait_alu 0xfffe
	s_trunc_f32 s41, s41
	s_wait_alu 0xfffe
	s_delay_alu instid0(SALU_CYCLE_2) | instskip(SKIP_2) | instid1(SALU_CYCLE_1)
	s_fmamk_f32 s2, s41, 0xcf800000, s2
	s_cvt_u32_f32 s49, s41
	s_wait_alu 0xfffe
	s_cvt_u32_f32 s48, s2
	s_wait_alu 0xfffe
	s_delay_alu instid0(SALU_CYCLE_2)
	s_mul_u64 s[62:63], s[52:53], s[48:49]
	s_wait_alu 0xfffe
	s_mul_hi_u32 s67, s48, s63
	s_mul_i32 s66, s48, s63
	s_mul_hi_u32 s54, s48, s62
	s_mul_i32 s41, s49, s62
	s_wait_alu 0xfffe
	s_add_nc_u64 s[54:55], s[54:55], s[66:67]
	s_mul_hi_u32 s2, s49, s62
	s_mul_hi_u32 s43, s49, s63
	s_wait_alu 0xfffe
	s_add_co_u32 s41, s54, s41
	s_add_co_ci_u32 s64, s55, s2
	s_mul_i32 s62, s49, s63
	s_add_co_ci_u32 s63, s43, 0
	s_wait_alu 0xfffe
	s_add_nc_u64 s[54:55], s[64:65], s[62:63]
	s_mov_b32 s63, s17
	s_wait_alu 0xfffe
	s_add_co_u32 s48, s48, s54
	s_cselect_b32 s2, -1, 0
	s_wait_alu 0xfffe
	s_cmp_lg_u32 s2, 0
	s_add_co_ci_u32 s49, s49, s55
	s_mov_b32 s55, s17
	s_wait_alu 0xfffe
	s_mul_u64 s[52:53], s[52:53], s[48:49]
	s_wait_alu 0xfffe
	s_mul_hi_u32 s65, s48, s53
	s_mul_i32 s64, s48, s53
	s_mul_hi_u32 s62, s48, s52
	s_mul_i32 s41, s49, s52
	s_wait_alu 0xfffe
	s_add_nc_u64 s[62:63], s[62:63], s[64:65]
	s_mul_hi_u32 s2, s49, s52
	s_mul_hi_u32 s43, s49, s53
	s_wait_alu 0xfffe
	s_add_co_u32 s41, s62, s41
	s_add_co_ci_u32 s54, s63, s2
	s_mul_i32 s52, s49, s53
	s_add_co_ci_u32 s53, s43, 0
	s_wait_alu 0xfffe
	s_add_nc_u64 s[52:53], s[54:55], s[52:53]
	s_wait_alu 0xfffe
	s_add_co_u32 s2, s48, s52
	s_cselect_b32 s41, -1, 0
	s_wait_alu 0xfffe
	v_mul_hi_u32 v15, v5, s2
	s_cmp_lg_u32 s41, 0
	v_mad_co_u64_u32 v[11:12], null, v7, s2, 0
	s_add_co_ci_u32 s41, s49, s53
	s_wait_alu 0xfffe
	v_mad_co_u64_u32 v[9:10], null, v5, s41, 0
	v_mad_co_u64_u32 v[13:14], null, v7, s41, 0
	s_delay_alu instid0(VALU_DEP_2) | instskip(SKIP_1) | instid1(VALU_DEP_3)
	v_add_co_u32 v9, vcc_lo, v15, v9
	s_wait_alu 0xfffd
	v_add_co_ci_u32_e64 v10, null, 0, v10, vcc_lo
	s_delay_alu instid0(VALU_DEP_2) | instskip(SKIP_1) | instid1(VALU_DEP_2)
	v_add_co_u32 v9, vcc_lo, v9, v11
	s_wait_alu 0xfffd
	v_add_co_ci_u32_e32 v9, vcc_lo, v10, v12, vcc_lo
	s_wait_alu 0xfffd
	v_add_co_ci_u32_e32 v10, vcc_lo, 0, v14, vcc_lo
	s_delay_alu instid0(VALU_DEP_2) | instskip(SKIP_1) | instid1(VALU_DEP_2)
	v_add_co_u32 v11, vcc_lo, v9, v13
	s_wait_alu 0xfffd
	v_add_co_ci_u32_e64 v12, null, 0, v10, vcc_lo
	s_delay_alu instid0(VALU_DEP_2) | instskip(SKIP_1) | instid1(VALU_DEP_3)
	v_mul_lo_u32 v13, s47, v11
	v_mad_co_u64_u32 v[9:10], null, s46, v11, 0
	v_mul_lo_u32 v14, s46, v12
	s_delay_alu instid0(VALU_DEP_2) | instskip(NEXT) | instid1(VALU_DEP_2)
	v_sub_co_u32 v5, vcc_lo, v5, v9
	v_add3_u32 v10, v10, v14, v13
	s_delay_alu instid0(VALU_DEP_1) | instskip(SKIP_2) | instid1(VALU_DEP_2)
	v_sub_nc_u32_e32 v13, v7, v10
	s_wait_alu 0xfffd
	v_sub_co_ci_u32_e64 v7, null, v7, v10, vcc_lo
	v_subrev_co_ci_u32_e64 v9, null, s47, v13, vcc_lo
	v_add_co_u32 v13, s2, v11, 2
	s_wait_alu 0xf1ff
	v_add_co_ci_u32_e64 v14, null, 0, v12, s2
	v_sub_co_u32 v15, s2, v5, s46
	s_wait_alu 0xf1ff
	v_subrev_co_ci_u32_e64 v9, null, 0, v9, s2
	s_delay_alu instid0(VALU_DEP_2) | instskip(SKIP_2) | instid1(VALU_DEP_3)
	v_cmp_le_u32_e32 vcc_lo, s46, v15
	s_wait_alu 0xfffd
	v_cndmask_b32_e64 v10, 0, -1, vcc_lo
	v_cmp_le_u32_e32 vcc_lo, s47, v9
	s_wait_alu 0xfffd
	v_cndmask_b32_e64 v15, 0, -1, vcc_lo
	;; [unrolled: 3-line block ×4, first 2 shown]
	v_cmp_eq_u32_e32 vcc_lo, s47, v9
	s_wait_alu 0xfffd
	v_cndmask_b32_e32 v9, v15, v10, vcc_lo
	v_add_co_u32 v10, vcc_lo, v11, 1
	s_wait_alu 0xfffd
	v_add_co_ci_u32_e64 v15, null, 0, v12, vcc_lo
	v_cmp_eq_u32_e32 vcc_lo, s47, v7
	s_wait_alu 0xfffd
	v_cndmask_b32_e32 v5, v16, v5, vcc_lo
	v_cmp_ne_u32_e32 vcc_lo, 0, v9
	s_delay_alu instid0(VALU_DEP_2) | instskip(SKIP_4) | instid1(VALU_DEP_2)
	v_cmp_ne_u32_e64 s2, 0, v5
	s_wait_alu 0xfffd
	v_cndmask_b32_e32 v5, v10, v13, vcc_lo
	v_cndmask_b32_e32 v7, v15, v14, vcc_lo
	s_wait_alu 0xf1ff
	v_cndmask_b32_e64 v5, v11, v5, s2
	s_delay_alu instid0(VALU_DEP_2) | instskip(NEXT) | instid1(VALU_DEP_2)
	v_cndmask_b32_e64 v7, v12, v7, s2
	v_xor_b32_e32 v5, v5, v3
	s_delay_alu instid0(VALU_DEP_2) | instskip(NEXT) | instid1(VALU_DEP_2)
	v_xor_b32_e32 v7, v7, v3
	v_sub_co_u32 v10, vcc_lo, v5, v3
	s_wait_alu 0xfffd
	s_delay_alu instid0(VALU_DEP_2)
	v_sub_co_ci_u32_e64 v11, null, v7, v3, vcc_lo
.LBB17_22:                              ;   in Loop: Header=BB17_20 Depth=2
	s_wait_alu 0xfffe
	s_and_not1_saveexec_b32 s2, s39
	s_cbranch_execz .LBB17_24
; %bb.23:                               ;   in Loop: Header=BB17_20 Depth=2
	v_cvt_f32_u32_e32 v3, s40
	s_sub_co_i32 s39, 0, s40
	v_mov_b32_e32 v11, v2
	s_delay_alu instid0(VALU_DEP_2) | instskip(NEXT) | instid1(TRANS32_DEP_1)
	v_rcp_iflag_f32_e32 v3, v3
	v_mul_f32_e32 v3, 0x4f7ffffe, v3
	s_delay_alu instid0(VALU_DEP_1) | instskip(SKIP_1) | instid1(VALU_DEP_1)
	v_cvt_u32_f32_e32 v3, v3
	s_wait_alu 0xfffe
	v_mul_lo_u32 v5, s39, v3
	s_delay_alu instid0(VALU_DEP_1) | instskip(NEXT) | instid1(VALU_DEP_1)
	v_mul_hi_u32 v5, v3, v5
	v_add_nc_u32_e32 v3, v3, v5
	s_delay_alu instid0(VALU_DEP_1) | instskip(NEXT) | instid1(VALU_DEP_1)
	v_mul_hi_u32 v3, v8, v3
	v_mul_lo_u32 v5, v3, s40
	v_add_nc_u32_e32 v7, 1, v3
	s_delay_alu instid0(VALU_DEP_2) | instskip(NEXT) | instid1(VALU_DEP_1)
	v_sub_nc_u32_e32 v5, v8, v5
	v_cmp_le_u32_e32 vcc_lo, s40, v5
	v_subrev_nc_u32_e32 v9, s40, v5
	s_wait_alu 0xfffd
	v_cndmask_b32_e32 v3, v3, v7, vcc_lo
	s_delay_alu instid0(VALU_DEP_1) | instskip(NEXT) | instid1(VALU_DEP_3)
	v_add_nc_u32_e32 v7, 1, v3
	v_cndmask_b32_e32 v5, v5, v9, vcc_lo
	s_delay_alu instid0(VALU_DEP_1) | instskip(SKIP_1) | instid1(VALU_DEP_3)
	v_cmp_le_u32_e32 vcc_lo, s40, v5
	s_wait_alu 0xfffd
	v_cndmask_b32_e32 v10, v3, v7, vcc_lo
.LBB17_24:                              ;   in Loop: Header=BB17_20 Depth=2
	s_wait_alu 0xfffe
	s_or_b32 exec_lo, exec_lo, s2
	s_add_co_i32 s42, s16, -1
	s_mov_b32 s43, s17
	s_add_nc_u64 s[50:51], s[0:1], s[50:51]
	s_wait_alu 0xfffe
	s_lshl_b64 s[48:49], s[42:43], 2
                                        ; implicit-def: $vgpr12_vgpr13
	s_mov_b32 s2, exec_lo
	s_wait_alu 0xfffe
	s_add_nc_u64 s[46:47], s[12:13], s[48:49]
	s_clause 0x2
	s_load_b32 s42, s[46:47], 0x8
	s_load_b32 s39, s[44:45], 0x6c
	s_load_b32 s41, s[50:51], 0x6c
	s_wait_kmcnt 0x0
	s_ashr_i32 s43, s42, 31
	s_wait_alu 0xfffe
	v_or_b32_e32 v3, s43, v11
	s_delay_alu instid0(VALU_DEP_1)
	v_cmpx_ne_u64_e32 0, v[2:3]
	s_xor_b32 s52, exec_lo, s2
	s_cbranch_execz .LBB17_26
; %bb.25:                               ;   in Loop: Header=BB17_20 Depth=2
	s_ashr_i32 s44, s43, 31
	s_mov_b32 s65, s17
	s_wait_alu 0xfffe
	s_mov_b32 s45, s44
	s_mov_b32 s69, s17
	s_wait_alu 0xfffe
	s_add_nc_u64 s[50:51], s[42:43], s[44:45]
	v_ashrrev_i32_e32 v3, 31, v11
	s_wait_alu 0xfffe
	s_xor_b64 s[50:51], s[50:51], s[44:45]
	s_wait_alu 0xfffe
	s_cvt_f32_u32 s2, s50
	s_cvt_f32_u32 s43, s51
	s_sub_nc_u64 s[62:63], 0, s[50:51]
	v_add_co_u32 v5, vcc_lo, v10, v3
	s_wait_alu 0xfffe
	s_fmamk_f32 s2, s43, 0x4f800000, s2
	s_wait_alu 0xfffd
	v_add_co_ci_u32_e64 v7, null, v11, v3, vcc_lo
	v_xor_b32_e32 v5, v5, v3
	s_wait_alu 0xfffe
	v_s_rcp_f32 s2, s2
	s_delay_alu instid0(VALU_DEP_2) | instskip(SKIP_1) | instid1(TRANS32_DEP_1)
	v_xor_b32_e32 v7, v7, v3
	v_xor_b32_e32 v3, s44, v3
	s_mul_f32 s2, s2, 0x5f7ffffc
	s_wait_alu 0xfffe
	s_delay_alu instid0(SALU_CYCLE_2) | instskip(SKIP_1) | instid1(SALU_CYCLE_2)
	s_mul_f32 s43, s2, 0x2f800000
	s_wait_alu 0xfffe
	s_trunc_f32 s43, s43
	s_wait_alu 0xfffe
	s_delay_alu instid0(SALU_CYCLE_2) | instskip(SKIP_2) | instid1(SALU_CYCLE_1)
	s_fmamk_f32 s2, s43, 0xcf800000, s2
	s_cvt_u32_f32 s55, s43
	s_wait_alu 0xfffe
	s_cvt_u32_f32 s54, s2
	s_wait_alu 0xfffe
	s_delay_alu instid0(SALU_CYCLE_2) | instskip(NEXT) | instid1(SALU_CYCLE_1)
	s_mul_u64 s[66:67], s[62:63], s[54:55]
	s_mul_hi_u32 s71, s54, s67
	s_mul_i32 s70, s54, s67
	s_mul_hi_u32 s64, s54, s66
	s_mul_i32 s43, s55, s66
	s_add_nc_u64 s[64:65], s[64:65], s[70:71]
	s_mul_hi_u32 s2, s55, s66
	s_mul_hi_u32 s45, s55, s67
	s_wait_alu 0xfffe
	s_add_co_u32 s43, s64, s43
	s_add_co_ci_u32 s68, s65, s2
	s_mul_i32 s66, s55, s67
	s_add_co_ci_u32 s67, s45, 0
	s_delay_alu instid0(SALU_CYCLE_1)
	s_add_nc_u64 s[64:65], s[68:69], s[66:67]
	s_mov_b32 s67, s17
	s_add_co_u32 s54, s54, s64
	s_cselect_b32 s2, -1, 0
	s_wait_alu 0xfffe
	s_cmp_lg_u32 s2, 0
	s_add_co_ci_u32 s55, s55, s65
	s_mov_b32 s65, s17
	s_wait_alu 0xfffe
	s_mul_u64 s[62:63], s[62:63], s[54:55]
	s_wait_alu 0xfffe
	s_mul_hi_u32 s69, s54, s63
	s_mul_i32 s68, s54, s63
	s_mul_hi_u32 s66, s54, s62
	s_mul_i32 s43, s55, s62
	s_add_nc_u64 s[66:67], s[66:67], s[68:69]
	s_mul_hi_u32 s2, s55, s62
	s_mul_hi_u32 s45, s55, s63
	s_wait_alu 0xfffe
	s_add_co_u32 s43, s66, s43
	s_add_co_ci_u32 s64, s67, s2
	s_mul_i32 s62, s55, s63
	s_add_co_ci_u32 s63, s45, 0
	s_wait_alu 0xfffe
	s_add_nc_u64 s[62:63], s[64:65], s[62:63]
	s_wait_alu 0xfffe
	s_add_co_u32 s2, s54, s62
	s_cselect_b32 s43, -1, 0
	s_wait_alu 0xfffe
	v_mul_hi_u32 v9, v5, s2
	s_cmp_lg_u32 s43, 0
	v_mad_co_u64_u32 v[13:14], null, v7, s2, 0
	s_add_co_ci_u32 s43, s55, s63
	s_wait_alu 0xfffe
	v_mad_co_u64_u32 v[11:12], null, v5, s43, 0
	v_mad_co_u64_u32 v[15:16], null, v7, s43, 0
	s_delay_alu instid0(VALU_DEP_2) | instskip(SKIP_1) | instid1(VALU_DEP_3)
	v_add_co_u32 v9, vcc_lo, v9, v11
	s_wait_alu 0xfffd
	v_add_co_ci_u32_e64 v11, null, 0, v12, vcc_lo
	s_delay_alu instid0(VALU_DEP_2) | instskip(SKIP_1) | instid1(VALU_DEP_2)
	v_add_co_u32 v9, vcc_lo, v9, v13
	s_wait_alu 0xfffd
	v_add_co_ci_u32_e32 v9, vcc_lo, v11, v14, vcc_lo
	s_wait_alu 0xfffd
	v_add_co_ci_u32_e32 v11, vcc_lo, 0, v16, vcc_lo
	s_delay_alu instid0(VALU_DEP_2) | instskip(SKIP_1) | instid1(VALU_DEP_2)
	v_add_co_u32 v9, vcc_lo, v9, v15
	s_wait_alu 0xfffd
	v_add_co_ci_u32_e64 v13, null, 0, v11, vcc_lo
	s_delay_alu instid0(VALU_DEP_2) | instskip(SKIP_1) | instid1(VALU_DEP_3)
	v_mul_lo_u32 v14, s51, v9
	v_mad_co_u64_u32 v[11:12], null, s50, v9, 0
	v_mul_lo_u32 v15, s50, v13
	s_delay_alu instid0(VALU_DEP_2) | instskip(NEXT) | instid1(VALU_DEP_2)
	v_sub_co_u32 v5, vcc_lo, v5, v11
	v_add3_u32 v12, v12, v15, v14
	s_delay_alu instid0(VALU_DEP_1) | instskip(SKIP_2) | instid1(VALU_DEP_2)
	v_sub_nc_u32_e32 v14, v7, v12
	s_wait_alu 0xfffd
	v_sub_co_ci_u32_e64 v7, null, v7, v12, vcc_lo
	v_subrev_co_ci_u32_e64 v11, null, s51, v14, vcc_lo
	v_add_co_u32 v14, s2, v9, 2
	s_wait_alu 0xf1ff
	v_add_co_ci_u32_e64 v15, null, 0, v13, s2
	v_sub_co_u32 v16, s2, v5, s50
	s_wait_alu 0xf1ff
	v_subrev_co_ci_u32_e64 v11, null, 0, v11, s2
	s_delay_alu instid0(VALU_DEP_2) | instskip(SKIP_2) | instid1(VALU_DEP_3)
	v_cmp_le_u32_e32 vcc_lo, s50, v16
	s_wait_alu 0xfffd
	v_cndmask_b32_e64 v12, 0, -1, vcc_lo
	v_cmp_le_u32_e32 vcc_lo, s51, v11
	s_wait_alu 0xfffd
	v_cndmask_b32_e64 v16, 0, -1, vcc_lo
	;; [unrolled: 3-line block ×4, first 2 shown]
	v_cmp_eq_u32_e32 vcc_lo, s51, v11
	s_wait_alu 0xfffd
	v_cndmask_b32_e32 v11, v16, v12, vcc_lo
	v_add_co_u32 v12, vcc_lo, v9, 1
	s_wait_alu 0xfffd
	v_add_co_ci_u32_e64 v16, null, 0, v13, vcc_lo
	v_cmp_eq_u32_e32 vcc_lo, s51, v7
	s_wait_alu 0xfffd
	v_cndmask_b32_e32 v5, v17, v5, vcc_lo
	v_cmp_ne_u32_e32 vcc_lo, 0, v11
	s_delay_alu instid0(VALU_DEP_2) | instskip(SKIP_4) | instid1(VALU_DEP_2)
	v_cmp_ne_u32_e64 s2, 0, v5
	s_wait_alu 0xfffd
	v_cndmask_b32_e32 v5, v12, v14, vcc_lo
	v_cndmask_b32_e32 v7, v16, v15, vcc_lo
	s_wait_alu 0xf1ff
	v_cndmask_b32_e64 v5, v9, v5, s2
	s_delay_alu instid0(VALU_DEP_2) | instskip(NEXT) | instid1(VALU_DEP_2)
	v_cndmask_b32_e64 v7, v13, v7, s2
	v_xor_b32_e32 v5, v5, v3
	s_delay_alu instid0(VALU_DEP_2) | instskip(NEXT) | instid1(VALU_DEP_2)
	v_xor_b32_e32 v7, v7, v3
	v_sub_co_u32 v12, vcc_lo, v5, v3
	s_wait_alu 0xfffd
	s_delay_alu instid0(VALU_DEP_2)
	v_sub_co_ci_u32_e64 v13, null, v7, v3, vcc_lo
.LBB17_26:                              ;   in Loop: Header=BB17_20 Depth=2
	s_wait_alu 0xfffe
	s_and_not1_saveexec_b32 s2, s52
	s_cbranch_execz .LBB17_28
; %bb.27:                               ;   in Loop: Header=BB17_20 Depth=2
	v_cvt_f32_u32_e32 v3, s42
	s_sub_co_i32 s43, 0, s42
	v_mov_b32_e32 v13, v2
	s_delay_alu instid0(VALU_DEP_2) | instskip(NEXT) | instid1(TRANS32_DEP_1)
	v_rcp_iflag_f32_e32 v3, v3
	v_mul_f32_e32 v3, 0x4f7ffffe, v3
	s_delay_alu instid0(VALU_DEP_1) | instskip(SKIP_1) | instid1(VALU_DEP_1)
	v_cvt_u32_f32_e32 v3, v3
	s_wait_alu 0xfffe
	v_mul_lo_u32 v5, s43, v3
	s_delay_alu instid0(VALU_DEP_1) | instskip(NEXT) | instid1(VALU_DEP_1)
	v_mul_hi_u32 v5, v3, v5
	v_add_nc_u32_e32 v3, v3, v5
	s_delay_alu instid0(VALU_DEP_1) | instskip(NEXT) | instid1(VALU_DEP_1)
	v_mul_hi_u32 v3, v10, v3
	v_mul_lo_u32 v5, v3, s42
	v_add_nc_u32_e32 v7, 1, v3
	s_delay_alu instid0(VALU_DEP_2) | instskip(NEXT) | instid1(VALU_DEP_1)
	v_sub_nc_u32_e32 v5, v10, v5
	v_cmp_le_u32_e32 vcc_lo, s42, v5
	v_subrev_nc_u32_e32 v9, s42, v5
	s_wait_alu 0xfffd
	v_cndmask_b32_e32 v3, v3, v7, vcc_lo
	s_delay_alu instid0(VALU_DEP_1) | instskip(NEXT) | instid1(VALU_DEP_3)
	v_add_nc_u32_e32 v7, 1, v3
	v_cndmask_b32_e32 v5, v5, v9, vcc_lo
	s_delay_alu instid0(VALU_DEP_1) | instskip(SKIP_1) | instid1(VALU_DEP_3)
	v_cmp_le_u32_e32 vcc_lo, s42, v5
	s_wait_alu 0xfffd
	v_cndmask_b32_e32 v12, v3, v7, vcc_lo
.LBB17_28:                              ;   in Loop: Header=BB17_20 Depth=2
	s_wait_alu 0xfffe
	s_or_b32 exec_lo, exec_lo, s2
	s_add_co_i32 s44, s16, -2
	s_mov_b32 s45, s17
	s_add_nc_u64 s[48:49], s[0:1], s[48:49]
	s_wait_alu 0xfffe
	s_lshl_b64 s[54:55], s[44:45], 2
                                        ; implicit-def: $vgpr14_vgpr15
	s_mov_b32 s2, exec_lo
	s_wait_alu 0xfffe
	s_add_nc_u64 s[52:53], s[12:13], s[54:55]
	s_clause 0x2
	s_load_b32 s44, s[52:53], 0x8
	s_load_b32 s43, s[46:47], 0x6c
	;; [unrolled: 1-line block ×3, first 2 shown]
	s_wait_kmcnt 0x0
	s_ashr_i32 s45, s44, 31
	s_wait_alu 0xfffe
	v_or_b32_e32 v3, s45, v13
	s_delay_alu instid0(VALU_DEP_1)
	v_cmpx_ne_u64_e32 0, v[2:3]
	s_xor_b32 s50, exec_lo, s2
	s_cbranch_execz .LBB17_30
; %bb.29:                               ;   in Loop: Header=BB17_20 Depth=2
	s_ashr_i32 s46, s45, 31
	s_mov_b32 s69, s17
	s_wait_alu 0xfffe
	s_mov_b32 s47, s46
	s_mov_b32 s73, s17
	s_wait_alu 0xfffe
	s_add_nc_u64 s[48:49], s[44:45], s[46:47]
	v_ashrrev_i32_e32 v3, 31, v13
	s_wait_alu 0xfffe
	s_xor_b64 s[48:49], s[48:49], s[46:47]
	s_wait_alu 0xfffe
	s_cvt_f32_u32 s2, s48
	s_cvt_f32_u32 s45, s49
	s_sub_nc_u64 s[66:67], 0, s[48:49]
	v_add_co_u32 v5, vcc_lo, v12, v3
	s_wait_alu 0xfffe
	s_fmamk_f32 s2, s45, 0x4f800000, s2
	s_wait_alu 0xfffd
	v_add_co_ci_u32_e64 v7, null, v13, v3, vcc_lo
	v_xor_b32_e32 v5, v5, v3
	s_wait_alu 0xfffe
	v_s_rcp_f32 s2, s2
	s_delay_alu instid0(VALU_DEP_2) | instskip(SKIP_1) | instid1(TRANS32_DEP_1)
	v_xor_b32_e32 v7, v7, v3
	v_xor_b32_e32 v3, s46, v3
	s_mul_f32 s2, s2, 0x5f7ffffc
	s_wait_alu 0xfffe
	s_delay_alu instid0(SALU_CYCLE_2) | instskip(SKIP_1) | instid1(SALU_CYCLE_2)
	s_mul_f32 s45, s2, 0x2f800000
	s_wait_alu 0xfffe
	s_trunc_f32 s45, s45
	s_wait_alu 0xfffe
	s_delay_alu instid0(SALU_CYCLE_2) | instskip(SKIP_2) | instid1(SALU_CYCLE_1)
	s_fmamk_f32 s2, s45, 0xcf800000, s2
	s_cvt_u32_f32 s65, s45
	s_wait_alu 0xfffe
	s_cvt_u32_f32 s64, s2
	s_delay_alu instid0(SALU_CYCLE_3) | instskip(NEXT) | instid1(SALU_CYCLE_1)
	s_mul_u64 s[70:71], s[66:67], s[64:65]
	s_mul_hi_u32 s75, s64, s71
	s_mul_i32 s74, s64, s71
	s_mul_hi_u32 s68, s64, s70
	s_mul_i32 s45, s65, s70
	s_add_nc_u64 s[68:69], s[68:69], s[74:75]
	s_mul_hi_u32 s2, s65, s70
	s_mul_hi_u32 s47, s65, s71
	s_wait_alu 0xfffe
	s_add_co_u32 s45, s68, s45
	s_add_co_ci_u32 s72, s69, s2
	s_mul_i32 s70, s65, s71
	s_add_co_ci_u32 s71, s47, 0
	s_delay_alu instid0(SALU_CYCLE_1)
	s_add_nc_u64 s[68:69], s[72:73], s[70:71]
	s_mov_b32 s71, s17
	s_add_co_u32 s64, s64, s68
	s_cselect_b32 s2, -1, 0
	s_wait_alu 0xfffe
	s_cmp_lg_u32 s2, 0
	s_add_co_ci_u32 s65, s65, s69
	s_mov_b32 s69, s17
	s_mul_u64 s[66:67], s[66:67], s[64:65]
	s_delay_alu instid0(SALU_CYCLE_1)
	s_mul_hi_u32 s73, s64, s67
	s_mul_i32 s72, s64, s67
	s_mul_hi_u32 s70, s64, s66
	s_mul_i32 s45, s65, s66
	s_add_nc_u64 s[70:71], s[70:71], s[72:73]
	s_mul_hi_u32 s2, s65, s66
	s_mul_hi_u32 s47, s65, s67
	s_wait_alu 0xfffe
	s_add_co_u32 s45, s70, s45
	s_add_co_ci_u32 s68, s71, s2
	s_mul_i32 s66, s65, s67
	s_add_co_ci_u32 s67, s47, 0
	s_delay_alu instid0(SALU_CYCLE_1) | instskip(NEXT) | instid1(SALU_CYCLE_1)
	s_add_nc_u64 s[66:67], s[68:69], s[66:67]
	s_add_co_u32 s2, s64, s66
	s_cselect_b32 s45, -1, 0
	s_wait_alu 0xfffe
	v_mul_hi_u32 v9, v5, s2
	s_cmp_lg_u32 s45, 0
	v_mad_co_u64_u32 v[15:16], null, v7, s2, 0
	s_add_co_ci_u32 s45, s65, s67
	s_wait_alu 0xfffe
	v_mad_co_u64_u32 v[13:14], null, v5, s45, 0
	v_mad_co_u64_u32 v[22:23], null, v7, s45, 0
	s_delay_alu instid0(VALU_DEP_2) | instskip(SKIP_1) | instid1(VALU_DEP_3)
	v_add_co_u32 v9, vcc_lo, v9, v13
	s_wait_alu 0xfffd
	v_add_co_ci_u32_e64 v11, null, 0, v14, vcc_lo
	s_delay_alu instid0(VALU_DEP_2) | instskip(SKIP_1) | instid1(VALU_DEP_2)
	v_add_co_u32 v9, vcc_lo, v9, v15
	s_wait_alu 0xfffd
	v_add_co_ci_u32_e32 v9, vcc_lo, v11, v16, vcc_lo
	s_wait_alu 0xfffd
	v_add_co_ci_u32_e32 v11, vcc_lo, 0, v23, vcc_lo
	s_delay_alu instid0(VALU_DEP_2) | instskip(SKIP_1) | instid1(VALU_DEP_2)
	v_add_co_u32 v9, vcc_lo, v9, v22
	s_wait_alu 0xfffd
	v_add_co_ci_u32_e64 v11, null, 0, v11, vcc_lo
	s_delay_alu instid0(VALU_DEP_2) | instskip(SKIP_1) | instid1(VALU_DEP_3)
	v_mul_lo_u32 v15, s49, v9
	v_mad_co_u64_u32 v[13:14], null, s48, v9, 0
	v_mul_lo_u32 v16, s48, v11
	s_delay_alu instid0(VALU_DEP_2) | instskip(NEXT) | instid1(VALU_DEP_2)
	v_sub_co_u32 v5, vcc_lo, v5, v13
	v_add3_u32 v14, v14, v16, v15
	s_delay_alu instid0(VALU_DEP_1) | instskip(SKIP_2) | instid1(VALU_DEP_2)
	v_sub_nc_u32_e32 v15, v7, v14
	s_wait_alu 0xfffd
	v_sub_co_ci_u32_e64 v7, null, v7, v14, vcc_lo
	v_subrev_co_ci_u32_e64 v13, null, s49, v15, vcc_lo
	v_add_co_u32 v15, s2, v9, 2
	s_wait_alu 0xf1ff
	v_add_co_ci_u32_e64 v16, null, 0, v11, s2
	v_sub_co_u32 v17, s2, v5, s48
	s_wait_alu 0xf1ff
	v_subrev_co_ci_u32_e64 v13, null, 0, v13, s2
	s_delay_alu instid0(VALU_DEP_2) | instskip(SKIP_2) | instid1(VALU_DEP_3)
	v_cmp_le_u32_e32 vcc_lo, s48, v17
	s_wait_alu 0xfffd
	v_cndmask_b32_e64 v14, 0, -1, vcc_lo
	v_cmp_le_u32_e32 vcc_lo, s49, v13
	s_wait_alu 0xfffd
	v_cndmask_b32_e64 v17, 0, -1, vcc_lo
	;; [unrolled: 3-line block ×4, first 2 shown]
	v_cmp_eq_u32_e32 vcc_lo, s49, v13
	s_wait_alu 0xfffd
	v_cndmask_b32_e32 v13, v17, v14, vcc_lo
	v_add_co_u32 v14, vcc_lo, v9, 1
	s_wait_alu 0xfffd
	v_add_co_ci_u32_e64 v17, null, 0, v11, vcc_lo
	v_cmp_eq_u32_e32 vcc_lo, s49, v7
	s_wait_alu 0xfffd
	v_cndmask_b32_e32 v5, v22, v5, vcc_lo
	v_cmp_ne_u32_e32 vcc_lo, 0, v13
	s_delay_alu instid0(VALU_DEP_2) | instskip(SKIP_4) | instid1(VALU_DEP_2)
	v_cmp_ne_u32_e64 s2, 0, v5
	s_wait_alu 0xfffd
	v_cndmask_b32_e32 v5, v14, v15, vcc_lo
	v_cndmask_b32_e32 v7, v17, v16, vcc_lo
	s_wait_alu 0xf1ff
	v_cndmask_b32_e64 v5, v9, v5, s2
	s_delay_alu instid0(VALU_DEP_2) | instskip(NEXT) | instid1(VALU_DEP_2)
	v_cndmask_b32_e64 v7, v11, v7, s2
	v_xor_b32_e32 v5, v5, v3
	s_delay_alu instid0(VALU_DEP_2) | instskip(NEXT) | instid1(VALU_DEP_2)
	v_xor_b32_e32 v7, v7, v3
	v_sub_co_u32 v14, vcc_lo, v5, v3
	s_wait_alu 0xfffd
	s_delay_alu instid0(VALU_DEP_2)
	v_sub_co_ci_u32_e64 v15, null, v7, v3, vcc_lo
.LBB17_30:                              ;   in Loop: Header=BB17_20 Depth=2
	s_wait_alu 0xfffe
	s_and_not1_saveexec_b32 s2, s50
	s_cbranch_execz .LBB17_32
; %bb.31:                               ;   in Loop: Header=BB17_20 Depth=2
	v_cvt_f32_u32_e32 v3, s44
	s_sub_co_i32 s45, 0, s44
	v_mov_b32_e32 v15, v2
	s_delay_alu instid0(VALU_DEP_2) | instskip(NEXT) | instid1(TRANS32_DEP_1)
	v_rcp_iflag_f32_e32 v3, v3
	v_mul_f32_e32 v3, 0x4f7ffffe, v3
	s_delay_alu instid0(VALU_DEP_1) | instskip(SKIP_1) | instid1(VALU_DEP_1)
	v_cvt_u32_f32_e32 v3, v3
	s_wait_alu 0xfffe
	v_mul_lo_u32 v5, s45, v3
	s_delay_alu instid0(VALU_DEP_1) | instskip(NEXT) | instid1(VALU_DEP_1)
	v_mul_hi_u32 v5, v3, v5
	v_add_nc_u32_e32 v3, v3, v5
	s_delay_alu instid0(VALU_DEP_1) | instskip(NEXT) | instid1(VALU_DEP_1)
	v_mul_hi_u32 v3, v12, v3
	v_mul_lo_u32 v5, v3, s44
	v_add_nc_u32_e32 v7, 1, v3
	s_delay_alu instid0(VALU_DEP_2) | instskip(NEXT) | instid1(VALU_DEP_1)
	v_sub_nc_u32_e32 v5, v12, v5
	v_cmp_le_u32_e32 vcc_lo, s44, v5
	v_subrev_nc_u32_e32 v9, s44, v5
	s_wait_alu 0xfffd
	v_cndmask_b32_e32 v3, v3, v7, vcc_lo
	s_delay_alu instid0(VALU_DEP_1) | instskip(NEXT) | instid1(VALU_DEP_3)
	v_add_nc_u32_e32 v7, 1, v3
	v_cndmask_b32_e32 v5, v5, v9, vcc_lo
	s_delay_alu instid0(VALU_DEP_1) | instskip(SKIP_1) | instid1(VALU_DEP_3)
	v_cmp_le_u32_e32 vcc_lo, s44, v5
	s_wait_alu 0xfffd
	v_cndmask_b32_e32 v14, v3, v7, vcc_lo
.LBB17_32:                              ;   in Loop: Header=BB17_20 Depth=2
	s_wait_alu 0xfffe
	s_or_b32 exec_lo, exec_lo, s2
	s_add_co_i32 s46, s16, -3
	s_mov_b32 s47, s17
	s_add_nc_u64 s[54:55], s[0:1], s[54:55]
	s_wait_alu 0xfffe
	s_lshl_b64 s[50:51], s[46:47], 2
                                        ; implicit-def: $vgpr16_vgpr17
	s_mov_b32 s2, exec_lo
	s_wait_alu 0xfffe
	s_add_nc_u64 s[48:49], s[12:13], s[50:51]
	s_clause 0x2
	s_load_b32 s46, s[48:49], 0x8
	s_load_b32 s45, s[52:53], 0x6c
	;; [unrolled: 1-line block ×3, first 2 shown]
	s_wait_kmcnt 0x0
	s_ashr_i32 s47, s46, 31
	s_wait_alu 0xfffe
	v_or_b32_e32 v3, s47, v15
	s_delay_alu instid0(VALU_DEP_1)
	v_cmpx_ne_u64_e32 0, v[2:3]
	s_xor_b32 s64, exec_lo, s2
	s_cbranch_execz .LBB17_34
; %bb.33:                               ;   in Loop: Header=BB17_20 Depth=2
	s_ashr_i32 s52, s47, 31
	s_mov_b32 s71, s17
	s_wait_alu 0xfffe
	s_mov_b32 s53, s52
	s_mov_b32 s75, s17
	s_wait_alu 0xfffe
	s_add_nc_u64 s[54:55], s[46:47], s[52:53]
	v_ashrrev_i32_e32 v3, 31, v15
	s_wait_alu 0xfffe
	s_xor_b64 s[54:55], s[54:55], s[52:53]
	s_wait_alu 0xfffe
	s_cvt_f32_u32 s2, s54
	s_cvt_f32_u32 s47, s55
	s_sub_nc_u64 s[68:69], 0, s[54:55]
	v_add_co_u32 v5, vcc_lo, v14, v3
	s_wait_alu 0xfffe
	s_fmamk_f32 s2, s47, 0x4f800000, s2
	s_wait_alu 0xfffd
	v_add_co_ci_u32_e64 v7, null, v15, v3, vcc_lo
	v_xor_b32_e32 v5, v5, v3
	s_wait_alu 0xfffe
	v_s_rcp_f32 s2, s2
	s_delay_alu instid0(VALU_DEP_2) | instskip(SKIP_1) | instid1(TRANS32_DEP_1)
	v_xor_b32_e32 v7, v7, v3
	v_xor_b32_e32 v3, s52, v3
	s_mul_f32 s2, s2, 0x5f7ffffc
	s_wait_alu 0xfffe
	s_delay_alu instid0(SALU_CYCLE_2) | instskip(SKIP_1) | instid1(SALU_CYCLE_2)
	s_mul_f32 s47, s2, 0x2f800000
	s_wait_alu 0xfffe
	s_trunc_f32 s47, s47
	s_wait_alu 0xfffe
	s_delay_alu instid0(SALU_CYCLE_2) | instskip(SKIP_2) | instid1(SALU_CYCLE_1)
	s_fmamk_f32 s2, s47, 0xcf800000, s2
	s_cvt_u32_f32 s67, s47
	s_wait_alu 0xfffe
	s_cvt_u32_f32 s66, s2
	s_delay_alu instid0(SALU_CYCLE_3) | instskip(NEXT) | instid1(SALU_CYCLE_1)
	s_mul_u64 s[72:73], s[68:69], s[66:67]
	s_mul_hi_u32 s77, s66, s73
	s_mul_i32 s76, s66, s73
	s_mul_hi_u32 s70, s66, s72
	s_mul_i32 s47, s67, s72
	s_add_nc_u64 s[70:71], s[70:71], s[76:77]
	s_mul_hi_u32 s2, s67, s72
	s_mul_hi_u32 s53, s67, s73
	s_wait_alu 0xfffe
	s_add_co_u32 s47, s70, s47
	s_add_co_ci_u32 s74, s71, s2
	s_mul_i32 s72, s67, s73
	s_add_co_ci_u32 s73, s53, 0
	s_delay_alu instid0(SALU_CYCLE_1)
	s_add_nc_u64 s[70:71], s[74:75], s[72:73]
	s_mov_b32 s73, s17
	s_add_co_u32 s66, s66, s70
	s_cselect_b32 s2, -1, 0
	s_wait_alu 0xfffe
	s_cmp_lg_u32 s2, 0
	s_add_co_ci_u32 s67, s67, s71
	s_mov_b32 s71, s17
	s_mul_u64 s[68:69], s[68:69], s[66:67]
	s_delay_alu instid0(SALU_CYCLE_1)
	s_mul_hi_u32 s75, s66, s69
	s_mul_i32 s74, s66, s69
	s_mul_hi_u32 s72, s66, s68
	s_mul_i32 s47, s67, s68
	s_add_nc_u64 s[72:73], s[72:73], s[74:75]
	s_mul_hi_u32 s2, s67, s68
	s_mul_hi_u32 s53, s67, s69
	s_wait_alu 0xfffe
	s_add_co_u32 s47, s72, s47
	s_add_co_ci_u32 s70, s73, s2
	s_mul_i32 s68, s67, s69
	s_add_co_ci_u32 s69, s53, 0
	s_delay_alu instid0(SALU_CYCLE_1) | instskip(NEXT) | instid1(SALU_CYCLE_1)
	s_add_nc_u64 s[68:69], s[70:71], s[68:69]
	s_add_co_u32 s2, s66, s68
	s_cselect_b32 s47, -1, 0
	s_wait_alu 0xfffe
	v_mul_hi_u32 v9, v5, s2
	s_cmp_lg_u32 s47, 0
	v_mad_co_u64_u32 v[22:23], null, v7, s2, 0
	s_add_co_ci_u32 s47, s67, s69
	s_wait_alu 0xfffe
	v_mad_co_u64_u32 v[15:16], null, v5, s47, 0
	v_mad_co_u64_u32 v[24:25], null, v7, s47, 0
	s_delay_alu instid0(VALU_DEP_2) | instskip(SKIP_1) | instid1(VALU_DEP_3)
	v_add_co_u32 v9, vcc_lo, v9, v15
	s_wait_alu 0xfffd
	v_add_co_ci_u32_e64 v11, null, 0, v16, vcc_lo
	s_delay_alu instid0(VALU_DEP_2) | instskip(SKIP_1) | instid1(VALU_DEP_2)
	v_add_co_u32 v9, vcc_lo, v9, v22
	s_wait_alu 0xfffd
	v_add_co_ci_u32_e32 v9, vcc_lo, v11, v23, vcc_lo
	s_wait_alu 0xfffd
	v_add_co_ci_u32_e32 v11, vcc_lo, 0, v25, vcc_lo
	s_delay_alu instid0(VALU_DEP_2) | instskip(SKIP_1) | instid1(VALU_DEP_2)
	v_add_co_u32 v9, vcc_lo, v9, v24
	s_wait_alu 0xfffd
	v_add_co_ci_u32_e64 v11, null, 0, v11, vcc_lo
	s_delay_alu instid0(VALU_DEP_2) | instskip(SKIP_1) | instid1(VALU_DEP_3)
	v_mul_lo_u32 v13, s55, v9
	v_mad_co_u64_u32 v[15:16], null, s54, v9, 0
	v_mul_lo_u32 v17, s54, v11
	s_delay_alu instid0(VALU_DEP_2) | instskip(NEXT) | instid1(VALU_DEP_2)
	v_sub_co_u32 v5, vcc_lo, v5, v15
	v_add3_u32 v13, v16, v17, v13
	s_delay_alu instid0(VALU_DEP_1) | instskip(SKIP_2) | instid1(VALU_DEP_2)
	v_sub_nc_u32_e32 v16, v7, v13
	s_wait_alu 0xfffd
	v_sub_co_ci_u32_e64 v7, null, v7, v13, vcc_lo
	v_subrev_co_ci_u32_e64 v15, null, s55, v16, vcc_lo
	v_add_co_u32 v16, s2, v9, 2
	s_wait_alu 0xf1ff
	v_add_co_ci_u32_e64 v17, null, 0, v11, s2
	v_sub_co_u32 v22, s2, v5, s54
	s_wait_alu 0xf1ff
	v_subrev_co_ci_u32_e64 v15, null, 0, v15, s2
	s_delay_alu instid0(VALU_DEP_2) | instskip(SKIP_2) | instid1(VALU_DEP_3)
	v_cmp_le_u32_e32 vcc_lo, s54, v22
	s_wait_alu 0xfffd
	v_cndmask_b32_e64 v13, 0, -1, vcc_lo
	v_cmp_le_u32_e32 vcc_lo, s55, v15
	s_wait_alu 0xfffd
	v_cndmask_b32_e64 v22, 0, -1, vcc_lo
	;; [unrolled: 3-line block ×4, first 2 shown]
	v_cmp_eq_u32_e32 vcc_lo, s55, v15
	s_wait_alu 0xfffd
	v_cndmask_b32_e32 v13, v22, v13, vcc_lo
	v_add_co_u32 v15, vcc_lo, v9, 1
	s_wait_alu 0xfffd
	v_add_co_ci_u32_e64 v22, null, 0, v11, vcc_lo
	v_cmp_eq_u32_e32 vcc_lo, s55, v7
	s_wait_alu 0xfffd
	v_cndmask_b32_e32 v5, v23, v5, vcc_lo
	v_cmp_ne_u32_e32 vcc_lo, 0, v13
	s_delay_alu instid0(VALU_DEP_2) | instskip(SKIP_4) | instid1(VALU_DEP_2)
	v_cmp_ne_u32_e64 s2, 0, v5
	s_wait_alu 0xfffd
	v_cndmask_b32_e32 v5, v15, v16, vcc_lo
	v_cndmask_b32_e32 v7, v22, v17, vcc_lo
	s_wait_alu 0xf1ff
	v_cndmask_b32_e64 v5, v9, v5, s2
	s_delay_alu instid0(VALU_DEP_2) | instskip(NEXT) | instid1(VALU_DEP_2)
	v_cndmask_b32_e64 v7, v11, v7, s2
	v_xor_b32_e32 v5, v5, v3
	s_delay_alu instid0(VALU_DEP_2) | instskip(NEXT) | instid1(VALU_DEP_2)
	v_xor_b32_e32 v7, v7, v3
	v_sub_co_u32 v16, vcc_lo, v5, v3
	s_wait_alu 0xfffd
	s_delay_alu instid0(VALU_DEP_2)
	v_sub_co_ci_u32_e64 v17, null, v7, v3, vcc_lo
.LBB17_34:                              ;   in Loop: Header=BB17_20 Depth=2
	s_and_not1_saveexec_b32 s2, s64
	s_cbranch_execz .LBB17_36
; %bb.35:                               ;   in Loop: Header=BB17_20 Depth=2
	v_cvt_f32_u32_e32 v3, s46
	s_sub_co_i32 s47, 0, s46
	v_mov_b32_e32 v17, v2
	s_delay_alu instid0(VALU_DEP_2) | instskip(NEXT) | instid1(TRANS32_DEP_1)
	v_rcp_iflag_f32_e32 v3, v3
	v_mul_f32_e32 v3, 0x4f7ffffe, v3
	s_delay_alu instid0(VALU_DEP_1) | instskip(SKIP_1) | instid1(VALU_DEP_1)
	v_cvt_u32_f32_e32 v3, v3
	s_wait_alu 0xfffe
	v_mul_lo_u32 v5, s47, v3
	s_delay_alu instid0(VALU_DEP_1) | instskip(NEXT) | instid1(VALU_DEP_1)
	v_mul_hi_u32 v5, v3, v5
	v_add_nc_u32_e32 v3, v3, v5
	s_delay_alu instid0(VALU_DEP_1) | instskip(NEXT) | instid1(VALU_DEP_1)
	v_mul_hi_u32 v3, v14, v3
	v_mul_lo_u32 v5, v3, s46
	v_add_nc_u32_e32 v7, 1, v3
	s_delay_alu instid0(VALU_DEP_2) | instskip(NEXT) | instid1(VALU_DEP_1)
	v_sub_nc_u32_e32 v5, v14, v5
	v_cmp_le_u32_e32 vcc_lo, s46, v5
	v_subrev_nc_u32_e32 v9, s46, v5
	s_wait_alu 0xfffd
	v_cndmask_b32_e32 v3, v3, v7, vcc_lo
	s_delay_alu instid0(VALU_DEP_1) | instskip(NEXT) | instid1(VALU_DEP_3)
	v_add_nc_u32_e32 v7, 1, v3
	v_cndmask_b32_e32 v5, v5, v9, vcc_lo
	s_delay_alu instid0(VALU_DEP_1) | instskip(SKIP_1) | instid1(VALU_DEP_3)
	v_cmp_le_u32_e32 vcc_lo, s46, v5
	s_wait_alu 0xfffd
	v_cndmask_b32_e32 v16, v3, v7, vcc_lo
.LBB17_36:                              ;   in Loop: Header=BB17_20 Depth=2
	s_wait_alu 0xfffe
	s_or_b32 exec_lo, exec_lo, s2
	s_add_nc_u64 s[50:51], s[0:1], s[50:51]
	v_mul_lo_u32 v3, v10, s40
	s_clause 0x1
	s_load_b32 s2, s[48:49], 0x6c
	s_load_b32 s40, s[50:51], 0x6c
	v_mul_lo_u32 v5, v12, s42
	v_mul_lo_u32 v7, v14, s44
	;; [unrolled: 1-line block ×3, first 2 shown]
	s_add_co_i32 s16, s16, -4
	s_wait_alu 0xfffe
	s_cmp_eq_u32 s16, -1
	v_sub_nc_u32_e32 v3, v8, v3
	s_delay_alu instid0(VALU_DEP_4) | instskip(NEXT) | instid1(VALU_DEP_4)
	v_sub_nc_u32_e32 v5, v10, v5
	v_sub_nc_u32_e32 v7, v12, v7
	s_delay_alu instid0(VALU_DEP_4) | instskip(NEXT) | instid1(VALU_DEP_4)
	v_sub_nc_u32_e32 v8, v14, v9
	v_mul_lo_u32 v9, s39, v3
	v_mul_lo_u32 v3, s41, v3
	;; [unrolled: 1-line block ×6, first 2 shown]
	s_wait_kmcnt 0x0
	v_mul_lo_u32 v12, s2, v8
	v_mul_lo_u32 v8, s40, v8
	v_add3_u32 v6, v9, v6, v10
	v_add3_u32 v3, v3, v4, v5
	s_delay_alu instid0(VALU_DEP_2) | instskip(NEXT) | instid1(VALU_DEP_2)
	v_add3_u32 v6, v11, v6, v12
	v_add3_u32 v4, v7, v3, v8
	s_cbranch_scc1 .LBB17_38
; %bb.37:                               ;   in Loop: Header=BB17_20 Depth=2
	v_dual_mov_b32 v8, v16 :: v_dual_mov_b32 v9, v17
	s_branch .LBB17_20
.LBB17_38:                              ;   in Loop: Header=BB17_3 Depth=1
	v_sub_nc_u32_e32 v8, v20, v21
	v_mov_b32_e32 v7, 0
	v_mov_b32_e32 v3, 0
	s_mov_b32 s2, exec_lo
	s_delay_alu instid0(VALU_DEP_3) | instskip(NEXT) | instid1(VALU_DEP_1)
	v_ashrrev_i32_e32 v9, 31, v8
	v_cmpx_ge_i64_e64 s[4:5], v[8:9]
	s_cbranch_execz .LBB17_48
; %bb.39:                               ;   in Loop: Header=BB17_3 Depth=1
	v_mov_b32_e32 v3, 0
	v_mov_b32_e32 v7, 0
	s_mov_b32 s16, exec_lo
	v_cmpx_gt_i32_e64 s3, v20
	s_cbranch_execz .LBB17_47
; %bb.40:                               ;   in Loop: Header=BB17_3 Depth=1
	v_ashrrev_i32_e32 v7, 31, v6
	v_mov_b32_e32 v3, v2
	v_add_nc_u32_e32 v5, 1, v20
	s_mov_b32 s39, exec_lo
	s_delay_alu instid0(VALU_DEP_3) | instskip(SKIP_1) | instid1(VALU_DEP_2)
	v_lshlrev_b64_e32 v[10:11], 1, v[6:7]
	v_mov_b32_e32 v7, 0
	v_add_co_u32 v10, vcc_lo, s10, v10
	s_wait_alu 0xfffd
	s_delay_alu instid0(VALU_DEP_3)
	v_add_co_ci_u32_e64 v11, null, s11, v11, vcc_lo
	global_load_d16_b16 v3, v[10:11], off
	v_cmpx_gt_i32_e64 s3, v5
	s_wait_alu 0xfffe
	s_xor_b32 s39, exec_lo, s39
	s_cbranch_execz .LBB17_46
; %bb.41:                               ;   in Loop: Header=BB17_3 Depth=1
	s_lshl_b64 s[40:41], s[34:35], 1
	v_add_nc_u32_e32 v5, 2, v20
	s_wait_alu 0xfffe
	v_add_co_u32 v10, vcc_lo, v10, s40
	s_wait_alu 0xfffd
	v_add_co_ci_u32_e64 v11, null, s41, v11, vcc_lo
	v_mov_b32_e32 v7, 0
	s_mov_b32 s40, exec_lo
	s_wait_loadcnt 0x0
	global_load_d16_hi_b16 v3, v[10:11], off
	v_cmpx_gt_i32_e64 s3, v5
	s_wait_alu 0xfffe
	s_xor_b32 s40, exec_lo, s40
	s_cbranch_execz .LBB17_45
; %bb.42:                               ;   in Loop: Header=BB17_3 Depth=1
	v_add_nc_u32_e32 v5, s23, v6
	s_mov_b32 s41, exec_lo
	s_delay_alu instid0(VALU_DEP_1) | instskip(NEXT) | instid1(VALU_DEP_1)
	v_ashrrev_i32_e32 v6, 31, v5
	v_lshlrev_b64_e32 v[6:7], 1, v[5:6]
	s_delay_alu instid0(VALU_DEP_1) | instskip(SKIP_1) | instid1(VALU_DEP_2)
	v_add_co_u32 v10, vcc_lo, s10, v6
	s_wait_alu 0xfffd
	v_add_co_ci_u32_e64 v11, null, s11, v7, vcc_lo
	v_dual_mov_b32 v7, v2 :: v_dual_add_nc_u32 v6, 3, v20
	global_load_d16_b16 v7, v[10:11], off
	v_cmpx_gt_i32_e64 s3, v6
	s_wait_alu 0xfffe
	s_xor_b32 s41, exec_lo, s41
	s_cbranch_execz .LBB17_44
; %bb.43:                               ;   in Loop: Header=BB17_3 Depth=1
	v_add_nc_u32_e32 v5, s34, v5
	s_delay_alu instid0(VALU_DEP_1) | instskip(NEXT) | instid1(VALU_DEP_1)
	v_ashrrev_i32_e32 v6, 31, v5
	v_lshlrev_b64_e32 v[5:6], 1, v[5:6]
	s_delay_alu instid0(VALU_DEP_1) | instskip(SKIP_1) | instid1(VALU_DEP_2)
	v_add_co_u32 v5, vcc_lo, s10, v5
	s_wait_alu 0xfffd
	v_add_co_ci_u32_e64 v6, null, s11, v6, vcc_lo
	s_wait_loadcnt 0x0
	global_load_d16_hi_b16 v7, v[5:6], off
.LBB17_44:                              ;   in Loop: Header=BB17_3 Depth=1
	s_wait_alu 0xfffe
	s_or_b32 exec_lo, exec_lo, s41
.LBB17_45:                              ;   in Loop: Header=BB17_3 Depth=1
	s_wait_alu 0xfffe
	s_or_b32 exec_lo, exec_lo, s40
.LBB17_46:                              ;   in Loop: Header=BB17_3 Depth=1
	s_wait_alu 0xfffe
	s_or_b32 exec_lo, exec_lo, s39
.LBB17_47:                              ;   in Loop: Header=BB17_3 Depth=1
	s_wait_alu 0xfffe
	s_or_b32 exec_lo, exec_lo, s16
	s_wait_loadcnt 0x0
	v_lshrrev_b32_e32 v15, 16, v3
	v_add_nc_u32_e32 v5, 2, v8
	v_lshrrev_b32_e32 v14, 16, v7
	s_delay_alu instid0(VALU_DEP_2) | instskip(NEXT) | instid1(VALU_DEP_1)
	v_ashrrev_i32_e32 v6, 31, v5
	v_cmp_ge_i64_e32 vcc_lo, s[24:25], v[5:6]
	s_wait_alu 0xfffd
	v_dual_cndmask_b32 v5, 0, v7 :: v_dual_add_nc_u32 v10, 1, v8
	v_cmp_ge_i64_e32 vcc_lo, s[18:19], v[8:9]
	s_delay_alu instid0(VALU_DEP_2) | instskip(SKIP_2) | instid1(VALU_DEP_2)
	v_ashrrev_i32_e32 v11, 31, v10
	s_wait_alu 0xfffd
	v_dual_cndmask_b32 v3, 0, v3 :: v_dual_add_nc_u32 v12, 3, v8
	v_cmp_ge_i64_e32 vcc_lo, s[20:21], v[10:11]
	s_delay_alu instid0(VALU_DEP_2) | instskip(SKIP_2) | instid1(VALU_DEP_2)
	v_ashrrev_i32_e32 v13, 31, v12
	s_wait_alu 0xfffd
	v_cndmask_b32_e32 v6, 0, v15, vcc_lo
	v_cmp_ge_i64_e32 vcc_lo, s[28:29], v[12:13]
	s_delay_alu instid0(VALU_DEP_2) | instskip(SKIP_2) | instid1(VALU_DEP_1)
	v_perm_b32 v3, v6, v3, 0x5040100
	s_wait_alu 0xfffd
	v_cndmask_b32_e32 v7, 0, v14, vcc_lo
	v_perm_b32 v7, v7, v5, 0x5040100
.LBB17_48:                              ;   in Loop: Header=BB17_3 Depth=1
	s_wait_alu 0xfffe
	s_or_b32 exec_lo, exec_lo, s2
	s_delay_alu instid0(SALU_CYCLE_1)
	s_mov_b32 s2, exec_lo
	v_cmpx_gt_i32_e64 s3, v20
	s_cbranch_execz .LBB17_2
; %bb.49:                               ;   in Loop: Header=BB17_3 Depth=1
	v_ashrrev_i32_e32 v5, 31, v4
	v_add_nc_u32_e32 v8, 1, v20
	s_mov_b32 s16, exec_lo
	s_delay_alu instid0(VALU_DEP_2) | instskip(NEXT) | instid1(VALU_DEP_1)
	v_lshlrev_b64_e32 v[5:6], 1, v[4:5]
	v_add_co_u32 v5, vcc_lo, s14, v5
	s_wait_alu 0xfffd
	s_delay_alu instid0(VALU_DEP_2)
	v_add_co_ci_u32_e64 v6, null, s15, v6, vcc_lo
	global_store_b16 v[5:6], v3, off
	v_cmpx_gt_i32_e64 s3, v8
	s_wait_alu 0xfffe
	s_xor_b32 s16, exec_lo, s16
	s_cbranch_execz .LBB17_2
; %bb.50:                               ;   in Loop: Header=BB17_3 Depth=1
	s_lshl_b64 s[40:41], s[36:37], 1
	v_add_nc_u32_e32 v8, 2, v20
	s_wait_alu 0xfffe
	v_add_co_u32 v5, vcc_lo, v5, s40
	s_wait_alu 0xfffd
	v_add_co_ci_u32_e64 v6, null, s41, v6, vcc_lo
	s_mov_b32 s16, exec_lo
	global_store_d16_hi_b16 v[5:6], v3, off
	v_cmpx_gt_i32_e64 s3, v8
	s_wait_alu 0xfffe
	s_xor_b32 s16, exec_lo, s16
	s_cbranch_execz .LBB17_2
; %bb.51:                               ;   in Loop: Header=BB17_3 Depth=1
	v_add_nc_u32_e32 v3, s27, v4
	v_add_nc_u32_e32 v6, 3, v20
	s_mov_b32 s16, exec_lo
	s_delay_alu instid0(VALU_DEP_2) | instskip(NEXT) | instid1(VALU_DEP_1)
	v_ashrrev_i32_e32 v4, 31, v3
	v_lshlrev_b64_e32 v[4:5], 1, v[3:4]
	s_delay_alu instid0(VALU_DEP_1) | instskip(SKIP_1) | instid1(VALU_DEP_2)
	v_add_co_u32 v4, vcc_lo, s14, v4
	s_wait_alu 0xfffd
	v_add_co_ci_u32_e64 v5, null, s15, v5, vcc_lo
	global_store_b16 v[4:5], v7, off
	v_cmpx_gt_i32_e64 s3, v6
	s_wait_alu 0xfffe
	s_xor_b32 s16, exec_lo, s16
	s_cbranch_execz .LBB17_2
; %bb.52:                               ;   in Loop: Header=BB17_3 Depth=1
	v_add_nc_u32_e32 v3, s36, v3
	s_delay_alu instid0(VALU_DEP_1) | instskip(NEXT) | instid1(VALU_DEP_1)
	v_ashrrev_i32_e32 v4, 31, v3
	v_lshlrev_b64_e32 v[3:4], 1, v[3:4]
	s_delay_alu instid0(VALU_DEP_1) | instskip(SKIP_1) | instid1(VALU_DEP_2)
	v_add_co_u32 v3, vcc_lo, s14, v3
	s_wait_alu 0xfffd
	v_add_co_ci_u32_e64 v4, null, s15, v4, vcc_lo
	global_store_d16_hi_b16 v[3:4], v7, off
	s_branch .LBB17_2
.LBB17_53:
	s_endpgm
	.section	.rodata,"a",@progbits
	.p2align	6, 0x0
	.amdhsa_kernel _ZN2at6native16triu_tril_kernelIsiLb0ELi4ELb0EEEvNS_4cuda6detail10TensorInfoIT_T0_EENS4_IKS5_S6_EEllS6_
		.amdhsa_group_segment_fixed_size 0
		.amdhsa_private_segment_fixed_size 0
		.amdhsa_kernarg_size 712
		.amdhsa_user_sgpr_count 2
		.amdhsa_user_sgpr_dispatch_ptr 0
		.amdhsa_user_sgpr_queue_ptr 0
		.amdhsa_user_sgpr_kernarg_segment_ptr 1
		.amdhsa_user_sgpr_dispatch_id 0
		.amdhsa_user_sgpr_private_segment_size 0
		.amdhsa_wavefront_size32 1
		.amdhsa_uses_dynamic_stack 0
		.amdhsa_enable_private_segment 0
		.amdhsa_system_sgpr_workgroup_id_x 1
		.amdhsa_system_sgpr_workgroup_id_y 0
		.amdhsa_system_sgpr_workgroup_id_z 0
		.amdhsa_system_sgpr_workgroup_info 0
		.amdhsa_system_vgpr_workitem_id 0
		.amdhsa_next_free_vgpr 26
		.amdhsa_next_free_sgpr 78
		.amdhsa_reserve_vcc 1
		.amdhsa_float_round_mode_32 0
		.amdhsa_float_round_mode_16_64 0
		.amdhsa_float_denorm_mode_32 3
		.amdhsa_float_denorm_mode_16_64 3
		.amdhsa_fp16_overflow 0
		.amdhsa_workgroup_processor_mode 1
		.amdhsa_memory_ordered 1
		.amdhsa_forward_progress 1
		.amdhsa_inst_pref_size 69
		.amdhsa_round_robin_scheduling 0
		.amdhsa_exception_fp_ieee_invalid_op 0
		.amdhsa_exception_fp_denorm_src 0
		.amdhsa_exception_fp_ieee_div_zero 0
		.amdhsa_exception_fp_ieee_overflow 0
		.amdhsa_exception_fp_ieee_underflow 0
		.amdhsa_exception_fp_ieee_inexact 0
		.amdhsa_exception_int_div_zero 0
	.end_amdhsa_kernel
	.section	.text._ZN2at6native16triu_tril_kernelIsiLb0ELi4ELb0EEEvNS_4cuda6detail10TensorInfoIT_T0_EENS4_IKS5_S6_EEllS6_,"axG",@progbits,_ZN2at6native16triu_tril_kernelIsiLb0ELi4ELb0EEEvNS_4cuda6detail10TensorInfoIT_T0_EENS4_IKS5_S6_EEllS6_,comdat
.Lfunc_end17:
	.size	_ZN2at6native16triu_tril_kernelIsiLb0ELi4ELb0EEEvNS_4cuda6detail10TensorInfoIT_T0_EENS4_IKS5_S6_EEllS6_, .Lfunc_end17-_ZN2at6native16triu_tril_kernelIsiLb0ELi4ELb0EEEvNS_4cuda6detail10TensorInfoIT_T0_EENS4_IKS5_S6_EEllS6_
                                        ; -- End function
	.set _ZN2at6native16triu_tril_kernelIsiLb0ELi4ELb0EEEvNS_4cuda6detail10TensorInfoIT_T0_EENS4_IKS5_S6_EEllS6_.num_vgpr, 26
	.set _ZN2at6native16triu_tril_kernelIsiLb0ELi4ELb0EEEvNS_4cuda6detail10TensorInfoIT_T0_EENS4_IKS5_S6_EEllS6_.num_agpr, 0
	.set _ZN2at6native16triu_tril_kernelIsiLb0ELi4ELb0EEEvNS_4cuda6detail10TensorInfoIT_T0_EENS4_IKS5_S6_EEllS6_.numbered_sgpr, 78
	.set _ZN2at6native16triu_tril_kernelIsiLb0ELi4ELb0EEEvNS_4cuda6detail10TensorInfoIT_T0_EENS4_IKS5_S6_EEllS6_.num_named_barrier, 0
	.set _ZN2at6native16triu_tril_kernelIsiLb0ELi4ELb0EEEvNS_4cuda6detail10TensorInfoIT_T0_EENS4_IKS5_S6_EEllS6_.private_seg_size, 0
	.set _ZN2at6native16triu_tril_kernelIsiLb0ELi4ELb0EEEvNS_4cuda6detail10TensorInfoIT_T0_EENS4_IKS5_S6_EEllS6_.uses_vcc, 1
	.set _ZN2at6native16triu_tril_kernelIsiLb0ELi4ELb0EEEvNS_4cuda6detail10TensorInfoIT_T0_EENS4_IKS5_S6_EEllS6_.uses_flat_scratch, 0
	.set _ZN2at6native16triu_tril_kernelIsiLb0ELi4ELb0EEEvNS_4cuda6detail10TensorInfoIT_T0_EENS4_IKS5_S6_EEllS6_.has_dyn_sized_stack, 0
	.set _ZN2at6native16triu_tril_kernelIsiLb0ELi4ELb0EEEvNS_4cuda6detail10TensorInfoIT_T0_EENS4_IKS5_S6_EEllS6_.has_recursion, 0
	.set _ZN2at6native16triu_tril_kernelIsiLb0ELi4ELb0EEEvNS_4cuda6detail10TensorInfoIT_T0_EENS4_IKS5_S6_EEllS6_.has_indirect_call, 0
	.section	.AMDGPU.csdata,"",@progbits
; Kernel info:
; codeLenInByte = 8748
; TotalNumSgprs: 80
; NumVgprs: 26
; ScratchSize: 0
; MemoryBound: 0
; FloatMode: 240
; IeeeMode: 1
; LDSByteSize: 0 bytes/workgroup (compile time only)
; SGPRBlocks: 0
; VGPRBlocks: 3
; NumSGPRsForWavesPerEU: 80
; NumVGPRsForWavesPerEU: 26
; Occupancy: 16
; WaveLimiterHint : 1
; COMPUTE_PGM_RSRC2:SCRATCH_EN: 0
; COMPUTE_PGM_RSRC2:USER_SGPR: 2
; COMPUTE_PGM_RSRC2:TRAP_HANDLER: 0
; COMPUTE_PGM_RSRC2:TGID_X_EN: 1
; COMPUTE_PGM_RSRC2:TGID_Y_EN: 0
; COMPUTE_PGM_RSRC2:TGID_Z_EN: 0
; COMPUTE_PGM_RSRC2:TIDIG_COMP_CNT: 0
	.section	.text._ZN2at6native16triu_tril_kernelIslLb0ELi4ELb1EEEvNS_4cuda6detail10TensorInfoIT_T0_EENS4_IKS5_S6_EEllS6_,"axG",@progbits,_ZN2at6native16triu_tril_kernelIslLb0ELi4ELb1EEEvNS_4cuda6detail10TensorInfoIT_T0_EENS4_IKS5_S6_EEllS6_,comdat
	.protected	_ZN2at6native16triu_tril_kernelIslLb0ELi4ELb1EEEvNS_4cuda6detail10TensorInfoIT_T0_EENS4_IKS5_S6_EEllS6_ ; -- Begin function _ZN2at6native16triu_tril_kernelIslLb0ELi4ELb1EEEvNS_4cuda6detail10TensorInfoIT_T0_EENS4_IKS5_S6_EEllS6_
	.globl	_ZN2at6native16triu_tril_kernelIslLb0ELi4ELb1EEEvNS_4cuda6detail10TensorInfoIT_T0_EENS4_IKS5_S6_EEllS6_
	.p2align	8
	.type	_ZN2at6native16triu_tril_kernelIslLb0ELi4ELb1EEEvNS_4cuda6detail10TensorInfoIT_T0_EENS4_IKS5_S6_EEllS6_,@function
_ZN2at6native16triu_tril_kernelIslLb0ELi4ELb1EEEvNS_4cuda6detail10TensorInfoIT_T0_EENS4_IKS5_S6_EEllS6_: ; @_ZN2at6native16triu_tril_kernelIslLb0ELi4ELb1EEEvNS_4cuda6detail10TensorInfoIT_T0_EENS4_IKS5_S6_EEllS6_
; %bb.0:
	s_clause 0x1
	s_load_b32 s2, s[0:1], 0x364
	s_load_b128 s[4:7], s[0:1], 0x340
	v_mov_b32_e32 v2, 0
	s_mov_b32 s3, exec_lo
	s_delay_alu instid0(VALU_DEP_1)
	v_mov_b32_e32 v1, v2
	s_wait_kmcnt 0x0
	s_and_b32 s2, s2, 0xffff
	s_delay_alu instid0(VALU_DEP_1) | instid1(SALU_CYCLE_1)
	v_mad_co_u64_u32 v[0:1], null, s2, ttmp9, v[0:1]
	s_delay_alu instid0(VALU_DEP_1) | instskip(NEXT) | instid1(VALU_DEP_1)
	v_lshlrev_b64_e32 v[0:1], 2, v[0:1]
	v_cmpx_gt_i64_e64 s[6:7], v[0:1]
	s_cbranch_execz .LBB18_49
; %bb.1:
	s_load_b32 s22, s[0:1], 0x338
	s_add_nc_u64 s[12:13], s[0:1], 0x358
	s_clause 0x1
	s_load_b64 s[8:9], s[0:1], 0x350
	s_load_b64 s[10:11], s[0:1], 0x0
	s_add_nc_u64 s[28:29], s[0:1], 0x1a0
	s_load_b32 s3, s[12:13], 0x0
	s_movk_i32 s18, 0xffe0
	s_add_nc_u64 s[16:17], s[0:1], 0xb8
	s_mov_b32 s19, -1
	s_add_nc_u64 s[34:35], s[0:1], 0x190
	s_mov_b32 s65, 0
	s_wait_kmcnt 0x0
	s_add_co_i32 s14, s22, -2
	v_cvt_f32_u32_e32 v3, s8
	s_ashr_i32 s15, s14, 31
	s_add_co_i32 s20, s22, -3
	s_lshl_b64 s[12:13], s[14:15], 3
	s_ashr_i32 s23, s22, 31
	s_add_nc_u64 s[12:13], s[28:29], s[12:13]
	v_rcp_iflag_f32_e32 v3, v3
	s_load_b64 s[12:13], s[12:13], 0x8
	s_mul_i32 s24, s3, s2
	s_and_b32 s25, s20, 3
	s_lshl_b64 s[2:3], s[22:23], 3
	s_ashr_i32 s21, s20, 31
	s_and_b32 s14, s14, 3
	s_lshl_b32 s62, s24, 2
	s_cmp_lg_u32 s25, 3
	v_cmp_gt_i64_e64 s33, s[22:23], 2
	s_cselect_b32 s63, -1, 0
	s_cmp_gt_u32 s20, 2
	s_wait_alu 0xfffe
	s_add_nc_u64 s[22:23], s[0:1], s[2:3]
	s_add_nc_u64 s[24:25], s[28:29], s[2:3]
	s_cselect_b32 s64, -1, 0
	s_lshl_b64 s[2:3], s[20:21], 3
	s_mov_b32 s15, 0
	s_wait_alu 0xfffe
	s_add_nc_u64 s[30:31], s[0:1], s[2:3]
	s_add_nc_u64 s[2:3], s[28:29], s[2:3]
	s_mov_b64 s[26:27], s[14:15]
	s_add_nc_u64 s[28:29], s[30:31], 0xd0
	s_wait_kmcnt 0x0
	v_cvt_f32_u32_e32 v4, s12
	s_wait_alu 0xfffe
	s_add_nc_u64 s[30:31], s[2:3], 8
	s_ashr_i32 s36, s9, 31
	s_delay_alu instid0(VALU_DEP_1) | instskip(NEXT) | instid1(TRANS32_DEP_1)
	v_rcp_iflag_f32_e32 v4, v4
	v_dual_mul_f32 v3, 0x4f7ffffe, v3 :: v_dual_mul_f32 v4, 0x4f7ffffe, v4
	s_delay_alu instid0(VALU_DEP_1) | instskip(NEXT) | instid1(VALU_DEP_2)
	v_cvt_u32_f32_e32 v20, v3
	v_cvt_u32_f32_e32 v21, v4
	s_branch .LBB18_3
.LBB18_2:                               ;   in Loop: Header=BB18_3 Depth=1
	s_wait_alu 0xfffe
	s_or_b32 exec_lo, exec_lo, s37
	v_add_co_u32 v0, vcc_lo, v0, s62
	s_wait_alu 0xfffd
	v_add_co_ci_u32_e64 v1, null, 0, v1, vcc_lo
	s_delay_alu instid0(VALU_DEP_1) | instskip(SKIP_1) | instid1(SALU_CYCLE_1)
	v_cmp_le_i64_e32 vcc_lo, s[6:7], v[0:1]
	s_or_b32 s65, vcc_lo, s65
	s_and_not1_b32 exec_lo, exec_lo, s65
	s_cbranch_execz .LBB18_49
.LBB18_3:                               ; =>This Loop Header: Depth=1
                                        ;     Child Loop BB18_17 Depth 2
                                        ;     Child Loop BB18_22 Depth 2
	v_or_b32_e32 v3, s9, v1
                                        ; implicit-def: $vgpr6_vgpr7
	s_mov_b32 s0, exec_lo
	s_delay_alu instid0(VALU_DEP_1)
	v_cmpx_ne_u64_e32 0, v[2:3]
	s_wait_alu 0xfffe
	s_xor_b32 s1, exec_lo, s0
	s_cbranch_execz .LBB18_5
; %bb.4:                                ;   in Loop: Header=BB18_3 Depth=1
	s_mov_b32 s37, s36
	v_ashrrev_i32_e32 v9, 31, v1
	s_wait_alu 0xfffe
	s_add_nc_u64 s[2:3], s[8:9], s[36:37]
	s_wait_alu 0xfffe
	s_xor_b64 s[2:3], s[2:3], s[36:37]
	v_add_co_u32 v3, vcc_lo, v0, v9
	s_wait_alu 0xfffe
	s_cvt_f32_u32 s0, s2
	s_cvt_f32_u32 s14, s3
	s_sub_nc_u64 s[40:41], 0, s[2:3]
	s_wait_alu 0xfffd
	v_add_co_ci_u32_e64 v4, null, v1, v9, vcc_lo
	s_wait_alu 0xfffe
	s_fmamk_f32 s0, s14, 0x4f800000, s0
	v_xor_b32_e32 v10, v3, v9
	s_delay_alu instid0(VALU_DEP_2) | instskip(SKIP_2) | instid1(TRANS32_DEP_1)
	v_xor_b32_e32 v11, v4, v9
	s_wait_alu 0xfffe
	v_s_rcp_f32 s0, s0
	s_mul_f32 s0, s0, 0x5f7ffffc
	s_wait_alu 0xfffe
	s_delay_alu instid0(SALU_CYCLE_2) | instskip(SKIP_1) | instid1(SALU_CYCLE_2)
	s_mul_f32 s14, s0, 0x2f800000
	s_wait_alu 0xfffe
	s_trunc_f32 s14, s14
	s_wait_alu 0xfffe
	s_delay_alu instid0(SALU_CYCLE_2) | instskip(SKIP_2) | instid1(SALU_CYCLE_1)
	s_fmamk_f32 s0, s14, 0xcf800000, s0
	s_cvt_u32_f32 s39, s14
	s_wait_alu 0xfffe
	s_cvt_u32_f32 s38, s0
	s_wait_alu 0xfffe
	s_delay_alu instid0(SALU_CYCLE_2) | instskip(NEXT) | instid1(SALU_CYCLE_1)
	s_mul_u64 s[42:43], s[40:41], s[38:39]
	s_mul_hi_u32 s45, s38, s43
	s_mul_i32 s44, s38, s43
	s_mul_hi_u32 s14, s38, s42
	s_mul_i32 s37, s39, s42
	s_wait_alu 0xfffe
	s_add_nc_u64 s[44:45], s[14:15], s[44:45]
	s_mul_hi_u32 s0, s39, s42
	s_mul_hi_u32 s46, s39, s43
	s_wait_alu 0xfffe
	s_add_co_u32 s14, s44, s37
	s_add_co_ci_u32 s14, s45, s0
	s_mul_i32 s42, s39, s43
	s_add_co_ci_u32 s43, s46, 0
	s_wait_alu 0xfffe
	s_add_nc_u64 s[42:43], s[14:15], s[42:43]
	s_delay_alu instid0(SALU_CYCLE_1)
	s_add_co_u32 s38, s38, s42
	s_cselect_b32 s0, -1, 0
	s_wait_alu 0xfffe
	s_cmp_lg_u32 s0, 0
	s_add_co_ci_u32 s39, s39, s43
	s_wait_alu 0xfffe
	s_mul_u64 s[40:41], s[40:41], s[38:39]
	s_wait_alu 0xfffe
	s_mul_hi_u32 s43, s38, s41
	s_mul_i32 s42, s38, s41
	s_mul_hi_u32 s14, s38, s40
	s_mul_i32 s37, s39, s40
	s_wait_alu 0xfffe
	s_add_nc_u64 s[42:43], s[14:15], s[42:43]
	s_mul_hi_u32 s0, s39, s40
	s_mul_hi_u32 s44, s39, s41
	s_add_co_u32 s14, s42, s37
	s_wait_alu 0xfffe
	s_add_co_ci_u32 s14, s43, s0
	s_mul_i32 s40, s39, s41
	s_add_co_ci_u32 s41, s44, 0
	s_wait_alu 0xfffe
	s_add_nc_u64 s[40:41], s[14:15], s[40:41]
	s_wait_alu 0xfffe
	s_add_co_u32 s0, s38, s40
	s_cselect_b32 s14, -1, 0
	s_wait_alu 0xfffe
	v_mul_hi_u32 v12, v10, s0
	s_cmp_lg_u32 s14, 0
	v_mad_co_u64_u32 v[5:6], null, v11, s0, 0
	s_add_co_ci_u32 s14, s39, s41
	s_wait_alu 0xfffe
	v_mad_co_u64_u32 v[3:4], null, v10, s14, 0
	v_mad_co_u64_u32 v[7:8], null, v11, s14, 0
	s_delay_alu instid0(VALU_DEP_2) | instskip(SKIP_1) | instid1(VALU_DEP_3)
	v_add_co_u32 v3, vcc_lo, v12, v3
	s_wait_alu 0xfffd
	v_add_co_ci_u32_e64 v4, null, 0, v4, vcc_lo
	s_delay_alu instid0(VALU_DEP_2) | instskip(SKIP_1) | instid1(VALU_DEP_2)
	v_add_co_u32 v3, vcc_lo, v3, v5
	s_wait_alu 0xfffd
	v_add_co_ci_u32_e32 v3, vcc_lo, v4, v6, vcc_lo
	s_wait_alu 0xfffd
	v_add_co_ci_u32_e32 v4, vcc_lo, 0, v8, vcc_lo
	s_delay_alu instid0(VALU_DEP_2) | instskip(SKIP_1) | instid1(VALU_DEP_2)
	v_add_co_u32 v5, vcc_lo, v3, v7
	s_wait_alu 0xfffd
	v_add_co_ci_u32_e64 v6, null, 0, v4, vcc_lo
	s_delay_alu instid0(VALU_DEP_2) | instskip(SKIP_1) | instid1(VALU_DEP_3)
	v_mul_lo_u32 v7, s3, v5
	v_mad_co_u64_u32 v[3:4], null, s2, v5, 0
	v_mul_lo_u32 v8, s2, v6
	s_delay_alu instid0(VALU_DEP_2) | instskip(NEXT) | instid1(VALU_DEP_2)
	v_sub_co_u32 v3, vcc_lo, v10, v3
	v_add3_u32 v4, v4, v8, v7
	v_add_co_u32 v8, s0, v5, 2
	s_wait_alu 0xf1ff
	v_add_co_ci_u32_e64 v10, null, 0, v6, s0
	s_delay_alu instid0(VALU_DEP_3) | instskip(SKIP_3) | instid1(VALU_DEP_3)
	v_sub_nc_u32_e32 v7, v11, v4
	v_sub_co_u32 v12, s0, v3, s2
	s_wait_alu 0xfffd
	v_sub_co_ci_u32_e64 v4, null, v11, v4, vcc_lo
	v_subrev_co_ci_u32_e64 v7, null, s3, v7, vcc_lo
	s_delay_alu instid0(VALU_DEP_3) | instskip(SKIP_1) | instid1(VALU_DEP_2)
	v_cmp_le_u32_e32 vcc_lo, s2, v12
	s_wait_alu 0xf1ff
	v_subrev_co_ci_u32_e64 v7, null, 0, v7, s0
	s_wait_alu 0xfffd
	v_cndmask_b32_e64 v11, 0, -1, vcc_lo
	s_delay_alu instid0(VALU_DEP_2)
	v_cmp_le_u32_e32 vcc_lo, s3, v7
	s_wait_alu 0xfffd
	v_cndmask_b32_e64 v12, 0, -1, vcc_lo
	v_cmp_le_u32_e32 vcc_lo, s2, v3
	s_wait_alu 0xfffd
	v_cndmask_b32_e64 v3, 0, -1, vcc_lo
	;; [unrolled: 3-line block ×3, first 2 shown]
	v_cmp_eq_u32_e32 vcc_lo, s3, v7
	s_wait_alu 0xfffd
	v_cndmask_b32_e32 v7, v12, v11, vcc_lo
	v_add_co_u32 v11, vcc_lo, v5, 1
	s_wait_alu 0xfffd
	v_add_co_ci_u32_e64 v12, null, 0, v6, vcc_lo
	v_cmp_eq_u32_e32 vcc_lo, s3, v4
	s_wait_alu 0xfffd
	v_cndmask_b32_e32 v3, v13, v3, vcc_lo
	v_cmp_ne_u32_e32 vcc_lo, 0, v7
	v_xor_b32_e32 v7, s36, v9
	s_wait_alu 0xfffd
	v_cndmask_b32_e32 v4, v12, v10, vcc_lo
	v_cmp_ne_u32_e64 s0, 0, v3
	v_cndmask_b32_e32 v3, v11, v8, vcc_lo
	s_wait_alu 0xf1ff
	s_delay_alu instid0(VALU_DEP_2) | instskip(NEXT) | instid1(VALU_DEP_2)
	v_cndmask_b32_e64 v4, v6, v4, s0
	v_cndmask_b32_e64 v3, v5, v3, s0
	s_delay_alu instid0(VALU_DEP_2) | instskip(NEXT) | instid1(VALU_DEP_2)
	v_xor_b32_e32 v4, v4, v7
	v_xor_b32_e32 v3, v3, v7
	s_delay_alu instid0(VALU_DEP_1) | instskip(SKIP_1) | instid1(VALU_DEP_3)
	v_sub_co_u32 v6, vcc_lo, v3, v7
	s_wait_alu 0xfffd
	v_sub_co_ci_u32_e64 v7, null, v4, v7, vcc_lo
.LBB18_5:                               ;   in Loop: Header=BB18_3 Depth=1
	s_wait_alu 0xfffe
	s_and_not1_saveexec_b32 s0, s1
	s_cbranch_execz .LBB18_7
; %bb.6:                                ;   in Loop: Header=BB18_3 Depth=1
	s_sub_co_i32 s1, 0, s8
	v_mov_b32_e32 v7, v2
	s_wait_alu 0xfffe
	v_mul_lo_u32 v3, s1, v20
	s_delay_alu instid0(VALU_DEP_1) | instskip(NEXT) | instid1(VALU_DEP_1)
	v_mul_hi_u32 v3, v20, v3
	v_add_nc_u32_e32 v3, v20, v3
	s_delay_alu instid0(VALU_DEP_1) | instskip(NEXT) | instid1(VALU_DEP_1)
	v_mul_hi_u32 v3, v0, v3
	v_mul_lo_u32 v4, v3, s8
	s_delay_alu instid0(VALU_DEP_1) | instskip(NEXT) | instid1(VALU_DEP_1)
	v_sub_nc_u32_e32 v4, v0, v4
	v_subrev_nc_u32_e32 v6, s8, v4
	v_cmp_le_u32_e32 vcc_lo, s8, v4
	s_wait_alu 0xfffd
	s_delay_alu instid0(VALU_DEP_2) | instskip(NEXT) | instid1(VALU_DEP_1)
	v_dual_cndmask_b32 v4, v4, v6 :: v_dual_add_nc_u32 v5, 1, v3
	v_cndmask_b32_e32 v3, v3, v5, vcc_lo
	s_delay_alu instid0(VALU_DEP_2) | instskip(NEXT) | instid1(VALU_DEP_2)
	v_cmp_le_u32_e32 vcc_lo, s8, v4
	v_add_nc_u32_e32 v5, 1, v3
	s_wait_alu 0xfffd
	s_delay_alu instid0(VALU_DEP_1)
	v_cndmask_b32_e32 v6, v3, v5, vcc_lo
.LBB18_7:                               ;   in Loop: Header=BB18_3 Depth=1
	s_wait_alu 0xfffe
	s_or_b32 exec_lo, exec_lo, s0
	v_or_b32_e32 v3, s13, v7
                                        ; implicit-def: $vgpr8_vgpr9
	s_mov_b32 s0, exec_lo
	s_delay_alu instid0(VALU_DEP_1)
	v_cmpx_ne_u64_e32 0, v[2:3]
	s_wait_alu 0xfffe
	s_xor_b32 s1, exec_lo, s0
	s_cbranch_execz .LBB18_9
; %bb.8:                                ;   in Loop: Header=BB18_3 Depth=1
	s_ashr_i32 s2, s13, 31
	v_ashrrev_i32_e32 v5, 31, v7
	s_wait_alu 0xfffe
	s_mov_b32 s3, s2
	s_wait_alu 0xfffe
	s_add_nc_u64 s[38:39], s[12:13], s[2:3]
	v_add_co_u32 v3, vcc_lo, v6, v5
	s_wait_alu 0xfffe
	s_xor_b64 s[38:39], s[38:39], s[2:3]
	s_wait_alu 0xfffd
	v_add_co_ci_u32_e64 v4, null, v7, v5, vcc_lo
	s_wait_alu 0xfffe
	s_cvt_f32_u32 s0, s38
	s_cvt_f32_u32 s3, s39
	s_sub_nc_u64 s[42:43], 0, s[38:39]
	v_xor_b32_e32 v12, v3, v5
	v_xor_b32_e32 v13, v4, v5
	s_wait_alu 0xfffe
	s_fmamk_f32 s0, s3, 0x4f800000, s0
	v_xor_b32_e32 v5, s2, v5
	s_wait_alu 0xfffe
	s_delay_alu instid0(SALU_CYCLE_1) | instskip(NEXT) | instid1(TRANS32_DEP_1)
	v_s_rcp_f32 s0, s0
	s_mul_f32 s0, s0, 0x5f7ffffc
	s_wait_alu 0xfffe
	s_delay_alu instid0(SALU_CYCLE_2) | instskip(SKIP_1) | instid1(SALU_CYCLE_2)
	s_mul_f32 s3, s0, 0x2f800000
	s_wait_alu 0xfffe
	s_trunc_f32 s3, s3
	s_wait_alu 0xfffe
	s_delay_alu instid0(SALU_CYCLE_2) | instskip(SKIP_2) | instid1(SALU_CYCLE_1)
	s_fmamk_f32 s0, s3, 0xcf800000, s0
	s_cvt_u32_f32 s41, s3
	s_wait_alu 0xfffe
	s_cvt_u32_f32 s40, s0
	s_wait_alu 0xfffe
	s_delay_alu instid0(SALU_CYCLE_2)
	s_mul_u64 s[44:45], s[42:43], s[40:41]
	s_wait_alu 0xfffe
	s_mul_hi_u32 s47, s40, s45
	s_mul_i32 s46, s40, s45
	s_mul_hi_u32 s14, s40, s44
	s_mul_i32 s3, s41, s44
	s_wait_alu 0xfffe
	s_add_nc_u64 s[46:47], s[14:15], s[46:47]
	s_mul_hi_u32 s0, s41, s44
	s_mul_hi_u32 s37, s41, s45
	s_wait_alu 0xfffe
	s_add_co_u32 s3, s46, s3
	s_add_co_ci_u32 s14, s47, s0
	s_mul_i32 s44, s41, s45
	s_add_co_ci_u32 s45, s37, 0
	s_wait_alu 0xfffe
	s_add_nc_u64 s[44:45], s[14:15], s[44:45]
	s_wait_alu 0xfffe
	s_add_co_u32 s40, s40, s44
	s_cselect_b32 s0, -1, 0
	s_wait_alu 0xfffe
	s_cmp_lg_u32 s0, 0
	s_add_co_ci_u32 s41, s41, s45
	s_wait_alu 0xfffe
	s_mul_u64 s[42:43], s[42:43], s[40:41]
	s_delay_alu instid0(SALU_CYCLE_1)
	s_mul_hi_u32 s45, s40, s43
	s_mul_i32 s44, s40, s43
	s_mul_hi_u32 s14, s40, s42
	s_mul_i32 s3, s41, s42
	s_wait_alu 0xfffe
	s_add_nc_u64 s[44:45], s[14:15], s[44:45]
	s_mul_hi_u32 s0, s41, s42
	s_mul_hi_u32 s37, s41, s43
	s_wait_alu 0xfffe
	s_add_co_u32 s3, s44, s3
	s_add_co_ci_u32 s14, s45, s0
	s_mul_i32 s42, s41, s43
	s_add_co_ci_u32 s43, s37, 0
	s_wait_alu 0xfffe
	s_add_nc_u64 s[42:43], s[14:15], s[42:43]
	s_delay_alu instid0(SALU_CYCLE_1)
	s_add_co_u32 s0, s40, s42
	s_cselect_b32 s3, -1, 0
	s_wait_alu 0xfffe
	v_mul_hi_u32 v14, v12, s0
	s_cmp_lg_u32 s3, 0
	v_mad_co_u64_u32 v[8:9], null, v13, s0, 0
	s_add_co_ci_u32 s3, s41, s43
	s_wait_alu 0xfffe
	v_mad_co_u64_u32 v[3:4], null, v12, s3, 0
	v_mad_co_u64_u32 v[10:11], null, v13, s3, 0
	s_delay_alu instid0(VALU_DEP_2) | instskip(SKIP_1) | instid1(VALU_DEP_3)
	v_add_co_u32 v3, vcc_lo, v14, v3
	s_wait_alu 0xfffd
	v_add_co_ci_u32_e64 v4, null, 0, v4, vcc_lo
	s_delay_alu instid0(VALU_DEP_2) | instskip(SKIP_1) | instid1(VALU_DEP_2)
	v_add_co_u32 v3, vcc_lo, v3, v8
	s_wait_alu 0xfffd
	v_add_co_ci_u32_e32 v3, vcc_lo, v4, v9, vcc_lo
	s_wait_alu 0xfffd
	v_add_co_ci_u32_e32 v4, vcc_lo, 0, v11, vcc_lo
	s_delay_alu instid0(VALU_DEP_2) | instskip(SKIP_1) | instid1(VALU_DEP_2)
	v_add_co_u32 v8, vcc_lo, v3, v10
	s_wait_alu 0xfffd
	v_add_co_ci_u32_e64 v9, null, 0, v4, vcc_lo
	s_delay_alu instid0(VALU_DEP_2) | instskip(SKIP_1) | instid1(VALU_DEP_3)
	v_mul_lo_u32 v10, s39, v8
	v_mad_co_u64_u32 v[3:4], null, s38, v8, 0
	v_mul_lo_u32 v11, s38, v9
	s_delay_alu instid0(VALU_DEP_2) | instskip(NEXT) | instid1(VALU_DEP_2)
	v_sub_co_u32 v3, vcc_lo, v12, v3
	v_add3_u32 v4, v4, v11, v10
	v_add_co_u32 v11, s0, v8, 2
	s_wait_alu 0xf1ff
	v_add_co_ci_u32_e64 v12, null, 0, v9, s0
	s_delay_alu instid0(VALU_DEP_3) | instskip(SKIP_3) | instid1(VALU_DEP_3)
	v_sub_nc_u32_e32 v10, v13, v4
	v_sub_co_u32 v14, s0, v3, s38
	s_wait_alu 0xfffd
	v_sub_co_ci_u32_e64 v4, null, v13, v4, vcc_lo
	v_subrev_co_ci_u32_e64 v10, null, s39, v10, vcc_lo
	s_delay_alu instid0(VALU_DEP_3) | instskip(SKIP_1) | instid1(VALU_DEP_2)
	v_cmp_le_u32_e32 vcc_lo, s38, v14
	s_wait_alu 0xf1ff
	v_subrev_co_ci_u32_e64 v10, null, 0, v10, s0
	s_wait_alu 0xfffd
	v_cndmask_b32_e64 v13, 0, -1, vcc_lo
	s_delay_alu instid0(VALU_DEP_2)
	v_cmp_le_u32_e32 vcc_lo, s39, v10
	s_wait_alu 0xfffd
	v_cndmask_b32_e64 v14, 0, -1, vcc_lo
	v_cmp_le_u32_e32 vcc_lo, s38, v3
	s_wait_alu 0xfffd
	v_cndmask_b32_e64 v3, 0, -1, vcc_lo
	;; [unrolled: 3-line block ×3, first 2 shown]
	v_cmp_eq_u32_e32 vcc_lo, s39, v10
	s_wait_alu 0xfffd
	v_cndmask_b32_e32 v10, v14, v13, vcc_lo
	v_add_co_u32 v13, vcc_lo, v8, 1
	s_wait_alu 0xfffd
	v_add_co_ci_u32_e64 v14, null, 0, v9, vcc_lo
	v_cmp_eq_u32_e32 vcc_lo, s39, v4
	s_wait_alu 0xfffd
	v_cndmask_b32_e32 v3, v15, v3, vcc_lo
	v_cmp_ne_u32_e32 vcc_lo, 0, v10
	s_delay_alu instid0(VALU_DEP_2) | instskip(SKIP_3) | instid1(VALU_DEP_1)
	v_cmp_ne_u32_e64 s0, 0, v3
	s_wait_alu 0xfffd
	v_dual_cndmask_b32 v4, v14, v12 :: v_dual_cndmask_b32 v3, v13, v11
	s_wait_alu 0xf1ff
	v_cndmask_b32_e64 v4, v9, v4, s0
	s_delay_alu instid0(VALU_DEP_2) | instskip(NEXT) | instid1(VALU_DEP_2)
	v_cndmask_b32_e64 v3, v8, v3, s0
	v_xor_b32_e32 v4, v4, v5
	s_delay_alu instid0(VALU_DEP_2) | instskip(NEXT) | instid1(VALU_DEP_1)
	v_xor_b32_e32 v3, v3, v5
	v_sub_co_u32 v8, vcc_lo, v3, v5
	s_wait_alu 0xfffd
	s_delay_alu instid0(VALU_DEP_3)
	v_sub_co_ci_u32_e64 v9, null, v4, v5, vcc_lo
.LBB18_9:                               ;   in Loop: Header=BB18_3 Depth=1
	s_wait_alu 0xfffe
	s_and_not1_saveexec_b32 s0, s1
	s_cbranch_execz .LBB18_11
; %bb.10:                               ;   in Loop: Header=BB18_3 Depth=1
	s_sub_co_i32 s1, 0, s12
	v_mov_b32_e32 v9, v2
	s_wait_alu 0xfffe
	v_mul_lo_u32 v3, s1, v21
	s_delay_alu instid0(VALU_DEP_1) | instskip(NEXT) | instid1(VALU_DEP_1)
	v_mul_hi_u32 v3, v21, v3
	v_add_nc_u32_e32 v3, v21, v3
	s_delay_alu instid0(VALU_DEP_1) | instskip(NEXT) | instid1(VALU_DEP_1)
	v_mul_hi_u32 v3, v6, v3
	v_mul_lo_u32 v4, v3, s12
	v_add_nc_u32_e32 v5, 1, v3
	s_delay_alu instid0(VALU_DEP_2) | instskip(NEXT) | instid1(VALU_DEP_1)
	v_sub_nc_u32_e32 v4, v6, v4
	v_subrev_nc_u32_e32 v8, s12, v4
	v_cmp_le_u32_e32 vcc_lo, s12, v4
	s_wait_alu 0xfffd
	s_delay_alu instid0(VALU_DEP_2) | instskip(NEXT) | instid1(VALU_DEP_1)
	v_dual_cndmask_b32 v4, v4, v8 :: v_dual_cndmask_b32 v3, v3, v5
	v_cmp_le_u32_e32 vcc_lo, s12, v4
	s_delay_alu instid0(VALU_DEP_2) | instskip(SKIP_1) | instid1(VALU_DEP_1)
	v_add_nc_u32_e32 v5, 1, v3
	s_wait_alu 0xfffd
	v_cndmask_b32_e32 v8, v3, v5, vcc_lo
.LBB18_11:                              ;   in Loop: Header=BB18_3 Depth=1
	s_wait_alu 0xfffe
	s_or_b32 exec_lo, exec_lo, s0
	v_mul_lo_u32 v5, v7, s8
	v_mul_lo_u32 v12, v6, s9
	v_mad_co_u64_u32 v[3:4], null, v6, s8, 0
	v_mul_lo_u32 v13, v9, s12
	v_mul_lo_u32 v14, v8, s13
	v_mad_co_u64_u32 v[10:11], null, v8, s12, 0
	s_mov_b32 s37, exec_lo
	v_add3_u32 v5, v4, v12, v5
	v_sub_co_u32 v4, vcc_lo, v0, v3
	v_add3_u32 v11, v11, v14, v13
	s_wait_alu 0xfffd
	s_delay_alu instid0(VALU_DEP_3) | instskip(SKIP_3) | instid1(VALU_DEP_2)
	v_sub_co_ci_u32_e64 v5, null, v1, v5, vcc_lo
	v_sub_co_u32 v22, vcc_lo, v6, v10
	s_wait_alu 0xfffd
	v_sub_co_ci_u32_e64 v23, null, v7, v11, vcc_lo
	v_sub_co_u32 v6, vcc_lo, v4, v22
	s_wait_alu 0xfffd
	s_delay_alu instid0(VALU_DEP_2) | instskip(NEXT) | instid1(VALU_DEP_2)
	v_sub_co_ci_u32_e64 v7, null, v5, v23, vcc_lo
	v_add_co_u32 v10, vcc_lo, v6, 4
	s_wait_alu 0xfffd
	s_delay_alu instid0(VALU_DEP_2) | instskip(NEXT) | instid1(VALU_DEP_1)
	v_add_co_ci_u32_e64 v11, null, 0, v7, vcc_lo
	v_cmpx_lt_i64_e64 s[4:5], v[10:11]
	s_cbranch_execz .LBB18_2
; %bb.12:                               ;   in Loop: Header=BB18_3 Depth=1
	s_load_b128 s[0:3], s[22:23], 0xc0
	s_and_not1_b32 vcc_lo, exec_lo, s33
	s_wait_kmcnt 0x0
	v_mul_lo_u32 v3, s3, v4
	v_mul_lo_u32 v12, s2, v5
	v_mad_co_u64_u32 v[10:11], null, s2, v4, 0
	s_delay_alu instid0(VALU_DEP_1) | instskip(SKIP_2) | instid1(VALU_DEP_3)
	v_add3_u32 v11, v11, v12, v3
	v_mul_lo_u32 v3, s0, v23
	v_mul_lo_u32 v12, s1, v22
	v_mad_co_u64_u32 v[10:11], null, s0, v22, v[10:11]
	s_delay_alu instid0(VALU_DEP_1)
	v_add3_u32 v11, v12, v11, v3
	s_wait_alu 0xfffe
	s_cbranch_vccnz .LBB18_38
; %bb.13:                               ;   in Loop: Header=BB18_3 Depth=1
	s_mov_b64 s[38:39], s[26:27]
	s_mov_b64 s[40:41], s[30:31]
	s_and_not1_b32 vcc_lo, exec_lo, s63
	s_mov_b64 s[44:45], s[28:29]
	s_mov_b64 s[42:43], s[20:21]
	s_wait_alu 0xfffe
	s_cbranch_vccz .LBB18_17
.LBB18_14:                              ;   in Loop: Header=BB18_3 Depth=1
	s_and_not1_b32 vcc_lo, exec_lo, s64
	s_wait_alu 0xfffe
	s_cbranch_vccnz .LBB18_38
; %bb.15:                               ;   in Loop: Header=BB18_3 Depth=1
	s_lshl_b64 s[0:1], s[42:43], 3
	s_add_nc_u64 s[42:43], s[42:43], 1
	s_wait_alu 0xfffe
	s_add_nc_u64 s[38:39], s[16:17], s[0:1]
	s_add_nc_u64 s[40:41], s[34:35], s[0:1]
	s_branch .LBB18_22
.LBB18_16:                              ;   in Loop: Header=BB18_17 Depth=2
	s_wait_alu 0xfffe
	s_or_b32 exec_lo, exec_lo, s0
	s_load_b64 s[0:1], s[44:45], 0x0
	v_mul_lo_u32 v3, v13, s46
	v_mul_lo_u32 v16, v12, s47
	v_mad_co_u64_u32 v[14:15], null, v12, s46, 0
	s_add_nc_u64 s[38:39], s[38:39], -1
	s_add_nc_u64 s[42:43], s[42:43], -1
	;; [unrolled: 1-line block ×3, first 2 shown]
	s_wait_alu 0xfffe
	s_cmp_lg_u64 s[38:39], 0
	s_add_nc_u64 s[40:41], s[40:41], -8
	v_add3_u32 v3, v15, v16, v3
	v_sub_co_u32 v8, vcc_lo, v8, v14
	s_wait_alu 0xfffd
	s_delay_alu instid0(VALU_DEP_2) | instskip(SKIP_1) | instid1(VALU_DEP_2)
	v_sub_co_ci_u32_e64 v3, null, v9, v3, vcc_lo
	s_wait_kmcnt 0x0
	v_mul_lo_u32 v9, s1, v8
	s_delay_alu instid0(VALU_DEP_2) | instskip(SKIP_1) | instid1(VALU_DEP_1)
	v_mul_lo_u32 v3, s0, v3
	v_mad_co_u64_u32 v[10:11], null, s0, v8, v[10:11]
	v_add3_u32 v11, v9, v11, v3
	v_dual_mov_b32 v8, v12 :: v_dual_mov_b32 v9, v13
	s_cbranch_scc0 .LBB18_14
.LBB18_17:                              ;   Parent Loop BB18_3 Depth=1
                                        ; =>  This Inner Loop Header: Depth=2
	s_load_b64 s[46:47], s[40:41], 0x0
                                        ; implicit-def: $vgpr12_vgpr13
	s_mov_b32 s0, exec_lo
	s_wait_kmcnt 0x0
	v_or_b32_e32 v3, s47, v9
	s_delay_alu instid0(VALU_DEP_1)
	v_cmpx_ne_u64_e32 0, v[2:3]
	s_wait_alu 0xfffe
	s_xor_b32 s1, exec_lo, s0
	s_cbranch_execz .LBB18_19
; %bb.18:                               ;   in Loop: Header=BB18_17 Depth=2
	s_ashr_i32 s48, s47, 31
	v_ashrrev_i32_e32 v3, 31, v9
	s_wait_alu 0xfffe
	s_mov_b32 s49, s48
	s_wait_alu 0xfffe
	s_add_nc_u64 s[50:51], s[46:47], s[48:49]
	v_add_co_u32 v12, vcc_lo, v8, v3
	s_wait_alu 0xfffe
	s_xor_b64 s[50:51], s[50:51], s[48:49]
	s_wait_alu 0xfffd
	v_add_co_ci_u32_e64 v13, null, v9, v3, vcc_lo
	s_wait_alu 0xfffe
	s_cvt_f32_u32 s0, s50
	s_cvt_f32_u32 s14, s51
	s_sub_nc_u64 s[54:55], 0, s[50:51]
	v_xor_b32_e32 v18, v12, v3
	v_xor_b32_e32 v19, v13, v3
	s_wait_alu 0xfffe
	s_fmamk_f32 s0, s14, 0x4f800000, s0
	v_xor_b32_e32 v3, s48, v3
	s_wait_alu 0xfffe
	s_delay_alu instid0(SALU_CYCLE_1) | instskip(NEXT) | instid1(TRANS32_DEP_1)
	v_s_rcp_f32 s0, s0
	s_mul_f32 s0, s0, 0x5f7ffffc
	s_wait_alu 0xfffe
	s_delay_alu instid0(SALU_CYCLE_2) | instskip(SKIP_1) | instid1(SALU_CYCLE_2)
	s_mul_f32 s14, s0, 0x2f800000
	s_wait_alu 0xfffe
	s_trunc_f32 s14, s14
	s_wait_alu 0xfffe
	s_delay_alu instid0(SALU_CYCLE_2) | instskip(SKIP_2) | instid1(SALU_CYCLE_1)
	s_fmamk_f32 s0, s14, 0xcf800000, s0
	s_cvt_u32_f32 s53, s14
	s_wait_alu 0xfffe
	s_cvt_u32_f32 s52, s0
	s_wait_alu 0xfffe
	s_delay_alu instid0(SALU_CYCLE_2)
	s_mul_u64 s[56:57], s[54:55], s[52:53]
	s_wait_alu 0xfffe
	s_mul_hi_u32 s59, s52, s57
	s_mul_i32 s58, s52, s57
	s_mul_hi_u32 s14, s52, s56
	s_mul_i32 s49, s53, s56
	s_wait_alu 0xfffe
	s_add_nc_u64 s[58:59], s[14:15], s[58:59]
	s_mul_hi_u32 s0, s53, s56
	s_mul_hi_u32 s60, s53, s57
	s_wait_alu 0xfffe
	s_add_co_u32 s14, s58, s49
	s_add_co_ci_u32 s14, s59, s0
	s_mul_i32 s56, s53, s57
	s_add_co_ci_u32 s57, s60, 0
	s_wait_alu 0xfffe
	s_add_nc_u64 s[56:57], s[14:15], s[56:57]
	s_wait_alu 0xfffe
	s_add_co_u32 s52, s52, s56
	s_cselect_b32 s0, -1, 0
	s_wait_alu 0xfffe
	s_cmp_lg_u32 s0, 0
	s_add_co_ci_u32 s53, s53, s57
	s_wait_alu 0xfffe
	s_mul_u64 s[54:55], s[54:55], s[52:53]
	s_wait_alu 0xfffe
	s_mul_hi_u32 s57, s52, s55
	s_mul_i32 s56, s52, s55
	s_mul_hi_u32 s14, s52, s54
	s_mul_i32 s49, s53, s54
	s_wait_alu 0xfffe
	s_add_nc_u64 s[56:57], s[14:15], s[56:57]
	s_mul_hi_u32 s0, s53, s54
	s_mul_hi_u32 s58, s53, s55
	s_wait_alu 0xfffe
	s_add_co_u32 s14, s56, s49
	s_add_co_ci_u32 s14, s57, s0
	s_mul_i32 s54, s53, s55
	s_add_co_ci_u32 s55, s58, 0
	s_wait_alu 0xfffe
	s_add_nc_u64 s[54:55], s[14:15], s[54:55]
	s_wait_alu 0xfffe
	s_add_co_u32 s0, s52, s54
	s_cselect_b32 s14, -1, 0
	s_wait_alu 0xfffe
	v_mul_hi_u32 v24, v18, s0
	s_cmp_lg_u32 s14, 0
	v_mad_co_u64_u32 v[14:15], null, v19, s0, 0
	s_add_co_ci_u32 s14, s53, s55
	s_wait_alu 0xfffe
	v_mad_co_u64_u32 v[12:13], null, v18, s14, 0
	v_mad_co_u64_u32 v[16:17], null, v19, s14, 0
	s_delay_alu instid0(VALU_DEP_2) | instskip(SKIP_1) | instid1(VALU_DEP_3)
	v_add_co_u32 v12, vcc_lo, v24, v12
	s_wait_alu 0xfffd
	v_add_co_ci_u32_e64 v13, null, 0, v13, vcc_lo
	s_delay_alu instid0(VALU_DEP_2) | instskip(SKIP_1) | instid1(VALU_DEP_2)
	v_add_co_u32 v12, vcc_lo, v12, v14
	s_wait_alu 0xfffd
	v_add_co_ci_u32_e32 v12, vcc_lo, v13, v15, vcc_lo
	s_wait_alu 0xfffd
	v_add_co_ci_u32_e32 v13, vcc_lo, 0, v17, vcc_lo
	s_delay_alu instid0(VALU_DEP_2) | instskip(SKIP_1) | instid1(VALU_DEP_2)
	v_add_co_u32 v14, vcc_lo, v12, v16
	s_wait_alu 0xfffd
	v_add_co_ci_u32_e64 v15, null, 0, v13, vcc_lo
	s_delay_alu instid0(VALU_DEP_2) | instskip(SKIP_1) | instid1(VALU_DEP_3)
	v_mul_lo_u32 v16, s51, v14
	v_mad_co_u64_u32 v[12:13], null, s50, v14, 0
	v_mul_lo_u32 v17, s50, v15
	s_delay_alu instid0(VALU_DEP_2) | instskip(NEXT) | instid1(VALU_DEP_2)
	v_sub_co_u32 v12, vcc_lo, v18, v12
	v_add3_u32 v13, v13, v17, v16
	v_add_co_u32 v17, s0, v14, 2
	s_wait_alu 0xf1ff
	v_add_co_ci_u32_e64 v18, null, 0, v15, s0
	s_delay_alu instid0(VALU_DEP_3) | instskip(SKIP_3) | instid1(VALU_DEP_3)
	v_sub_nc_u32_e32 v16, v19, v13
	v_sub_co_u32 v24, s0, v12, s50
	s_wait_alu 0xfffd
	v_sub_co_ci_u32_e64 v13, null, v19, v13, vcc_lo
	v_subrev_co_ci_u32_e64 v16, null, s51, v16, vcc_lo
	s_delay_alu instid0(VALU_DEP_3) | instskip(SKIP_1) | instid1(VALU_DEP_2)
	v_cmp_le_u32_e32 vcc_lo, s50, v24
	s_wait_alu 0xf1ff
	v_subrev_co_ci_u32_e64 v16, null, 0, v16, s0
	s_wait_alu 0xfffd
	v_cndmask_b32_e64 v19, 0, -1, vcc_lo
	s_delay_alu instid0(VALU_DEP_2)
	v_cmp_le_u32_e32 vcc_lo, s51, v16
	s_wait_alu 0xfffd
	v_cndmask_b32_e64 v24, 0, -1, vcc_lo
	v_cmp_le_u32_e32 vcc_lo, s50, v12
	s_wait_alu 0xfffd
	v_cndmask_b32_e64 v12, 0, -1, vcc_lo
	;; [unrolled: 3-line block ×3, first 2 shown]
	v_cmp_eq_u32_e32 vcc_lo, s51, v16
	s_wait_alu 0xfffd
	v_cndmask_b32_e32 v16, v24, v19, vcc_lo
	v_add_co_u32 v19, vcc_lo, v14, 1
	s_wait_alu 0xfffd
	v_add_co_ci_u32_e64 v24, null, 0, v15, vcc_lo
	v_cmp_eq_u32_e32 vcc_lo, s51, v13
	s_wait_alu 0xfffd
	v_cndmask_b32_e32 v12, v25, v12, vcc_lo
	v_cmp_ne_u32_e32 vcc_lo, 0, v16
	s_wait_alu 0xfffd
	v_cndmask_b32_e32 v13, v24, v18, vcc_lo
	s_delay_alu instid0(VALU_DEP_3) | instskip(SKIP_2) | instid1(VALU_DEP_2)
	v_cmp_ne_u32_e64 s0, 0, v12
	v_cndmask_b32_e32 v12, v19, v17, vcc_lo
	s_wait_alu 0xf1ff
	v_cndmask_b32_e64 v13, v15, v13, s0
	s_delay_alu instid0(VALU_DEP_2) | instskip(NEXT) | instid1(VALU_DEP_2)
	v_cndmask_b32_e64 v12, v14, v12, s0
	v_xor_b32_e32 v13, v13, v3
	s_delay_alu instid0(VALU_DEP_2) | instskip(NEXT) | instid1(VALU_DEP_1)
	v_xor_b32_e32 v12, v12, v3
	v_sub_co_u32 v12, vcc_lo, v12, v3
	s_wait_alu 0xfffd
	s_delay_alu instid0(VALU_DEP_3)
	v_sub_co_ci_u32_e64 v13, null, v13, v3, vcc_lo
.LBB18_19:                              ;   in Loop: Header=BB18_17 Depth=2
	s_wait_alu 0xfffe
	s_and_not1_saveexec_b32 s0, s1
	s_cbranch_execz .LBB18_16
; %bb.20:                               ;   in Loop: Header=BB18_17 Depth=2
	v_cvt_f32_u32_e32 v3, s46
	s_sub_co_i32 s1, 0, s46
	s_delay_alu instid0(VALU_DEP_1) | instskip(NEXT) | instid1(TRANS32_DEP_1)
	v_rcp_iflag_f32_e32 v3, v3
	v_mul_f32_e32 v3, 0x4f7ffffe, v3
	s_delay_alu instid0(VALU_DEP_1) | instskip(SKIP_1) | instid1(VALU_DEP_1)
	v_cvt_u32_f32_e32 v3, v3
	s_wait_alu 0xfffe
	v_mul_lo_u32 v12, s1, v3
	s_delay_alu instid0(VALU_DEP_1) | instskip(NEXT) | instid1(VALU_DEP_1)
	v_mul_hi_u32 v12, v3, v12
	v_add_nc_u32_e32 v3, v3, v12
	s_delay_alu instid0(VALU_DEP_1) | instskip(NEXT) | instid1(VALU_DEP_1)
	v_mul_hi_u32 v3, v8, v3
	v_mul_lo_u32 v12, v3, s46
	v_add_nc_u32_e32 v13, 1, v3
	s_delay_alu instid0(VALU_DEP_2) | instskip(NEXT) | instid1(VALU_DEP_1)
	v_sub_nc_u32_e32 v12, v8, v12
	v_subrev_nc_u32_e32 v14, s46, v12
	v_cmp_le_u32_e32 vcc_lo, s46, v12
	s_wait_alu 0xfffd
	s_delay_alu instid0(VALU_DEP_2) | instskip(NEXT) | instid1(VALU_DEP_1)
	v_dual_cndmask_b32 v12, v12, v14 :: v_dual_cndmask_b32 v3, v3, v13
	v_cmp_le_u32_e32 vcc_lo, s46, v12
	s_delay_alu instid0(VALU_DEP_2) | instskip(SKIP_1) | instid1(VALU_DEP_1)
	v_add_nc_u32_e32 v13, 1, v3
	s_wait_alu 0xfffd
	v_dual_cndmask_b32 v12, v3, v13 :: v_dual_mov_b32 v13, v2
	s_branch .LBB18_16
.LBB18_21:                              ;   in Loop: Header=BB18_22 Depth=2
	s_wait_alu 0xfffe
	s_or_b32 exec_lo, exec_lo, s0
	v_mul_lo_u32 v3, v13, s44
	v_mul_lo_u32 v28, v12, s45
	v_mad_co_u64_u32 v[24:25], null, v12, s44, 0
	v_mul_lo_u32 v29, v15, s48
	v_mul_lo_u32 v30, v14, s49
	v_mad_co_u64_u32 v[26:27], null, v14, s48, 0
	s_load_b64 s[0:1], s[38:39], 0x0
	s_add_nc_u64 s[42:43], s[42:43], -4
	v_add3_u32 v3, v25, v28, v3
	v_sub_co_u32 v8, vcc_lo, v8, v24
	v_mul_lo_u32 v24, v17, s52
	v_add3_u32 v25, v27, v30, v29
	s_wait_alu 0xfffd
	v_sub_co_ci_u32_e64 v3, null, v9, v3, vcc_lo
	v_mul_lo_u32 v27, s47, v8
	v_mad_co_u64_u32 v[8:9], null, s46, v8, v[10:11]
	s_delay_alu instid0(VALU_DEP_3)
	v_mul_lo_u32 v3, s46, v3
	v_mul_lo_u32 v28, v16, s53
	v_mad_co_u64_u32 v[10:11], null, v16, s52, 0
	v_sub_co_u32 v12, vcc_lo, v12, v26
	s_wait_alu 0xfffd
	v_sub_co_ci_u32_e64 v13, null, v13, v25, vcc_lo
	v_add3_u32 v9, v27, v9, v3
	s_add_nc_u64 s[38:39], s[38:39], s[18:19]
	s_delay_alu instid0(VALU_DEP_4)
	v_add3_u32 v3, v11, v28, v24
	v_mul_lo_u32 v24, s51, v12
	v_mul_lo_u32 v13, s50, v13
	v_mad_co_u64_u32 v[8:9], null, s50, v12, v[8:9]
	v_sub_co_u32 v12, vcc_lo, v14, v10
	s_wait_alu 0xfffd
	v_sub_co_ci_u32_e64 v3, null, v15, v3, vcc_lo
	v_mul_lo_u32 v14, v19, s56
	v_mul_lo_u32 v15, v18, s57
	v_mad_co_u64_u32 v[10:11], null, v18, s56, 0
	v_add3_u32 v9, v24, v9, v13
	v_mul_lo_u32 v3, s54, v3
	s_cmp_eq_u64 s[42:43], 0
	s_add_nc_u64 s[40:41], s[40:41], s[18:19]
	s_delay_alu instid0(VALU_DEP_2) | instskip(SKIP_4) | instid1(VALU_DEP_2)
	v_mad_co_u64_u32 v[8:9], null, s54, v12, v[8:9]
	v_mul_lo_u32 v12, s55, v12
	v_add3_u32 v11, v11, v15, v14
	v_sub_co_u32 v10, vcc_lo, v16, v10
	s_wait_alu 0xfffd
	v_sub_co_ci_u32_e64 v11, null, v17, v11, vcc_lo
	s_delay_alu instid0(VALU_DEP_4) | instskip(SKIP_2) | instid1(VALU_DEP_3)
	v_add3_u32 v9, v12, v9, v3
	s_wait_kmcnt 0x0
	v_mul_lo_u32 v12, s1, v10
	v_mul_lo_u32 v3, s0, v11
	s_delay_alu instid0(VALU_DEP_3) | instskip(SKIP_1) | instid1(VALU_DEP_2)
	v_mad_co_u64_u32 v[10:11], null, s0, v10, v[8:9]
	v_dual_mov_b32 v8, v18 :: v_dual_mov_b32 v9, v19
	v_add3_u32 v11, v12, v11, v3
	s_cbranch_scc1 .LBB18_38
.LBB18_22:                              ;   Parent Loop BB18_3 Depth=1
                                        ; =>  This Inner Loop Header: Depth=2
	s_load_b64 s[44:45], s[40:41], 0x18
                                        ; implicit-def: $vgpr12_vgpr13
	s_mov_b32 s0, exec_lo
	s_wait_kmcnt 0x0
	v_or_b32_e32 v3, s45, v9
	s_delay_alu instid0(VALU_DEP_1)
	v_cmpx_ne_u64_e32 0, v[2:3]
	s_wait_alu 0xfffe
	s_xor_b32 s1, exec_lo, s0
	s_cbranch_execz .LBB18_24
; %bb.23:                               ;   in Loop: Header=BB18_22 Depth=2
	s_ashr_i32 s46, s45, 31
	v_ashrrev_i32_e32 v3, 31, v9
	s_wait_alu 0xfffe
	s_mov_b32 s47, s46
	s_wait_alu 0xfffe
	s_add_nc_u64 s[48:49], s[44:45], s[46:47]
	v_add_co_u32 v12, vcc_lo, v8, v3
	s_wait_alu 0xfffe
	s_xor_b64 s[48:49], s[48:49], s[46:47]
	s_wait_alu 0xfffd
	v_add_co_ci_u32_e64 v13, null, v9, v3, vcc_lo
	s_wait_alu 0xfffe
	s_cvt_f32_u32 s0, s48
	s_cvt_f32_u32 s14, s49
	s_sub_nc_u64 s[52:53], 0, s[48:49]
	v_xor_b32_e32 v18, v12, v3
	v_xor_b32_e32 v19, v13, v3
	s_wait_alu 0xfffe
	s_fmamk_f32 s0, s14, 0x4f800000, s0
	v_xor_b32_e32 v3, s46, v3
	s_wait_alu 0xfffe
	s_delay_alu instid0(SALU_CYCLE_1) | instskip(NEXT) | instid1(TRANS32_DEP_1)
	v_s_rcp_f32 s0, s0
	s_mul_f32 s0, s0, 0x5f7ffffc
	s_wait_alu 0xfffe
	s_delay_alu instid0(SALU_CYCLE_2) | instskip(SKIP_1) | instid1(SALU_CYCLE_2)
	s_mul_f32 s14, s0, 0x2f800000
	s_wait_alu 0xfffe
	s_trunc_f32 s14, s14
	s_wait_alu 0xfffe
	s_delay_alu instid0(SALU_CYCLE_2) | instskip(SKIP_2) | instid1(SALU_CYCLE_1)
	s_fmamk_f32 s0, s14, 0xcf800000, s0
	s_cvt_u32_f32 s51, s14
	s_wait_alu 0xfffe
	s_cvt_u32_f32 s50, s0
	s_wait_alu 0xfffe
	s_delay_alu instid0(SALU_CYCLE_2)
	s_mul_u64 s[54:55], s[52:53], s[50:51]
	s_wait_alu 0xfffe
	s_mul_hi_u32 s57, s50, s55
	s_mul_i32 s56, s50, s55
	s_mul_hi_u32 s14, s50, s54
	s_mul_i32 s47, s51, s54
	s_wait_alu 0xfffe
	s_add_nc_u64 s[56:57], s[14:15], s[56:57]
	s_mul_hi_u32 s0, s51, s54
	s_mul_hi_u32 s58, s51, s55
	s_wait_alu 0xfffe
	s_add_co_u32 s14, s56, s47
	s_add_co_ci_u32 s14, s57, s0
	s_mul_i32 s54, s51, s55
	s_add_co_ci_u32 s55, s58, 0
	s_wait_alu 0xfffe
	s_add_nc_u64 s[54:55], s[14:15], s[54:55]
	s_wait_alu 0xfffe
	s_add_co_u32 s50, s50, s54
	s_cselect_b32 s0, -1, 0
	s_wait_alu 0xfffe
	s_cmp_lg_u32 s0, 0
	s_add_co_ci_u32 s51, s51, s55
	s_wait_alu 0xfffe
	s_mul_u64 s[52:53], s[52:53], s[50:51]
	s_wait_alu 0xfffe
	s_mul_hi_u32 s55, s50, s53
	s_mul_i32 s54, s50, s53
	s_mul_hi_u32 s14, s50, s52
	s_mul_i32 s47, s51, s52
	s_wait_alu 0xfffe
	s_add_nc_u64 s[54:55], s[14:15], s[54:55]
	s_mul_hi_u32 s0, s51, s52
	s_mul_hi_u32 s56, s51, s53
	s_wait_alu 0xfffe
	s_add_co_u32 s14, s54, s47
	s_add_co_ci_u32 s14, s55, s0
	s_mul_i32 s52, s51, s53
	s_add_co_ci_u32 s53, s56, 0
	s_wait_alu 0xfffe
	s_add_nc_u64 s[52:53], s[14:15], s[52:53]
	s_wait_alu 0xfffe
	s_add_co_u32 s0, s50, s52
	s_cselect_b32 s14, -1, 0
	s_wait_alu 0xfffe
	v_mul_hi_u32 v24, v18, s0
	s_cmp_lg_u32 s14, 0
	v_mad_co_u64_u32 v[14:15], null, v19, s0, 0
	s_add_co_ci_u32 s14, s51, s53
	s_wait_alu 0xfffe
	v_mad_co_u64_u32 v[12:13], null, v18, s14, 0
	v_mad_co_u64_u32 v[16:17], null, v19, s14, 0
	s_delay_alu instid0(VALU_DEP_2) | instskip(SKIP_1) | instid1(VALU_DEP_3)
	v_add_co_u32 v12, vcc_lo, v24, v12
	s_wait_alu 0xfffd
	v_add_co_ci_u32_e64 v13, null, 0, v13, vcc_lo
	s_delay_alu instid0(VALU_DEP_2) | instskip(SKIP_1) | instid1(VALU_DEP_2)
	v_add_co_u32 v12, vcc_lo, v12, v14
	s_wait_alu 0xfffd
	v_add_co_ci_u32_e32 v12, vcc_lo, v13, v15, vcc_lo
	s_wait_alu 0xfffd
	v_add_co_ci_u32_e32 v13, vcc_lo, 0, v17, vcc_lo
	s_delay_alu instid0(VALU_DEP_2) | instskip(SKIP_1) | instid1(VALU_DEP_2)
	v_add_co_u32 v14, vcc_lo, v12, v16
	s_wait_alu 0xfffd
	v_add_co_ci_u32_e64 v15, null, 0, v13, vcc_lo
	s_delay_alu instid0(VALU_DEP_2) | instskip(SKIP_1) | instid1(VALU_DEP_3)
	v_mul_lo_u32 v16, s49, v14
	v_mad_co_u64_u32 v[12:13], null, s48, v14, 0
	v_mul_lo_u32 v17, s48, v15
	s_delay_alu instid0(VALU_DEP_2) | instskip(NEXT) | instid1(VALU_DEP_2)
	v_sub_co_u32 v12, vcc_lo, v18, v12
	v_add3_u32 v13, v13, v17, v16
	v_add_co_u32 v17, s0, v14, 2
	s_wait_alu 0xf1ff
	v_add_co_ci_u32_e64 v18, null, 0, v15, s0
	s_delay_alu instid0(VALU_DEP_3) | instskip(SKIP_3) | instid1(VALU_DEP_3)
	v_sub_nc_u32_e32 v16, v19, v13
	v_sub_co_u32 v24, s0, v12, s48
	s_wait_alu 0xfffd
	v_sub_co_ci_u32_e64 v13, null, v19, v13, vcc_lo
	v_subrev_co_ci_u32_e64 v16, null, s49, v16, vcc_lo
	s_delay_alu instid0(VALU_DEP_3) | instskip(SKIP_1) | instid1(VALU_DEP_2)
	v_cmp_le_u32_e32 vcc_lo, s48, v24
	s_wait_alu 0xf1ff
	v_subrev_co_ci_u32_e64 v16, null, 0, v16, s0
	s_wait_alu 0xfffd
	v_cndmask_b32_e64 v19, 0, -1, vcc_lo
	s_delay_alu instid0(VALU_DEP_2)
	v_cmp_le_u32_e32 vcc_lo, s49, v16
	s_wait_alu 0xfffd
	v_cndmask_b32_e64 v24, 0, -1, vcc_lo
	v_cmp_le_u32_e32 vcc_lo, s48, v12
	s_wait_alu 0xfffd
	v_cndmask_b32_e64 v12, 0, -1, vcc_lo
	v_cmp_le_u32_e32 vcc_lo, s49, v13
	s_wait_alu 0xfffd
	v_cndmask_b32_e64 v25, 0, -1, vcc_lo
	v_cmp_eq_u32_e32 vcc_lo, s49, v16
	s_wait_alu 0xfffd
	v_cndmask_b32_e32 v16, v24, v19, vcc_lo
	v_add_co_u32 v19, vcc_lo, v14, 1
	s_wait_alu 0xfffd
	v_add_co_ci_u32_e64 v24, null, 0, v15, vcc_lo
	v_cmp_eq_u32_e32 vcc_lo, s49, v13
	s_wait_alu 0xfffd
	v_cndmask_b32_e32 v12, v25, v12, vcc_lo
	v_cmp_ne_u32_e32 vcc_lo, 0, v16
	s_wait_alu 0xfffd
	v_cndmask_b32_e32 v13, v24, v18, vcc_lo
	s_delay_alu instid0(VALU_DEP_3) | instskip(SKIP_2) | instid1(VALU_DEP_2)
	v_cmp_ne_u32_e64 s0, 0, v12
	v_cndmask_b32_e32 v12, v19, v17, vcc_lo
	s_wait_alu 0xf1ff
	v_cndmask_b32_e64 v13, v15, v13, s0
	s_delay_alu instid0(VALU_DEP_2) | instskip(NEXT) | instid1(VALU_DEP_2)
	v_cndmask_b32_e64 v12, v14, v12, s0
	v_xor_b32_e32 v13, v13, v3
	s_delay_alu instid0(VALU_DEP_2) | instskip(NEXT) | instid1(VALU_DEP_1)
	v_xor_b32_e32 v12, v12, v3
	v_sub_co_u32 v12, vcc_lo, v12, v3
	s_wait_alu 0xfffd
	s_delay_alu instid0(VALU_DEP_3)
	v_sub_co_ci_u32_e64 v13, null, v13, v3, vcc_lo
.LBB18_24:                              ;   in Loop: Header=BB18_22 Depth=2
	s_wait_alu 0xfffe
	s_and_not1_saveexec_b32 s0, s1
	s_cbranch_execz .LBB18_26
; %bb.25:                               ;   in Loop: Header=BB18_22 Depth=2
	v_cvt_f32_u32_e32 v3, s44
	s_sub_co_i32 s1, 0, s44
	s_delay_alu instid0(VALU_DEP_1) | instskip(NEXT) | instid1(TRANS32_DEP_1)
	v_rcp_iflag_f32_e32 v3, v3
	v_mul_f32_e32 v3, 0x4f7ffffe, v3
	s_delay_alu instid0(VALU_DEP_1) | instskip(SKIP_1) | instid1(VALU_DEP_1)
	v_cvt_u32_f32_e32 v3, v3
	s_wait_alu 0xfffe
	v_mul_lo_u32 v12, s1, v3
	s_delay_alu instid0(VALU_DEP_1) | instskip(NEXT) | instid1(VALU_DEP_1)
	v_mul_hi_u32 v12, v3, v12
	v_add_nc_u32_e32 v3, v3, v12
	s_delay_alu instid0(VALU_DEP_1) | instskip(NEXT) | instid1(VALU_DEP_1)
	v_mul_hi_u32 v3, v8, v3
	v_mul_lo_u32 v12, v3, s44
	v_add_nc_u32_e32 v13, 1, v3
	s_delay_alu instid0(VALU_DEP_2) | instskip(NEXT) | instid1(VALU_DEP_1)
	v_sub_nc_u32_e32 v12, v8, v12
	v_subrev_nc_u32_e32 v14, s44, v12
	v_cmp_le_u32_e32 vcc_lo, s44, v12
	s_wait_alu 0xfffd
	s_delay_alu instid0(VALU_DEP_2) | instskip(NEXT) | instid1(VALU_DEP_1)
	v_dual_cndmask_b32 v12, v12, v14 :: v_dual_cndmask_b32 v3, v3, v13
	v_cmp_le_u32_e32 vcc_lo, s44, v12
	s_delay_alu instid0(VALU_DEP_2) | instskip(SKIP_1) | instid1(VALU_DEP_1)
	v_add_nc_u32_e32 v13, 1, v3
	s_wait_alu 0xfffd
	v_dual_cndmask_b32 v12, v3, v13 :: v_dual_mov_b32 v13, v2
.LBB18_26:                              ;   in Loop: Header=BB18_22 Depth=2
	s_wait_alu 0xfffe
	s_or_b32 exec_lo, exec_lo, s0
	s_load_b64 s[48:49], s[40:41], 0x10
	s_load_b64 s[46:47], s[38:39], 0x18
                                        ; implicit-def: $vgpr14_vgpr15
	s_mov_b32 s0, exec_lo
	s_wait_kmcnt 0x0
	v_or_b32_e32 v3, s49, v13
	s_delay_alu instid0(VALU_DEP_1)
	v_cmpx_ne_u64_e32 0, v[2:3]
	s_wait_alu 0xfffe
	s_xor_b32 s1, exec_lo, s0
	s_cbranch_execz .LBB18_28
; %bb.27:                               ;   in Loop: Header=BB18_22 Depth=2
	s_ashr_i32 s50, s49, 31
	v_ashrrev_i32_e32 v3, 31, v13
	s_wait_alu 0xfffe
	s_mov_b32 s51, s50
	s_wait_alu 0xfffe
	s_add_nc_u64 s[52:53], s[48:49], s[50:51]
	v_add_co_u32 v14, vcc_lo, v12, v3
	s_wait_alu 0xfffe
	s_xor_b64 s[52:53], s[52:53], s[50:51]
	s_wait_alu 0xfffd
	v_add_co_ci_u32_e64 v15, null, v13, v3, vcc_lo
	s_wait_alu 0xfffe
	s_cvt_f32_u32 s0, s52
	s_cvt_f32_u32 s14, s53
	s_sub_nc_u64 s[56:57], 0, s[52:53]
	v_xor_b32_e32 v24, v14, v3
	v_xor_b32_e32 v25, v15, v3
	s_wait_alu 0xfffe
	s_fmamk_f32 s0, s14, 0x4f800000, s0
	v_xor_b32_e32 v3, s50, v3
	s_wait_alu 0xfffe
	s_delay_alu instid0(SALU_CYCLE_1) | instskip(NEXT) | instid1(TRANS32_DEP_1)
	v_s_rcp_f32 s0, s0
	s_mul_f32 s0, s0, 0x5f7ffffc
	s_wait_alu 0xfffe
	s_delay_alu instid0(SALU_CYCLE_2) | instskip(SKIP_1) | instid1(SALU_CYCLE_2)
	s_mul_f32 s14, s0, 0x2f800000
	s_wait_alu 0xfffe
	s_trunc_f32 s14, s14
	s_wait_alu 0xfffe
	s_delay_alu instid0(SALU_CYCLE_2) | instskip(SKIP_2) | instid1(SALU_CYCLE_1)
	s_fmamk_f32 s0, s14, 0xcf800000, s0
	s_cvt_u32_f32 s55, s14
	s_wait_alu 0xfffe
	s_cvt_u32_f32 s54, s0
	s_wait_alu 0xfffe
	s_delay_alu instid0(SALU_CYCLE_2)
	s_mul_u64 s[58:59], s[56:57], s[54:55]
	s_wait_alu 0xfffe
	s_mul_hi_u32 s61, s54, s59
	s_mul_i32 s60, s54, s59
	s_mul_hi_u32 s14, s54, s58
	s_mul_i32 s51, s55, s58
	s_wait_alu 0xfffe
	s_add_nc_u64 s[60:61], s[14:15], s[60:61]
	s_mul_hi_u32 s0, s55, s58
	s_mul_hi_u32 s66, s55, s59
	s_wait_alu 0xfffe
	s_add_co_u32 s14, s60, s51
	s_add_co_ci_u32 s14, s61, s0
	s_mul_i32 s58, s55, s59
	s_add_co_ci_u32 s59, s66, 0
	s_wait_alu 0xfffe
	s_add_nc_u64 s[58:59], s[14:15], s[58:59]
	s_wait_alu 0xfffe
	s_add_co_u32 s54, s54, s58
	s_cselect_b32 s0, -1, 0
	s_wait_alu 0xfffe
	s_cmp_lg_u32 s0, 0
	s_add_co_ci_u32 s55, s55, s59
	s_wait_alu 0xfffe
	s_mul_u64 s[56:57], s[56:57], s[54:55]
	s_wait_alu 0xfffe
	s_mul_hi_u32 s59, s54, s57
	s_mul_i32 s58, s54, s57
	s_mul_hi_u32 s14, s54, s56
	s_mul_i32 s51, s55, s56
	s_wait_alu 0xfffe
	s_add_nc_u64 s[58:59], s[14:15], s[58:59]
	s_mul_hi_u32 s0, s55, s56
	s_mul_hi_u32 s60, s55, s57
	s_wait_alu 0xfffe
	s_add_co_u32 s14, s58, s51
	s_add_co_ci_u32 s14, s59, s0
	s_mul_i32 s56, s55, s57
	s_add_co_ci_u32 s57, s60, 0
	s_wait_alu 0xfffe
	s_add_nc_u64 s[56:57], s[14:15], s[56:57]
	s_wait_alu 0xfffe
	s_add_co_u32 s0, s54, s56
	s_cselect_b32 s14, -1, 0
	s_wait_alu 0xfffe
	v_mul_hi_u32 v26, v24, s0
	s_cmp_lg_u32 s14, 0
	v_mad_co_u64_u32 v[16:17], null, v25, s0, 0
	s_add_co_ci_u32 s14, s55, s57
	s_wait_alu 0xfffe
	v_mad_co_u64_u32 v[14:15], null, v24, s14, 0
	v_mad_co_u64_u32 v[18:19], null, v25, s14, 0
	s_delay_alu instid0(VALU_DEP_2) | instskip(SKIP_1) | instid1(VALU_DEP_3)
	v_add_co_u32 v14, vcc_lo, v26, v14
	s_wait_alu 0xfffd
	v_add_co_ci_u32_e64 v15, null, 0, v15, vcc_lo
	s_delay_alu instid0(VALU_DEP_2) | instskip(SKIP_1) | instid1(VALU_DEP_2)
	v_add_co_u32 v14, vcc_lo, v14, v16
	s_wait_alu 0xfffd
	v_add_co_ci_u32_e32 v14, vcc_lo, v15, v17, vcc_lo
	s_wait_alu 0xfffd
	v_add_co_ci_u32_e32 v15, vcc_lo, 0, v19, vcc_lo
	s_delay_alu instid0(VALU_DEP_2) | instskip(SKIP_1) | instid1(VALU_DEP_2)
	v_add_co_u32 v16, vcc_lo, v14, v18
	s_wait_alu 0xfffd
	v_add_co_ci_u32_e64 v17, null, 0, v15, vcc_lo
	s_delay_alu instid0(VALU_DEP_2) | instskip(SKIP_1) | instid1(VALU_DEP_3)
	v_mul_lo_u32 v18, s53, v16
	v_mad_co_u64_u32 v[14:15], null, s52, v16, 0
	v_mul_lo_u32 v19, s52, v17
	s_delay_alu instid0(VALU_DEP_2) | instskip(NEXT) | instid1(VALU_DEP_2)
	v_sub_co_u32 v14, vcc_lo, v24, v14
	v_add3_u32 v15, v15, v19, v18
	v_add_co_u32 v19, s0, v16, 2
	s_wait_alu 0xf1ff
	v_add_co_ci_u32_e64 v24, null, 0, v17, s0
	s_delay_alu instid0(VALU_DEP_3) | instskip(SKIP_3) | instid1(VALU_DEP_3)
	v_sub_nc_u32_e32 v18, v25, v15
	v_sub_co_u32 v26, s0, v14, s52
	s_wait_alu 0xfffd
	v_sub_co_ci_u32_e64 v15, null, v25, v15, vcc_lo
	v_subrev_co_ci_u32_e64 v18, null, s53, v18, vcc_lo
	s_delay_alu instid0(VALU_DEP_3) | instskip(SKIP_1) | instid1(VALU_DEP_2)
	v_cmp_le_u32_e32 vcc_lo, s52, v26
	s_wait_alu 0xf1ff
	v_subrev_co_ci_u32_e64 v18, null, 0, v18, s0
	s_wait_alu 0xfffd
	v_cndmask_b32_e64 v25, 0, -1, vcc_lo
	s_delay_alu instid0(VALU_DEP_2)
	v_cmp_le_u32_e32 vcc_lo, s53, v18
	s_wait_alu 0xfffd
	v_cndmask_b32_e64 v26, 0, -1, vcc_lo
	v_cmp_le_u32_e32 vcc_lo, s52, v14
	s_wait_alu 0xfffd
	v_cndmask_b32_e64 v14, 0, -1, vcc_lo
	;; [unrolled: 3-line block ×3, first 2 shown]
	v_cmp_eq_u32_e32 vcc_lo, s53, v18
	s_wait_alu 0xfffd
	v_cndmask_b32_e32 v18, v26, v25, vcc_lo
	v_add_co_u32 v25, vcc_lo, v16, 1
	s_wait_alu 0xfffd
	v_add_co_ci_u32_e64 v26, null, 0, v17, vcc_lo
	v_cmp_eq_u32_e32 vcc_lo, s53, v15
	s_wait_alu 0xfffd
	v_cndmask_b32_e32 v14, v27, v14, vcc_lo
	v_cmp_ne_u32_e32 vcc_lo, 0, v18
	s_wait_alu 0xfffd
	v_cndmask_b32_e32 v15, v26, v24, vcc_lo
	s_delay_alu instid0(VALU_DEP_3) | instskip(SKIP_2) | instid1(VALU_DEP_2)
	v_cmp_ne_u32_e64 s0, 0, v14
	v_cndmask_b32_e32 v14, v25, v19, vcc_lo
	s_wait_alu 0xf1ff
	v_cndmask_b32_e64 v15, v17, v15, s0
	s_delay_alu instid0(VALU_DEP_2) | instskip(NEXT) | instid1(VALU_DEP_2)
	v_cndmask_b32_e64 v14, v16, v14, s0
	v_xor_b32_e32 v15, v15, v3
	s_delay_alu instid0(VALU_DEP_2) | instskip(NEXT) | instid1(VALU_DEP_1)
	v_xor_b32_e32 v14, v14, v3
	v_sub_co_u32 v14, vcc_lo, v14, v3
	s_wait_alu 0xfffd
	s_delay_alu instid0(VALU_DEP_3)
	v_sub_co_ci_u32_e64 v15, null, v15, v3, vcc_lo
.LBB18_28:                              ;   in Loop: Header=BB18_22 Depth=2
	s_wait_alu 0xfffe
	s_and_not1_saveexec_b32 s0, s1
	s_cbranch_execz .LBB18_30
; %bb.29:                               ;   in Loop: Header=BB18_22 Depth=2
	v_cvt_f32_u32_e32 v3, s48
	s_sub_co_i32 s1, 0, s48
	s_delay_alu instid0(VALU_DEP_1) | instskip(NEXT) | instid1(TRANS32_DEP_1)
	v_rcp_iflag_f32_e32 v3, v3
	v_mul_f32_e32 v3, 0x4f7ffffe, v3
	s_delay_alu instid0(VALU_DEP_1) | instskip(SKIP_1) | instid1(VALU_DEP_1)
	v_cvt_u32_f32_e32 v3, v3
	s_wait_alu 0xfffe
	v_mul_lo_u32 v14, s1, v3
	s_delay_alu instid0(VALU_DEP_1) | instskip(NEXT) | instid1(VALU_DEP_1)
	v_mul_hi_u32 v14, v3, v14
	v_add_nc_u32_e32 v3, v3, v14
	s_delay_alu instid0(VALU_DEP_1) | instskip(NEXT) | instid1(VALU_DEP_1)
	v_mul_hi_u32 v3, v12, v3
	v_mul_lo_u32 v14, v3, s48
	v_add_nc_u32_e32 v15, 1, v3
	s_delay_alu instid0(VALU_DEP_2) | instskip(NEXT) | instid1(VALU_DEP_1)
	v_sub_nc_u32_e32 v14, v12, v14
	v_subrev_nc_u32_e32 v16, s48, v14
	v_cmp_le_u32_e32 vcc_lo, s48, v14
	s_wait_alu 0xfffd
	s_delay_alu instid0(VALU_DEP_2) | instskip(NEXT) | instid1(VALU_DEP_1)
	v_dual_cndmask_b32 v14, v14, v16 :: v_dual_cndmask_b32 v3, v3, v15
	v_cmp_le_u32_e32 vcc_lo, s48, v14
	s_delay_alu instid0(VALU_DEP_2) | instskip(SKIP_1) | instid1(VALU_DEP_1)
	v_add_nc_u32_e32 v15, 1, v3
	s_wait_alu 0xfffd
	v_dual_cndmask_b32 v14, v3, v15 :: v_dual_mov_b32 v15, v2
.LBB18_30:                              ;   in Loop: Header=BB18_22 Depth=2
	s_wait_alu 0xfffe
	s_or_b32 exec_lo, exec_lo, s0
	s_load_b64 s[52:53], s[40:41], 0x8
	s_load_b64 s[50:51], s[38:39], 0x10
                                        ; implicit-def: $vgpr16_vgpr17
	s_mov_b32 s0, exec_lo
	s_wait_kmcnt 0x0
	v_or_b32_e32 v3, s53, v15
	s_delay_alu instid0(VALU_DEP_1)
	v_cmpx_ne_u64_e32 0, v[2:3]
	s_wait_alu 0xfffe
	s_xor_b32 s1, exec_lo, s0
	s_cbranch_execz .LBB18_32
; %bb.31:                               ;   in Loop: Header=BB18_22 Depth=2
	s_ashr_i32 s54, s53, 31
	v_ashrrev_i32_e32 v3, 31, v15
	s_wait_alu 0xfffe
	s_mov_b32 s55, s54
	s_wait_alu 0xfffe
	s_add_nc_u64 s[56:57], s[52:53], s[54:55]
	v_add_co_u32 v16, vcc_lo, v14, v3
	s_wait_alu 0xfffe
	s_xor_b64 s[56:57], s[56:57], s[54:55]
	s_wait_alu 0xfffd
	v_add_co_ci_u32_e64 v17, null, v15, v3, vcc_lo
	s_wait_alu 0xfffe
	s_cvt_f32_u32 s0, s56
	s_cvt_f32_u32 s14, s57
	s_sub_nc_u64 s[60:61], 0, s[56:57]
	v_xor_b32_e32 v26, v16, v3
	v_xor_b32_e32 v27, v17, v3
	s_wait_alu 0xfffe
	s_fmamk_f32 s0, s14, 0x4f800000, s0
	v_xor_b32_e32 v3, s54, v3
	s_wait_alu 0xfffe
	s_delay_alu instid0(SALU_CYCLE_1) | instskip(NEXT) | instid1(TRANS32_DEP_1)
	v_s_rcp_f32 s0, s0
	s_mul_f32 s0, s0, 0x5f7ffffc
	s_wait_alu 0xfffe
	s_delay_alu instid0(SALU_CYCLE_2) | instskip(SKIP_1) | instid1(SALU_CYCLE_2)
	s_mul_f32 s14, s0, 0x2f800000
	s_wait_alu 0xfffe
	s_trunc_f32 s14, s14
	s_wait_alu 0xfffe
	s_delay_alu instid0(SALU_CYCLE_2) | instskip(SKIP_2) | instid1(SALU_CYCLE_1)
	s_fmamk_f32 s0, s14, 0xcf800000, s0
	s_cvt_u32_f32 s59, s14
	s_wait_alu 0xfffe
	s_cvt_u32_f32 s58, s0
	s_wait_alu 0xfffe
	s_delay_alu instid0(SALU_CYCLE_2) | instskip(NEXT) | instid1(SALU_CYCLE_1)
	s_mul_u64 s[66:67], s[60:61], s[58:59]
	s_mul_hi_u32 s69, s58, s67
	s_mul_i32 s68, s58, s67
	s_mul_hi_u32 s14, s58, s66
	s_mul_i32 s55, s59, s66
	s_wait_alu 0xfffe
	s_add_nc_u64 s[68:69], s[14:15], s[68:69]
	s_mul_hi_u32 s0, s59, s66
	s_mul_hi_u32 s70, s59, s67
	s_add_co_u32 s14, s68, s55
	s_wait_alu 0xfffe
	s_add_co_ci_u32 s14, s69, s0
	s_mul_i32 s66, s59, s67
	s_add_co_ci_u32 s67, s70, 0
	s_wait_alu 0xfffe
	s_add_nc_u64 s[66:67], s[14:15], s[66:67]
	s_delay_alu instid0(SALU_CYCLE_1)
	s_add_co_u32 s58, s58, s66
	s_cselect_b32 s0, -1, 0
	s_wait_alu 0xfffe
	s_cmp_lg_u32 s0, 0
	s_add_co_ci_u32 s59, s59, s67
	s_wait_alu 0xfffe
	s_mul_u64 s[60:61], s[60:61], s[58:59]
	s_wait_alu 0xfffe
	s_mul_hi_u32 s67, s58, s61
	s_mul_i32 s66, s58, s61
	s_mul_hi_u32 s14, s58, s60
	s_mul_i32 s55, s59, s60
	s_wait_alu 0xfffe
	s_add_nc_u64 s[66:67], s[14:15], s[66:67]
	s_mul_hi_u32 s0, s59, s60
	s_mul_hi_u32 s68, s59, s61
	s_add_co_u32 s14, s66, s55
	s_wait_alu 0xfffe
	s_add_co_ci_u32 s14, s67, s0
	s_mul_i32 s60, s59, s61
	s_add_co_ci_u32 s61, s68, 0
	s_wait_alu 0xfffe
	s_add_nc_u64 s[60:61], s[14:15], s[60:61]
	s_wait_alu 0xfffe
	s_add_co_u32 s0, s58, s60
	s_cselect_b32 s14, -1, 0
	s_wait_alu 0xfffe
	v_mul_hi_u32 v28, v26, s0
	s_cmp_lg_u32 s14, 0
	v_mad_co_u64_u32 v[18:19], null, v27, s0, 0
	s_add_co_ci_u32 s14, s59, s61
	s_wait_alu 0xfffe
	v_mad_co_u64_u32 v[16:17], null, v26, s14, 0
	v_mad_co_u64_u32 v[24:25], null, v27, s14, 0
	s_delay_alu instid0(VALU_DEP_2) | instskip(SKIP_1) | instid1(VALU_DEP_3)
	v_add_co_u32 v16, vcc_lo, v28, v16
	s_wait_alu 0xfffd
	v_add_co_ci_u32_e64 v17, null, 0, v17, vcc_lo
	s_delay_alu instid0(VALU_DEP_2) | instskip(SKIP_1) | instid1(VALU_DEP_2)
	v_add_co_u32 v16, vcc_lo, v16, v18
	s_wait_alu 0xfffd
	v_add_co_ci_u32_e32 v16, vcc_lo, v17, v19, vcc_lo
	s_wait_alu 0xfffd
	v_add_co_ci_u32_e32 v17, vcc_lo, 0, v25, vcc_lo
	s_delay_alu instid0(VALU_DEP_2) | instskip(SKIP_1) | instid1(VALU_DEP_2)
	v_add_co_u32 v18, vcc_lo, v16, v24
	s_wait_alu 0xfffd
	v_add_co_ci_u32_e64 v19, null, 0, v17, vcc_lo
	s_delay_alu instid0(VALU_DEP_2) | instskip(SKIP_1) | instid1(VALU_DEP_3)
	v_mul_lo_u32 v24, s57, v18
	v_mad_co_u64_u32 v[16:17], null, s56, v18, 0
	v_mul_lo_u32 v25, s56, v19
	s_delay_alu instid0(VALU_DEP_2) | instskip(NEXT) | instid1(VALU_DEP_2)
	v_sub_co_u32 v16, vcc_lo, v26, v16
	v_add3_u32 v17, v17, v25, v24
	v_add_co_u32 v25, s0, v18, 2
	s_wait_alu 0xf1ff
	v_add_co_ci_u32_e64 v26, null, 0, v19, s0
	s_delay_alu instid0(VALU_DEP_3) | instskip(SKIP_3) | instid1(VALU_DEP_3)
	v_sub_nc_u32_e32 v24, v27, v17
	v_sub_co_u32 v28, s0, v16, s56
	s_wait_alu 0xfffd
	v_sub_co_ci_u32_e64 v17, null, v27, v17, vcc_lo
	v_subrev_co_ci_u32_e64 v24, null, s57, v24, vcc_lo
	s_delay_alu instid0(VALU_DEP_3) | instskip(SKIP_1) | instid1(VALU_DEP_2)
	v_cmp_le_u32_e32 vcc_lo, s56, v28
	s_wait_alu 0xf1ff
	v_subrev_co_ci_u32_e64 v24, null, 0, v24, s0
	s_wait_alu 0xfffd
	v_cndmask_b32_e64 v27, 0, -1, vcc_lo
	s_delay_alu instid0(VALU_DEP_2)
	v_cmp_le_u32_e32 vcc_lo, s57, v24
	s_wait_alu 0xfffd
	v_cndmask_b32_e64 v28, 0, -1, vcc_lo
	v_cmp_le_u32_e32 vcc_lo, s56, v16
	s_wait_alu 0xfffd
	v_cndmask_b32_e64 v16, 0, -1, vcc_lo
	v_cmp_le_u32_e32 vcc_lo, s57, v17
	s_wait_alu 0xfffd
	v_cndmask_b32_e64 v29, 0, -1, vcc_lo
	v_cmp_eq_u32_e32 vcc_lo, s57, v24
	s_wait_alu 0xfffd
	v_cndmask_b32_e32 v24, v28, v27, vcc_lo
	v_add_co_u32 v27, vcc_lo, v18, 1
	s_wait_alu 0xfffd
	v_add_co_ci_u32_e64 v28, null, 0, v19, vcc_lo
	v_cmp_eq_u32_e32 vcc_lo, s57, v17
	s_wait_alu 0xfffd
	v_cndmask_b32_e32 v16, v29, v16, vcc_lo
	v_cmp_ne_u32_e32 vcc_lo, 0, v24
	s_wait_alu 0xfffd
	v_cndmask_b32_e32 v17, v28, v26, vcc_lo
	s_delay_alu instid0(VALU_DEP_3) | instskip(SKIP_2) | instid1(VALU_DEP_2)
	v_cmp_ne_u32_e64 s0, 0, v16
	v_cndmask_b32_e32 v16, v27, v25, vcc_lo
	s_wait_alu 0xf1ff
	v_cndmask_b32_e64 v17, v19, v17, s0
	s_delay_alu instid0(VALU_DEP_2) | instskip(NEXT) | instid1(VALU_DEP_2)
	v_cndmask_b32_e64 v16, v18, v16, s0
	v_xor_b32_e32 v17, v17, v3
	s_delay_alu instid0(VALU_DEP_2) | instskip(NEXT) | instid1(VALU_DEP_1)
	v_xor_b32_e32 v16, v16, v3
	v_sub_co_u32 v16, vcc_lo, v16, v3
	s_wait_alu 0xfffd
	s_delay_alu instid0(VALU_DEP_3)
	v_sub_co_ci_u32_e64 v17, null, v17, v3, vcc_lo
.LBB18_32:                              ;   in Loop: Header=BB18_22 Depth=2
	s_wait_alu 0xfffe
	s_and_not1_saveexec_b32 s0, s1
	s_cbranch_execz .LBB18_34
; %bb.33:                               ;   in Loop: Header=BB18_22 Depth=2
	v_cvt_f32_u32_e32 v3, s52
	s_sub_co_i32 s1, 0, s52
	s_delay_alu instid0(VALU_DEP_1) | instskip(NEXT) | instid1(TRANS32_DEP_1)
	v_rcp_iflag_f32_e32 v3, v3
	v_mul_f32_e32 v3, 0x4f7ffffe, v3
	s_delay_alu instid0(VALU_DEP_1) | instskip(SKIP_1) | instid1(VALU_DEP_1)
	v_cvt_u32_f32_e32 v3, v3
	s_wait_alu 0xfffe
	v_mul_lo_u32 v16, s1, v3
	s_delay_alu instid0(VALU_DEP_1) | instskip(NEXT) | instid1(VALU_DEP_1)
	v_mul_hi_u32 v16, v3, v16
	v_add_nc_u32_e32 v3, v3, v16
	s_delay_alu instid0(VALU_DEP_1) | instskip(NEXT) | instid1(VALU_DEP_1)
	v_mul_hi_u32 v3, v14, v3
	v_mul_lo_u32 v16, v3, s52
	v_add_nc_u32_e32 v17, 1, v3
	s_delay_alu instid0(VALU_DEP_2) | instskip(NEXT) | instid1(VALU_DEP_1)
	v_sub_nc_u32_e32 v16, v14, v16
	v_subrev_nc_u32_e32 v18, s52, v16
	v_cmp_le_u32_e32 vcc_lo, s52, v16
	s_wait_alu 0xfffd
	s_delay_alu instid0(VALU_DEP_2) | instskip(NEXT) | instid1(VALU_DEP_1)
	v_dual_cndmask_b32 v16, v16, v18 :: v_dual_cndmask_b32 v3, v3, v17
	v_cmp_le_u32_e32 vcc_lo, s52, v16
	s_delay_alu instid0(VALU_DEP_2) | instskip(SKIP_1) | instid1(VALU_DEP_1)
	v_add_nc_u32_e32 v17, 1, v3
	s_wait_alu 0xfffd
	v_dual_cndmask_b32 v16, v3, v17 :: v_dual_mov_b32 v17, v2
.LBB18_34:                              ;   in Loop: Header=BB18_22 Depth=2
	s_wait_alu 0xfffe
	s_or_b32 exec_lo, exec_lo, s0
	s_load_b64 s[56:57], s[40:41], 0x0
	s_load_b64 s[54:55], s[38:39], 0x8
                                        ; implicit-def: $vgpr18_vgpr19
	s_mov_b32 s0, exec_lo
	s_wait_kmcnt 0x0
	v_or_b32_e32 v3, s57, v17
	s_delay_alu instid0(VALU_DEP_1)
	v_cmpx_ne_u64_e32 0, v[2:3]
	s_wait_alu 0xfffe
	s_xor_b32 s1, exec_lo, s0
	s_cbranch_execz .LBB18_36
; %bb.35:                               ;   in Loop: Header=BB18_22 Depth=2
	s_ashr_i32 s58, s57, 31
	v_ashrrev_i32_e32 v3, 31, v17
	s_wait_alu 0xfffe
	s_mov_b32 s59, s58
	s_wait_alu 0xfffe
	s_add_nc_u64 s[60:61], s[56:57], s[58:59]
	v_add_co_u32 v18, vcc_lo, v16, v3
	s_wait_alu 0xfffe
	s_xor_b64 s[60:61], s[60:61], s[58:59]
	s_wait_alu 0xfffd
	v_add_co_ci_u32_e64 v19, null, v17, v3, vcc_lo
	s_wait_alu 0xfffe
	s_cvt_f32_u32 s0, s60
	s_cvt_f32_u32 s14, s61
	s_sub_nc_u64 s[68:69], 0, s[60:61]
	v_xor_b32_e32 v28, v18, v3
	v_xor_b32_e32 v29, v19, v3
	s_wait_alu 0xfffe
	s_fmamk_f32 s0, s14, 0x4f800000, s0
	v_xor_b32_e32 v3, s58, v3
	s_wait_alu 0xfffe
	s_delay_alu instid0(SALU_CYCLE_1) | instskip(NEXT) | instid1(TRANS32_DEP_1)
	v_s_rcp_f32 s0, s0
	s_mul_f32 s0, s0, 0x5f7ffffc
	s_wait_alu 0xfffe
	s_delay_alu instid0(SALU_CYCLE_2) | instskip(SKIP_1) | instid1(SALU_CYCLE_2)
	s_mul_f32 s14, s0, 0x2f800000
	s_wait_alu 0xfffe
	s_trunc_f32 s14, s14
	s_wait_alu 0xfffe
	s_delay_alu instid0(SALU_CYCLE_2) | instskip(SKIP_2) | instid1(SALU_CYCLE_1)
	s_fmamk_f32 s0, s14, 0xcf800000, s0
	s_cvt_u32_f32 s67, s14
	s_wait_alu 0xfffe
	s_cvt_u32_f32 s66, s0
	s_delay_alu instid0(SALU_CYCLE_3) | instskip(NEXT) | instid1(SALU_CYCLE_1)
	s_mul_u64 s[70:71], s[68:69], s[66:67]
	s_mul_hi_u32 s73, s66, s71
	s_mul_i32 s72, s66, s71
	s_mul_hi_u32 s14, s66, s70
	s_mul_i32 s59, s67, s70
	s_wait_alu 0xfffe
	s_add_nc_u64 s[72:73], s[14:15], s[72:73]
	s_mul_hi_u32 s0, s67, s70
	s_mul_hi_u32 s74, s67, s71
	s_add_co_u32 s14, s72, s59
	s_wait_alu 0xfffe
	s_add_co_ci_u32 s14, s73, s0
	s_mul_i32 s70, s67, s71
	s_add_co_ci_u32 s71, s74, 0
	s_wait_alu 0xfffe
	s_add_nc_u64 s[70:71], s[14:15], s[70:71]
	s_delay_alu instid0(SALU_CYCLE_1) | instskip(SKIP_4) | instid1(SALU_CYCLE_1)
	s_add_co_u32 s66, s66, s70
	s_cselect_b32 s0, -1, 0
	s_wait_alu 0xfffe
	s_cmp_lg_u32 s0, 0
	s_add_co_ci_u32 s67, s67, s71
	s_mul_u64 s[68:69], s[68:69], s[66:67]
	s_delay_alu instid0(SALU_CYCLE_1)
	s_mul_hi_u32 s71, s66, s69
	s_mul_i32 s70, s66, s69
	s_mul_hi_u32 s14, s66, s68
	s_mul_i32 s59, s67, s68
	s_wait_alu 0xfffe
	s_add_nc_u64 s[70:71], s[14:15], s[70:71]
	s_mul_hi_u32 s0, s67, s68
	s_mul_hi_u32 s72, s67, s69
	s_add_co_u32 s14, s70, s59
	s_wait_alu 0xfffe
	s_add_co_ci_u32 s14, s71, s0
	s_mul_i32 s68, s67, s69
	s_add_co_ci_u32 s69, s72, 0
	s_wait_alu 0xfffe
	s_add_nc_u64 s[68:69], s[14:15], s[68:69]
	s_delay_alu instid0(SALU_CYCLE_1)
	s_add_co_u32 s0, s66, s68
	s_cselect_b32 s14, -1, 0
	s_wait_alu 0xfffe
	v_mul_hi_u32 v30, v28, s0
	s_cmp_lg_u32 s14, 0
	v_mad_co_u64_u32 v[24:25], null, v29, s0, 0
	s_add_co_ci_u32 s14, s67, s69
	s_wait_alu 0xfffe
	v_mad_co_u64_u32 v[18:19], null, v28, s14, 0
	v_mad_co_u64_u32 v[26:27], null, v29, s14, 0
	s_delay_alu instid0(VALU_DEP_2) | instskip(SKIP_1) | instid1(VALU_DEP_3)
	v_add_co_u32 v18, vcc_lo, v30, v18
	s_wait_alu 0xfffd
	v_add_co_ci_u32_e64 v19, null, 0, v19, vcc_lo
	s_delay_alu instid0(VALU_DEP_2) | instskip(SKIP_1) | instid1(VALU_DEP_2)
	v_add_co_u32 v18, vcc_lo, v18, v24
	s_wait_alu 0xfffd
	v_add_co_ci_u32_e32 v18, vcc_lo, v19, v25, vcc_lo
	s_wait_alu 0xfffd
	v_add_co_ci_u32_e32 v19, vcc_lo, 0, v27, vcc_lo
	s_delay_alu instid0(VALU_DEP_2) | instskip(SKIP_1) | instid1(VALU_DEP_2)
	v_add_co_u32 v24, vcc_lo, v18, v26
	s_wait_alu 0xfffd
	v_add_co_ci_u32_e64 v25, null, 0, v19, vcc_lo
	s_delay_alu instid0(VALU_DEP_2) | instskip(SKIP_1) | instid1(VALU_DEP_3)
	v_mul_lo_u32 v26, s61, v24
	v_mad_co_u64_u32 v[18:19], null, s60, v24, 0
	v_mul_lo_u32 v27, s60, v25
	s_delay_alu instid0(VALU_DEP_2) | instskip(NEXT) | instid1(VALU_DEP_2)
	v_sub_co_u32 v18, vcc_lo, v28, v18
	v_add3_u32 v19, v19, v27, v26
	v_add_co_u32 v27, s0, v24, 2
	s_wait_alu 0xf1ff
	v_add_co_ci_u32_e64 v28, null, 0, v25, s0
	s_delay_alu instid0(VALU_DEP_3) | instskip(SKIP_3) | instid1(VALU_DEP_3)
	v_sub_nc_u32_e32 v26, v29, v19
	v_sub_co_u32 v30, s0, v18, s60
	s_wait_alu 0xfffd
	v_sub_co_ci_u32_e64 v19, null, v29, v19, vcc_lo
	v_subrev_co_ci_u32_e64 v26, null, s61, v26, vcc_lo
	s_delay_alu instid0(VALU_DEP_3) | instskip(SKIP_1) | instid1(VALU_DEP_2)
	v_cmp_le_u32_e32 vcc_lo, s60, v30
	s_wait_alu 0xf1ff
	v_subrev_co_ci_u32_e64 v26, null, 0, v26, s0
	s_wait_alu 0xfffd
	v_cndmask_b32_e64 v29, 0, -1, vcc_lo
	s_delay_alu instid0(VALU_DEP_2)
	v_cmp_le_u32_e32 vcc_lo, s61, v26
	s_wait_alu 0xfffd
	v_cndmask_b32_e64 v30, 0, -1, vcc_lo
	v_cmp_le_u32_e32 vcc_lo, s60, v18
	s_wait_alu 0xfffd
	v_cndmask_b32_e64 v18, 0, -1, vcc_lo
	v_cmp_le_u32_e32 vcc_lo, s61, v19
	s_wait_alu 0xfffd
	v_cndmask_b32_e64 v31, 0, -1, vcc_lo
	v_cmp_eq_u32_e32 vcc_lo, s61, v26
	s_wait_alu 0xfffd
	v_cndmask_b32_e32 v26, v30, v29, vcc_lo
	v_add_co_u32 v29, vcc_lo, v24, 1
	s_wait_alu 0xfffd
	v_add_co_ci_u32_e64 v30, null, 0, v25, vcc_lo
	v_cmp_eq_u32_e32 vcc_lo, s61, v19
	s_wait_alu 0xfffd
	v_cndmask_b32_e32 v18, v31, v18, vcc_lo
	v_cmp_ne_u32_e32 vcc_lo, 0, v26
	s_wait_alu 0xfffd
	v_cndmask_b32_e32 v19, v30, v28, vcc_lo
	s_delay_alu instid0(VALU_DEP_3) | instskip(SKIP_2) | instid1(VALU_DEP_2)
	v_cmp_ne_u32_e64 s0, 0, v18
	v_cndmask_b32_e32 v18, v29, v27, vcc_lo
	s_wait_alu 0xf1ff
	v_cndmask_b32_e64 v19, v25, v19, s0
	s_delay_alu instid0(VALU_DEP_2) | instskip(NEXT) | instid1(VALU_DEP_2)
	v_cndmask_b32_e64 v18, v24, v18, s0
	v_xor_b32_e32 v19, v19, v3
	s_delay_alu instid0(VALU_DEP_2) | instskip(NEXT) | instid1(VALU_DEP_1)
	v_xor_b32_e32 v18, v18, v3
	v_sub_co_u32 v18, vcc_lo, v18, v3
	s_wait_alu 0xfffd
	s_delay_alu instid0(VALU_DEP_3)
	v_sub_co_ci_u32_e64 v19, null, v19, v3, vcc_lo
.LBB18_36:                              ;   in Loop: Header=BB18_22 Depth=2
	s_wait_alu 0xfffe
	s_and_not1_saveexec_b32 s0, s1
	s_cbranch_execz .LBB18_21
; %bb.37:                               ;   in Loop: Header=BB18_22 Depth=2
	v_cvt_f32_u32_e32 v3, s56
	s_sub_co_i32 s1, 0, s56
	s_delay_alu instid0(VALU_DEP_1) | instskip(NEXT) | instid1(TRANS32_DEP_1)
	v_rcp_iflag_f32_e32 v3, v3
	v_mul_f32_e32 v3, 0x4f7ffffe, v3
	s_delay_alu instid0(VALU_DEP_1) | instskip(SKIP_1) | instid1(VALU_DEP_1)
	v_cvt_u32_f32_e32 v3, v3
	s_wait_alu 0xfffe
	v_mul_lo_u32 v18, s1, v3
	s_delay_alu instid0(VALU_DEP_1) | instskip(NEXT) | instid1(VALU_DEP_1)
	v_mul_hi_u32 v18, v3, v18
	v_add_nc_u32_e32 v3, v3, v18
	s_delay_alu instid0(VALU_DEP_1) | instskip(NEXT) | instid1(VALU_DEP_1)
	v_mul_hi_u32 v3, v16, v3
	v_mul_lo_u32 v18, v3, s56
	v_add_nc_u32_e32 v19, 1, v3
	s_delay_alu instid0(VALU_DEP_2) | instskip(NEXT) | instid1(VALU_DEP_1)
	v_sub_nc_u32_e32 v18, v16, v18
	v_subrev_nc_u32_e32 v24, s56, v18
	v_cmp_le_u32_e32 vcc_lo, s56, v18
	s_wait_alu 0xfffd
	s_delay_alu instid0(VALU_DEP_2) | instskip(NEXT) | instid1(VALU_DEP_1)
	v_dual_cndmask_b32 v18, v18, v24 :: v_dual_cndmask_b32 v3, v3, v19
	v_cmp_le_u32_e32 vcc_lo, s56, v18
	s_delay_alu instid0(VALU_DEP_2) | instskip(SKIP_1) | instid1(VALU_DEP_1)
	v_add_nc_u32_e32 v19, 1, v3
	s_wait_alu 0xfffd
	v_dual_cndmask_b32 v18, v3, v19 :: v_dual_mov_b32 v19, v2
	s_branch .LBB18_21
.LBB18_38:                              ;   in Loop: Header=BB18_3 Depth=1
	s_load_b64 s[38:39], s[24:25], 0x0
	s_wait_kmcnt 0x0
	v_cmp_gt_i64_e32 vcc_lo, s[38:39], v[4:5]
	s_and_b32 exec_lo, exec_lo, vcc_lo
	s_cbranch_execz .LBB18_2
; %bb.39:                               ;   in Loop: Header=BB18_3 Depth=1
	v_lshlrev_b64_e32 v[8:9], 1, v[10:11]
	v_cmp_lt_i64_e32 vcc_lo, s[4:5], v[6:7]
	s_delay_alu instid0(VALU_DEP_2) | instskip(SKIP_1) | instid1(VALU_DEP_3)
	v_add_co_u32 v6, s0, s10, v8
	s_wait_alu 0xf1ff
	v_add_co_ci_u32_e64 v7, null, s11, v9, s0
	s_and_saveexec_b32 s0, vcc_lo
	s_cbranch_execz .LBB18_41
; %bb.40:                               ;   in Loop: Header=BB18_3 Depth=1
	global_store_b16 v[6:7], v2, off
.LBB18_41:                              ;   in Loop: Header=BB18_3 Depth=1
	s_wait_alu 0xfffe
	s_or_b32 exec_lo, exec_lo, s0
	v_add_co_u32 v8, vcc_lo, v4, 1
	s_wait_alu 0xfffd
	v_add_co_ci_u32_e64 v9, null, 0, v5, vcc_lo
	s_delay_alu instid0(VALU_DEP_1)
	v_cmp_gt_i64_e32 vcc_lo, s[38:39], v[8:9]
	s_and_b32 exec_lo, exec_lo, vcc_lo
	s_cbranch_execz .LBB18_2
; %bb.42:                               ;   in Loop: Header=BB18_3 Depth=1
	v_sub_co_u32 v8, vcc_lo, v8, v22
	s_wait_alu 0xfffd
	v_sub_co_ci_u32_e64 v9, null, v9, v23, vcc_lo
	s_mov_b32 s0, exec_lo
	v_cmpx_lt_i64_e64 s[4:5], v[8:9]
	s_cbranch_execz .LBB18_44
; %bb.43:                               ;   in Loop: Header=BB18_3 Depth=1
	s_lshl_b64 s[40:41], s[2:3], 1
	s_wait_alu 0xfffe
	v_add_co_u32 v8, vcc_lo, v6, s40
	s_wait_alu 0xfffd
	v_add_co_ci_u32_e64 v9, null, s41, v7, vcc_lo
	global_store_b16 v[8:9], v2, off
.LBB18_44:                              ;   in Loop: Header=BB18_3 Depth=1
	s_wait_alu 0xfffe
	s_or_b32 exec_lo, exec_lo, s0
	v_add_co_u32 v8, vcc_lo, v4, 2
	s_wait_alu 0xfffd
	v_add_co_ci_u32_e64 v9, null, 0, v5, vcc_lo
	s_delay_alu instid0(VALU_DEP_1)
	v_cmp_gt_i64_e32 vcc_lo, s[38:39], v[8:9]
	s_and_b32 exec_lo, exec_lo, vcc_lo
	s_cbranch_execz .LBB18_2
; %bb.45:                               ;   in Loop: Header=BB18_3 Depth=1
	v_sub_co_u32 v8, vcc_lo, v8, v22
	s_wait_alu 0xfffd
	v_sub_co_ci_u32_e64 v9, null, v9, v23, vcc_lo
	s_mov_b32 s0, exec_lo
	v_cmpx_lt_i64_e64 s[4:5], v[8:9]
	s_cbranch_execz .LBB18_47
; %bb.46:                               ;   in Loop: Header=BB18_3 Depth=1
	s_lshl_b64 s[40:41], s[2:3], 2
	s_wait_alu 0xfffe
	v_add_co_u32 v8, vcc_lo, v6, s40
	s_wait_alu 0xfffd
	v_add_co_ci_u32_e64 v9, null, s41, v7, vcc_lo
	global_store_b16 v[8:9], v2, off
.LBB18_47:                              ;   in Loop: Header=BB18_3 Depth=1
	s_wait_alu 0xfffe
	s_or_b32 exec_lo, exec_lo, s0
	v_add_co_u32 v3, vcc_lo, v4, 3
	s_wait_alu 0xfffd
	v_add_co_ci_u32_e64 v4, null, 0, v5, vcc_lo
	s_delay_alu instid0(VALU_DEP_2) | instskip(SKIP_1) | instid1(VALU_DEP_2)
	v_sub_co_u32 v8, vcc_lo, v3, v22
	s_wait_alu 0xfffd
	v_sub_co_ci_u32_e64 v9, null, v4, v23, vcc_lo
	v_cmp_gt_i64_e32 vcc_lo, s[38:39], v[3:4]
	s_delay_alu instid0(VALU_DEP_2)
	v_cmp_lt_i64_e64 s0, s[4:5], v[8:9]
	s_and_b32 s0, vcc_lo, s0
	s_wait_alu 0xfffe
	s_and_b32 exec_lo, exec_lo, s0
	s_cbranch_execz .LBB18_2
; %bb.48:                               ;   in Loop: Header=BB18_3 Depth=1
	v_mad_co_u64_u32 v[3:4], null, s2, 6, v[6:7]
	s_delay_alu instid0(VALU_DEP_1)
	v_mad_co_u64_u32 v[4:5], null, s3, 6, v[4:5]
	global_store_b16 v[3:4], v2, off
	s_branch .LBB18_2
.LBB18_49:
	s_endpgm
	.section	.rodata,"a",@progbits
	.p2align	6, 0x0
	.amdhsa_kernel _ZN2at6native16triu_tril_kernelIslLb0ELi4ELb1EEEvNS_4cuda6detail10TensorInfoIT_T0_EENS4_IKS5_S6_EEllS6_
		.amdhsa_group_segment_fixed_size 0
		.amdhsa_private_segment_fixed_size 0
		.amdhsa_kernarg_size 1112
		.amdhsa_user_sgpr_count 2
		.amdhsa_user_sgpr_dispatch_ptr 0
		.amdhsa_user_sgpr_queue_ptr 0
		.amdhsa_user_sgpr_kernarg_segment_ptr 1
		.amdhsa_user_sgpr_dispatch_id 0
		.amdhsa_user_sgpr_private_segment_size 0
		.amdhsa_wavefront_size32 1
		.amdhsa_uses_dynamic_stack 0
		.amdhsa_enable_private_segment 0
		.amdhsa_system_sgpr_workgroup_id_x 1
		.amdhsa_system_sgpr_workgroup_id_y 0
		.amdhsa_system_sgpr_workgroup_id_z 0
		.amdhsa_system_sgpr_workgroup_info 0
		.amdhsa_system_vgpr_workitem_id 0
		.amdhsa_next_free_vgpr 32
		.amdhsa_next_free_sgpr 75
		.amdhsa_reserve_vcc 1
		.amdhsa_float_round_mode_32 0
		.amdhsa_float_round_mode_16_64 0
		.amdhsa_float_denorm_mode_32 3
		.amdhsa_float_denorm_mode_16_64 3
		.amdhsa_fp16_overflow 0
		.amdhsa_workgroup_processor_mode 1
		.amdhsa_memory_ordered 1
		.amdhsa_forward_progress 1
		.amdhsa_inst_pref_size 68
		.amdhsa_round_robin_scheduling 0
		.amdhsa_exception_fp_ieee_invalid_op 0
		.amdhsa_exception_fp_denorm_src 0
		.amdhsa_exception_fp_ieee_div_zero 0
		.amdhsa_exception_fp_ieee_overflow 0
		.amdhsa_exception_fp_ieee_underflow 0
		.amdhsa_exception_fp_ieee_inexact 0
		.amdhsa_exception_int_div_zero 0
	.end_amdhsa_kernel
	.section	.text._ZN2at6native16triu_tril_kernelIslLb0ELi4ELb1EEEvNS_4cuda6detail10TensorInfoIT_T0_EENS4_IKS5_S6_EEllS6_,"axG",@progbits,_ZN2at6native16triu_tril_kernelIslLb0ELi4ELb1EEEvNS_4cuda6detail10TensorInfoIT_T0_EENS4_IKS5_S6_EEllS6_,comdat
.Lfunc_end18:
	.size	_ZN2at6native16triu_tril_kernelIslLb0ELi4ELb1EEEvNS_4cuda6detail10TensorInfoIT_T0_EENS4_IKS5_S6_EEllS6_, .Lfunc_end18-_ZN2at6native16triu_tril_kernelIslLb0ELi4ELb1EEEvNS_4cuda6detail10TensorInfoIT_T0_EENS4_IKS5_S6_EEllS6_
                                        ; -- End function
	.set _ZN2at6native16triu_tril_kernelIslLb0ELi4ELb1EEEvNS_4cuda6detail10TensorInfoIT_T0_EENS4_IKS5_S6_EEllS6_.num_vgpr, 32
	.set _ZN2at6native16triu_tril_kernelIslLb0ELi4ELb1EEEvNS_4cuda6detail10TensorInfoIT_T0_EENS4_IKS5_S6_EEllS6_.num_agpr, 0
	.set _ZN2at6native16triu_tril_kernelIslLb0ELi4ELb1EEEvNS_4cuda6detail10TensorInfoIT_T0_EENS4_IKS5_S6_EEllS6_.numbered_sgpr, 75
	.set _ZN2at6native16triu_tril_kernelIslLb0ELi4ELb1EEEvNS_4cuda6detail10TensorInfoIT_T0_EENS4_IKS5_S6_EEllS6_.num_named_barrier, 0
	.set _ZN2at6native16triu_tril_kernelIslLb0ELi4ELb1EEEvNS_4cuda6detail10TensorInfoIT_T0_EENS4_IKS5_S6_EEllS6_.private_seg_size, 0
	.set _ZN2at6native16triu_tril_kernelIslLb0ELi4ELb1EEEvNS_4cuda6detail10TensorInfoIT_T0_EENS4_IKS5_S6_EEllS6_.uses_vcc, 1
	.set _ZN2at6native16triu_tril_kernelIslLb0ELi4ELb1EEEvNS_4cuda6detail10TensorInfoIT_T0_EENS4_IKS5_S6_EEllS6_.uses_flat_scratch, 0
	.set _ZN2at6native16triu_tril_kernelIslLb0ELi4ELb1EEEvNS_4cuda6detail10TensorInfoIT_T0_EENS4_IKS5_S6_EEllS6_.has_dyn_sized_stack, 0
	.set _ZN2at6native16triu_tril_kernelIslLb0ELi4ELb1EEEvNS_4cuda6detail10TensorInfoIT_T0_EENS4_IKS5_S6_EEllS6_.has_recursion, 0
	.set _ZN2at6native16triu_tril_kernelIslLb0ELi4ELb1EEEvNS_4cuda6detail10TensorInfoIT_T0_EENS4_IKS5_S6_EEllS6_.has_indirect_call, 0
	.section	.AMDGPU.csdata,"",@progbits
; Kernel info:
; codeLenInByte = 8604
; TotalNumSgprs: 77
; NumVgprs: 32
; ScratchSize: 0
; MemoryBound: 0
; FloatMode: 240
; IeeeMode: 1
; LDSByteSize: 0 bytes/workgroup (compile time only)
; SGPRBlocks: 0
; VGPRBlocks: 3
; NumSGPRsForWavesPerEU: 77
; NumVGPRsForWavesPerEU: 32
; Occupancy: 16
; WaveLimiterHint : 0
; COMPUTE_PGM_RSRC2:SCRATCH_EN: 0
; COMPUTE_PGM_RSRC2:USER_SGPR: 2
; COMPUTE_PGM_RSRC2:TRAP_HANDLER: 0
; COMPUTE_PGM_RSRC2:TGID_X_EN: 1
; COMPUTE_PGM_RSRC2:TGID_Y_EN: 0
; COMPUTE_PGM_RSRC2:TGID_Z_EN: 0
; COMPUTE_PGM_RSRC2:TIDIG_COMP_CNT: 0
	.section	.text._ZN2at6native16triu_tril_kernelIslLb0ELi4ELb0EEEvNS_4cuda6detail10TensorInfoIT_T0_EENS4_IKS5_S6_EEllS6_,"axG",@progbits,_ZN2at6native16triu_tril_kernelIslLb0ELi4ELb0EEEvNS_4cuda6detail10TensorInfoIT_T0_EENS4_IKS5_S6_EEllS6_,comdat
	.protected	_ZN2at6native16triu_tril_kernelIslLb0ELi4ELb0EEEvNS_4cuda6detail10TensorInfoIT_T0_EENS4_IKS5_S6_EEllS6_ ; -- Begin function _ZN2at6native16triu_tril_kernelIslLb0ELi4ELb0EEEvNS_4cuda6detail10TensorInfoIT_T0_EENS4_IKS5_S6_EEllS6_
	.globl	_ZN2at6native16triu_tril_kernelIslLb0ELi4ELb0EEEvNS_4cuda6detail10TensorInfoIT_T0_EENS4_IKS5_S6_EEllS6_
	.p2align	8
	.type	_ZN2at6native16triu_tril_kernelIslLb0ELi4ELb0EEEvNS_4cuda6detail10TensorInfoIT_T0_EENS4_IKS5_S6_EEllS6_,@function
_ZN2at6native16triu_tril_kernelIslLb0ELi4ELb0EEEvNS_4cuda6detail10TensorInfoIT_T0_EENS4_IKS5_S6_EEllS6_: ; @_ZN2at6native16triu_tril_kernelIslLb0ELi4ELb0EEEvNS_4cuda6detail10TensorInfoIT_T0_EENS4_IKS5_S6_EEllS6_
; %bb.0:
	s_clause 0x1
	s_load_b32 s2, s[0:1], 0x364
	s_load_b128 s[4:7], s[0:1], 0x340
	v_mov_b32_e32 v2, 0
	s_delay_alu instid0(VALU_DEP_1) | instskip(SKIP_3) | instid1(VALU_DEP_1)
	v_mov_b32_e32 v1, v2
	s_wait_kmcnt 0x0
	s_and_b32 s26, s2, 0xffff
	s_mov_b32 s2, exec_lo
	v_mad_co_u64_u32 v[0:1], null, s26, ttmp9, v[0:1]
	s_delay_alu instid0(VALU_DEP_1) | instskip(NEXT) | instid1(VALU_DEP_1)
	v_lshlrev_b64_e32 v[0:1], 2, v[0:1]
	v_cmpx_gt_i64_e64 s[6:7], v[0:1]
	s_cbranch_execz .LBB19_44
; %bb.1:
	s_clause 0x2
	s_load_b32 s50, s[0:1], 0x338
	s_load_b64 s[2:3], s[0:1], 0x350
	s_load_b64 s[20:21], s[0:1], 0x1a0
	s_add_nc_u64 s[22:23], s[0:1], 0x1a0
	s_add_nc_u64 s[14:15], s[0:1], 0x358
	s_load_b64 s[24:25], s[0:1], 0x0
	s_mov_b32 s27, 0
	s_mov_b32 s28, s4
	;; [unrolled: 1-line block ×6, first 2 shown]
	s_wait_kmcnt 0x0
	s_ashr_i32 s51, s50, 31
	v_cvt_f32_u32_e32 v3, s2
	s_lshl_b64 s[12:13], s[50:51], 3
	s_add_co_i32 s34, s50, -3
	s_add_nc_u64 s[16:17], s[22:23], s[12:13]
	s_add_nc_u64 s[12:13], s[0:1], s[12:13]
	s_add_nc_u64 s[8:9], s[16:17], -8
	v_rcp_iflag_f32_e32 v3, v3
	s_load_b128 s[8:11], s[8:9], 0x0
	s_load_b32 s33, s[14:15], 0x0
	s_clause 0x1
	s_load_b128 s[12:15], s[12:13], 0xc0
	s_load_b128 s[16:19], s[16:17], 0xc0
	s_ashr_i32 s35, s34, 31
	v_cmp_gt_i64_e64 s74, s[50:51], 2
	s_add_nc_u64 s[36:37], s[34:35], -1
	s_add_nc_u64 s[50:51], s[0:1], 0xc8
	v_mul_f32_e32 v3, 0x4f7ffffe, v3
	s_delay_alu instid0(VALU_DEP_1)
	v_cvt_u32_f32_e32 v16, v3
	s_wait_kmcnt 0x0
	v_cvt_f32_u32_e32 v4, s8
	s_mul_i32 s33, s33, s26
	s_lshl_b64 s[38:39], s[14:15], 2
	s_lshl_b32 s33, s33, 2
	s_lshl_b64 s[42:43], s[18:19], 2
	v_rcp_iflag_f32_e32 v4, v4
	s_bitcmp0_b32 s34, 0
	s_mul_u64 s[40:41], s[14:15], 6
	s_cselect_b32 s72, -1, 0
	s_lshl_b64 s[48:49], s[34:35], 3
	s_cmp_lg_u32 s34, 0
	s_mul_u64 s[44:45], s[18:19], 6
	s_add_nc_u64 s[46:47], s[22:23], s[48:49]
	s_add_nc_u64 s[48:49], s[0:1], s[48:49]
	s_cselect_b32 s73, -1, 0
	v_mul_f32_e32 v3, 0x4f7ffffe, v4
	s_ashr_i32 s52, s3, 31
	s_delay_alu instid0(VALU_DEP_1)
	v_cvt_u32_f32_e32 v17, v3
	s_branch .LBB19_3
.LBB19_2:                               ;   in Loop: Header=BB19_3 Depth=1
	s_wait_alu 0xfffe
	s_or_b32 exec_lo, exec_lo, s0
	v_add_co_u32 v0, vcc_lo, v0, s33
	s_wait_alu 0xfffd
	v_add_co_ci_u32_e64 v1, null, 0, v1, vcc_lo
	s_delay_alu instid0(VALU_DEP_1) | instskip(SKIP_1) | instid1(SALU_CYCLE_1)
	v_cmp_le_i64_e32 vcc_lo, s[6:7], v[0:1]
	s_or_b32 s75, vcc_lo, s75
	s_and_not1_b32 exec_lo, exec_lo, s75
	s_cbranch_execz .LBB19_44
.LBB19_3:                               ; =>This Loop Header: Depth=1
                                        ;     Child Loop BB19_21 Depth 2
	v_or_b32_e32 v3, s3, v1
                                        ; implicit-def: $vgpr6_vgpr7
	s_mov_b32 s0, exec_lo
	s_delay_alu instid0(VALU_DEP_1)
	v_cmpx_ne_u64_e32 0, v[2:3]
	s_wait_alu 0xfffe
	s_xor_b32 s1, exec_lo, s0
	s_cbranch_execz .LBB19_5
; %bb.4:                                ;   in Loop: Header=BB19_3 Depth=1
	s_mov_b32 s53, s52
	v_ashrrev_i32_e32 v9, 31, v1
	s_wait_alu 0xfffe
	s_add_nc_u64 s[54:55], s[2:3], s[52:53]
	s_wait_alu 0xfffe
	s_xor_b64 s[54:55], s[54:55], s[52:53]
	v_add_co_u32 v3, vcc_lo, v0, v9
	s_wait_alu 0xfffe
	s_cvt_f32_u32 s0, s54
	s_cvt_f32_u32 s26, s55
	s_sub_nc_u64 s[58:59], 0, s[54:55]
	s_wait_alu 0xfffd
	v_add_co_ci_u32_e64 v4, null, v1, v9, vcc_lo
	s_wait_alu 0xfffe
	s_fmamk_f32 s0, s26, 0x4f800000, s0
	v_xor_b32_e32 v10, v3, v9
	s_delay_alu instid0(VALU_DEP_2) | instskip(SKIP_2) | instid1(TRANS32_DEP_1)
	v_xor_b32_e32 v11, v4, v9
	s_wait_alu 0xfffe
	v_s_rcp_f32 s0, s0
	s_mul_f32 s0, s0, 0x5f7ffffc
	s_wait_alu 0xfffe
	s_delay_alu instid0(SALU_CYCLE_2) | instskip(SKIP_1) | instid1(SALU_CYCLE_2)
	s_mul_f32 s26, s0, 0x2f800000
	s_wait_alu 0xfffe
	s_trunc_f32 s26, s26
	s_wait_alu 0xfffe
	s_delay_alu instid0(SALU_CYCLE_2) | instskip(SKIP_2) | instid1(SALU_CYCLE_1)
	s_fmamk_f32 s0, s26, 0xcf800000, s0
	s_cvt_u32_f32 s57, s26
	s_wait_alu 0xfffe
	s_cvt_u32_f32 s56, s0
	s_wait_alu 0xfffe
	s_delay_alu instid0(SALU_CYCLE_2)
	s_mul_u64 s[60:61], s[58:59], s[56:57]
	s_wait_alu 0xfffe
	s_mul_hi_u32 s63, s56, s61
	s_mul_i32 s62, s56, s61
	s_mul_hi_u32 s26, s56, s60
	s_mul_i32 s53, s57, s60
	s_wait_alu 0xfffe
	s_add_nc_u64 s[62:63], s[26:27], s[62:63]
	s_mul_hi_u32 s0, s57, s60
	s_mul_hi_u32 s64, s57, s61
	s_wait_alu 0xfffe
	s_add_co_u32 s26, s62, s53
	s_add_co_ci_u32 s26, s63, s0
	s_mul_i32 s60, s57, s61
	s_add_co_ci_u32 s61, s64, 0
	s_wait_alu 0xfffe
	s_add_nc_u64 s[60:61], s[26:27], s[60:61]
	s_wait_alu 0xfffe
	s_add_co_u32 s56, s56, s60
	s_cselect_b32 s0, -1, 0
	s_wait_alu 0xfffe
	s_cmp_lg_u32 s0, 0
	s_add_co_ci_u32 s57, s57, s61
	s_wait_alu 0xfffe
	s_mul_u64 s[58:59], s[58:59], s[56:57]
	s_wait_alu 0xfffe
	s_mul_hi_u32 s61, s56, s59
	s_mul_i32 s60, s56, s59
	s_mul_hi_u32 s26, s56, s58
	s_mul_i32 s53, s57, s58
	s_wait_alu 0xfffe
	s_add_nc_u64 s[60:61], s[26:27], s[60:61]
	s_mul_hi_u32 s0, s57, s58
	s_mul_hi_u32 s62, s57, s59
	s_wait_alu 0xfffe
	s_add_co_u32 s26, s60, s53
	s_add_co_ci_u32 s26, s61, s0
	s_mul_i32 s58, s57, s59
	s_add_co_ci_u32 s59, s62, 0
	s_wait_alu 0xfffe
	s_add_nc_u64 s[58:59], s[26:27], s[58:59]
	s_wait_alu 0xfffe
	s_add_co_u32 s0, s56, s58
	s_cselect_b32 s26, -1, 0
	s_wait_alu 0xfffe
	v_mul_hi_u32 v12, v10, s0
	s_cmp_lg_u32 s26, 0
	v_mad_co_u64_u32 v[5:6], null, v11, s0, 0
	s_add_co_ci_u32 s26, s57, s59
	s_wait_alu 0xfffe
	v_mad_co_u64_u32 v[3:4], null, v10, s26, 0
	v_mad_co_u64_u32 v[7:8], null, v11, s26, 0
	s_delay_alu instid0(VALU_DEP_2) | instskip(SKIP_1) | instid1(VALU_DEP_3)
	v_add_co_u32 v3, vcc_lo, v12, v3
	s_wait_alu 0xfffd
	v_add_co_ci_u32_e64 v4, null, 0, v4, vcc_lo
	s_delay_alu instid0(VALU_DEP_2) | instskip(SKIP_1) | instid1(VALU_DEP_2)
	v_add_co_u32 v3, vcc_lo, v3, v5
	s_wait_alu 0xfffd
	v_add_co_ci_u32_e32 v3, vcc_lo, v4, v6, vcc_lo
	s_wait_alu 0xfffd
	v_add_co_ci_u32_e32 v4, vcc_lo, 0, v8, vcc_lo
	s_delay_alu instid0(VALU_DEP_2) | instskip(SKIP_1) | instid1(VALU_DEP_2)
	v_add_co_u32 v5, vcc_lo, v3, v7
	s_wait_alu 0xfffd
	v_add_co_ci_u32_e64 v6, null, 0, v4, vcc_lo
	s_delay_alu instid0(VALU_DEP_2) | instskip(SKIP_1) | instid1(VALU_DEP_3)
	v_mul_lo_u32 v7, s55, v5
	v_mad_co_u64_u32 v[3:4], null, s54, v5, 0
	v_mul_lo_u32 v8, s54, v6
	s_delay_alu instid0(VALU_DEP_2) | instskip(NEXT) | instid1(VALU_DEP_2)
	v_sub_co_u32 v3, vcc_lo, v10, v3
	v_add3_u32 v4, v4, v8, v7
	v_add_co_u32 v8, s0, v5, 2
	s_wait_alu 0xf1ff
	v_add_co_ci_u32_e64 v10, null, 0, v6, s0
	s_delay_alu instid0(VALU_DEP_3) | instskip(SKIP_3) | instid1(VALU_DEP_3)
	v_sub_nc_u32_e32 v7, v11, v4
	v_sub_co_u32 v12, s0, v3, s54
	s_wait_alu 0xfffd
	v_sub_co_ci_u32_e64 v4, null, v11, v4, vcc_lo
	v_subrev_co_ci_u32_e64 v7, null, s55, v7, vcc_lo
	s_delay_alu instid0(VALU_DEP_3) | instskip(SKIP_1) | instid1(VALU_DEP_2)
	v_cmp_le_u32_e32 vcc_lo, s54, v12
	s_wait_alu 0xf1ff
	v_subrev_co_ci_u32_e64 v7, null, 0, v7, s0
	s_wait_alu 0xfffd
	v_cndmask_b32_e64 v11, 0, -1, vcc_lo
	s_delay_alu instid0(VALU_DEP_2)
	v_cmp_le_u32_e32 vcc_lo, s55, v7
	s_wait_alu 0xfffd
	v_cndmask_b32_e64 v12, 0, -1, vcc_lo
	v_cmp_le_u32_e32 vcc_lo, s54, v3
	s_wait_alu 0xfffd
	v_cndmask_b32_e64 v3, 0, -1, vcc_lo
	;; [unrolled: 3-line block ×3, first 2 shown]
	v_cmp_eq_u32_e32 vcc_lo, s55, v7
	s_wait_alu 0xfffd
	v_cndmask_b32_e32 v7, v12, v11, vcc_lo
	v_add_co_u32 v11, vcc_lo, v5, 1
	s_wait_alu 0xfffd
	v_add_co_ci_u32_e64 v12, null, 0, v6, vcc_lo
	v_cmp_eq_u32_e32 vcc_lo, s55, v4
	s_wait_alu 0xfffd
	v_cndmask_b32_e32 v3, v13, v3, vcc_lo
	v_cmp_ne_u32_e32 vcc_lo, 0, v7
	v_xor_b32_e32 v7, s52, v9
	s_wait_alu 0xfffd
	v_cndmask_b32_e32 v4, v12, v10, vcc_lo
	v_cmp_ne_u32_e64 s0, 0, v3
	v_cndmask_b32_e32 v3, v11, v8, vcc_lo
	s_wait_alu 0xf1ff
	s_delay_alu instid0(VALU_DEP_2) | instskip(NEXT) | instid1(VALU_DEP_2)
	v_cndmask_b32_e64 v4, v6, v4, s0
	v_cndmask_b32_e64 v3, v5, v3, s0
	s_delay_alu instid0(VALU_DEP_2) | instskip(NEXT) | instid1(VALU_DEP_2)
	v_xor_b32_e32 v4, v4, v7
	v_xor_b32_e32 v3, v3, v7
	s_delay_alu instid0(VALU_DEP_1) | instskip(SKIP_1) | instid1(VALU_DEP_3)
	v_sub_co_u32 v6, vcc_lo, v3, v7
	s_wait_alu 0xfffd
	v_sub_co_ci_u32_e64 v7, null, v4, v7, vcc_lo
.LBB19_5:                               ;   in Loop: Header=BB19_3 Depth=1
	s_wait_alu 0xfffe
	s_and_not1_saveexec_b32 s0, s1
	s_cbranch_execz .LBB19_7
; %bb.6:                                ;   in Loop: Header=BB19_3 Depth=1
	s_sub_co_i32 s1, 0, s2
	v_mov_b32_e32 v7, v2
	s_wait_alu 0xfffe
	v_mul_lo_u32 v3, s1, v16
	s_delay_alu instid0(VALU_DEP_1) | instskip(NEXT) | instid1(VALU_DEP_1)
	v_mul_hi_u32 v3, v16, v3
	v_add_nc_u32_e32 v3, v16, v3
	s_delay_alu instid0(VALU_DEP_1) | instskip(NEXT) | instid1(VALU_DEP_1)
	v_mul_hi_u32 v3, v0, v3
	v_mul_lo_u32 v4, v3, s2
	s_delay_alu instid0(VALU_DEP_1) | instskip(NEXT) | instid1(VALU_DEP_1)
	v_sub_nc_u32_e32 v4, v0, v4
	v_subrev_nc_u32_e32 v6, s2, v4
	v_cmp_le_u32_e32 vcc_lo, s2, v4
	s_wait_alu 0xfffd
	s_delay_alu instid0(VALU_DEP_2) | instskip(NEXT) | instid1(VALU_DEP_1)
	v_dual_cndmask_b32 v4, v4, v6 :: v_dual_add_nc_u32 v5, 1, v3
	v_cndmask_b32_e32 v3, v3, v5, vcc_lo
	s_delay_alu instid0(VALU_DEP_2) | instskip(NEXT) | instid1(VALU_DEP_2)
	v_cmp_le_u32_e32 vcc_lo, s2, v4
	v_add_nc_u32_e32 v5, 1, v3
	s_wait_alu 0xfffd
	s_delay_alu instid0(VALU_DEP_1)
	v_cndmask_b32_e32 v6, v3, v5, vcc_lo
.LBB19_7:                               ;   in Loop: Header=BB19_3 Depth=1
	s_wait_alu 0xfffe
	s_or_b32 exec_lo, exec_lo, s0
	v_or_b32_e32 v3, s9, v7
                                        ; implicit-def: $vgpr10_vgpr11
	s_mov_b32 s0, exec_lo
	s_delay_alu instid0(VALU_DEP_1)
	v_cmpx_ne_u64_e32 0, v[2:3]
	s_wait_alu 0xfffe
	s_xor_b32 s1, exec_lo, s0
	s_cbranch_execz .LBB19_9
; %bb.8:                                ;   in Loop: Header=BB19_3 Depth=1
	s_ashr_i32 s54, s9, 31
	v_ashrrev_i32_e32 v5, 31, v7
	s_wait_alu 0xfffe
	s_mov_b32 s55, s54
	s_wait_alu 0xfffe
	s_add_nc_u64 s[56:57], s[8:9], s[54:55]
	v_add_co_u32 v3, vcc_lo, v6, v5
	s_wait_alu 0xfffe
	s_xor_b64 s[56:57], s[56:57], s[54:55]
	s_wait_alu 0xfffd
	v_add_co_ci_u32_e64 v4, null, v7, v5, vcc_lo
	s_wait_alu 0xfffe
	s_cvt_f32_u32 s0, s56
	s_cvt_f32_u32 s26, s57
	s_sub_nc_u64 s[60:61], 0, s[56:57]
	v_xor_b32_e32 v12, v3, v5
	v_xor_b32_e32 v13, v4, v5
	s_wait_alu 0xfffe
	s_fmamk_f32 s0, s26, 0x4f800000, s0
	v_xor_b32_e32 v5, s54, v5
	s_wait_alu 0xfffe
	s_delay_alu instid0(SALU_CYCLE_1) | instskip(NEXT) | instid1(TRANS32_DEP_1)
	v_s_rcp_f32 s0, s0
	s_mul_f32 s0, s0, 0x5f7ffffc
	s_wait_alu 0xfffe
	s_delay_alu instid0(SALU_CYCLE_2) | instskip(SKIP_1) | instid1(SALU_CYCLE_2)
	s_mul_f32 s26, s0, 0x2f800000
	s_wait_alu 0xfffe
	s_trunc_f32 s26, s26
	s_wait_alu 0xfffe
	s_delay_alu instid0(SALU_CYCLE_2) | instskip(SKIP_2) | instid1(SALU_CYCLE_1)
	s_fmamk_f32 s0, s26, 0xcf800000, s0
	s_cvt_u32_f32 s59, s26
	s_wait_alu 0xfffe
	s_cvt_u32_f32 s58, s0
	s_wait_alu 0xfffe
	s_delay_alu instid0(SALU_CYCLE_2)
	s_mul_u64 s[62:63], s[60:61], s[58:59]
	s_wait_alu 0xfffe
	s_mul_hi_u32 s65, s58, s63
	s_mul_i32 s64, s58, s63
	s_mul_hi_u32 s26, s58, s62
	s_mul_i32 s53, s59, s62
	s_wait_alu 0xfffe
	s_add_nc_u64 s[64:65], s[26:27], s[64:65]
	s_mul_hi_u32 s0, s59, s62
	s_mul_hi_u32 s55, s59, s63
	s_wait_alu 0xfffe
	s_add_co_u32 s26, s64, s53
	s_add_co_ci_u32 s26, s65, s0
	s_mul_i32 s62, s59, s63
	s_add_co_ci_u32 s63, s55, 0
	s_wait_alu 0xfffe
	s_add_nc_u64 s[62:63], s[26:27], s[62:63]
	s_wait_alu 0xfffe
	s_add_co_u32 s58, s58, s62
	s_cselect_b32 s0, -1, 0
	s_wait_alu 0xfffe
	s_cmp_lg_u32 s0, 0
	s_add_co_ci_u32 s59, s59, s63
	s_wait_alu 0xfffe
	s_mul_u64 s[60:61], s[60:61], s[58:59]
	s_wait_alu 0xfffe
	s_mul_hi_u32 s63, s58, s61
	s_mul_i32 s62, s58, s61
	s_mul_hi_u32 s26, s58, s60
	s_mul_i32 s53, s59, s60
	s_wait_alu 0xfffe
	s_add_nc_u64 s[62:63], s[26:27], s[62:63]
	s_mul_hi_u32 s0, s59, s60
	s_mul_hi_u32 s55, s59, s61
	s_wait_alu 0xfffe
	s_add_co_u32 s26, s62, s53
	s_add_co_ci_u32 s26, s63, s0
	s_mul_i32 s60, s59, s61
	s_add_co_ci_u32 s61, s55, 0
	s_wait_alu 0xfffe
	s_add_nc_u64 s[60:61], s[26:27], s[60:61]
	s_wait_alu 0xfffe
	s_add_co_u32 s0, s58, s60
	s_cselect_b32 s26, -1, 0
	s_wait_alu 0xfffe
	v_mul_hi_u32 v14, v12, s0
	s_cmp_lg_u32 s26, 0
	v_mad_co_u64_u32 v[8:9], null, v13, s0, 0
	s_add_co_ci_u32 s26, s59, s61
	s_wait_alu 0xfffe
	v_mad_co_u64_u32 v[3:4], null, v12, s26, 0
	v_mad_co_u64_u32 v[10:11], null, v13, s26, 0
	s_delay_alu instid0(VALU_DEP_2) | instskip(SKIP_1) | instid1(VALU_DEP_3)
	v_add_co_u32 v3, vcc_lo, v14, v3
	s_wait_alu 0xfffd
	v_add_co_ci_u32_e64 v4, null, 0, v4, vcc_lo
	s_delay_alu instid0(VALU_DEP_2) | instskip(SKIP_1) | instid1(VALU_DEP_2)
	v_add_co_u32 v3, vcc_lo, v3, v8
	s_wait_alu 0xfffd
	v_add_co_ci_u32_e32 v3, vcc_lo, v4, v9, vcc_lo
	s_wait_alu 0xfffd
	v_add_co_ci_u32_e32 v4, vcc_lo, 0, v11, vcc_lo
	s_delay_alu instid0(VALU_DEP_2) | instskip(SKIP_1) | instid1(VALU_DEP_2)
	v_add_co_u32 v8, vcc_lo, v3, v10
	s_wait_alu 0xfffd
	v_add_co_ci_u32_e64 v9, null, 0, v4, vcc_lo
	s_delay_alu instid0(VALU_DEP_2) | instskip(SKIP_1) | instid1(VALU_DEP_3)
	v_mul_lo_u32 v10, s57, v8
	v_mad_co_u64_u32 v[3:4], null, s56, v8, 0
	v_mul_lo_u32 v11, s56, v9
	s_delay_alu instid0(VALU_DEP_2) | instskip(NEXT) | instid1(VALU_DEP_2)
	v_sub_co_u32 v3, vcc_lo, v12, v3
	v_add3_u32 v4, v4, v11, v10
	v_add_co_u32 v11, s0, v8, 2
	s_wait_alu 0xf1ff
	v_add_co_ci_u32_e64 v12, null, 0, v9, s0
	s_delay_alu instid0(VALU_DEP_3) | instskip(SKIP_3) | instid1(VALU_DEP_3)
	v_sub_nc_u32_e32 v10, v13, v4
	v_sub_co_u32 v14, s0, v3, s56
	s_wait_alu 0xfffd
	v_sub_co_ci_u32_e64 v4, null, v13, v4, vcc_lo
	v_subrev_co_ci_u32_e64 v10, null, s57, v10, vcc_lo
	s_delay_alu instid0(VALU_DEP_3) | instskip(SKIP_1) | instid1(VALU_DEP_2)
	v_cmp_le_u32_e32 vcc_lo, s56, v14
	s_wait_alu 0xf1ff
	v_subrev_co_ci_u32_e64 v10, null, 0, v10, s0
	s_wait_alu 0xfffd
	v_cndmask_b32_e64 v13, 0, -1, vcc_lo
	s_delay_alu instid0(VALU_DEP_2)
	v_cmp_le_u32_e32 vcc_lo, s57, v10
	s_wait_alu 0xfffd
	v_cndmask_b32_e64 v14, 0, -1, vcc_lo
	v_cmp_le_u32_e32 vcc_lo, s56, v3
	s_wait_alu 0xfffd
	v_cndmask_b32_e64 v3, 0, -1, vcc_lo
	;; [unrolled: 3-line block ×3, first 2 shown]
	v_cmp_eq_u32_e32 vcc_lo, s57, v10
	s_wait_alu 0xfffd
	v_cndmask_b32_e32 v10, v14, v13, vcc_lo
	v_add_co_u32 v13, vcc_lo, v8, 1
	s_wait_alu 0xfffd
	v_add_co_ci_u32_e64 v14, null, 0, v9, vcc_lo
	v_cmp_eq_u32_e32 vcc_lo, s57, v4
	s_wait_alu 0xfffd
	v_cndmask_b32_e32 v3, v15, v3, vcc_lo
	v_cmp_ne_u32_e32 vcc_lo, 0, v10
	s_delay_alu instid0(VALU_DEP_2) | instskip(SKIP_3) | instid1(VALU_DEP_1)
	v_cmp_ne_u32_e64 s0, 0, v3
	s_wait_alu 0xfffd
	v_dual_cndmask_b32 v4, v14, v12 :: v_dual_cndmask_b32 v3, v13, v11
	s_wait_alu 0xf1ff
	v_cndmask_b32_e64 v4, v9, v4, s0
	s_delay_alu instid0(VALU_DEP_2) | instskip(NEXT) | instid1(VALU_DEP_2)
	v_cndmask_b32_e64 v3, v8, v3, s0
	v_xor_b32_e32 v4, v4, v5
	s_delay_alu instid0(VALU_DEP_2) | instskip(NEXT) | instid1(VALU_DEP_1)
	v_xor_b32_e32 v3, v3, v5
	v_sub_co_u32 v10, vcc_lo, v3, v5
	s_wait_alu 0xfffd
	s_delay_alu instid0(VALU_DEP_3)
	v_sub_co_ci_u32_e64 v11, null, v4, v5, vcc_lo
.LBB19_9:                               ;   in Loop: Header=BB19_3 Depth=1
	s_wait_alu 0xfffe
	s_and_not1_saveexec_b32 s0, s1
	s_cbranch_execz .LBB19_11
; %bb.10:                               ;   in Loop: Header=BB19_3 Depth=1
	s_sub_co_i32 s1, 0, s8
	v_mov_b32_e32 v11, v2
	s_wait_alu 0xfffe
	v_mul_lo_u32 v3, s1, v17
	s_delay_alu instid0(VALU_DEP_1) | instskip(NEXT) | instid1(VALU_DEP_1)
	v_mul_hi_u32 v3, v17, v3
	v_add_nc_u32_e32 v3, v17, v3
	s_delay_alu instid0(VALU_DEP_1) | instskip(NEXT) | instid1(VALU_DEP_1)
	v_mul_hi_u32 v3, v6, v3
	v_mul_lo_u32 v4, v3, s8
	v_add_nc_u32_e32 v5, 1, v3
	s_delay_alu instid0(VALU_DEP_2) | instskip(NEXT) | instid1(VALU_DEP_1)
	v_sub_nc_u32_e32 v4, v6, v4
	v_subrev_nc_u32_e32 v8, s8, v4
	v_cmp_le_u32_e32 vcc_lo, s8, v4
	s_wait_alu 0xfffd
	s_delay_alu instid0(VALU_DEP_2) | instskip(NEXT) | instid1(VALU_DEP_1)
	v_dual_cndmask_b32 v4, v4, v8 :: v_dual_cndmask_b32 v3, v3, v5
	v_cmp_le_u32_e32 vcc_lo, s8, v4
	s_delay_alu instid0(VALU_DEP_2) | instskip(SKIP_1) | instid1(VALU_DEP_1)
	v_add_nc_u32_e32 v5, 1, v3
	s_wait_alu 0xfffd
	v_cndmask_b32_e32 v10, v3, v5, vcc_lo
.LBB19_11:                              ;   in Loop: Header=BB19_3 Depth=1
	s_wait_alu 0xfffe
	s_or_b32 exec_lo, exec_lo, s0
	v_mul_lo_u32 v5, v7, s2
	v_mul_lo_u32 v12, v6, s3
	v_mad_co_u64_u32 v[3:4], null, v6, s2, 0
	v_mul_lo_u32 v13, v11, s8
	v_mul_lo_u32 v14, v10, s9
	v_mad_co_u64_u32 v[8:9], null, v10, s8, 0
	s_delay_alu instid0(VALU_DEP_4) | instskip(SKIP_1) | instid1(VALU_DEP_3)
	v_add3_u32 v5, v4, v12, v5
	v_sub_co_u32 v4, vcc_lo, v0, v3
	v_add3_u32 v3, v9, v14, v13
	s_wait_alu 0xfffd
	s_delay_alu instid0(VALU_DEP_3) | instskip(NEXT) | instid1(VALU_DEP_3)
	v_sub_co_ci_u32_e64 v5, null, v1, v5, vcc_lo
	v_mul_lo_u32 v9, s19, v4
	v_mad_co_u64_u32 v[12:13], null, s18, v4, 0
	v_mul_lo_u32 v20, s15, v4
	s_delay_alu instid0(VALU_DEP_4)
	v_mul_lo_u32 v21, s18, v5
	v_mul_lo_u32 v22, s14, v5
	v_mad_co_u64_u32 v[14:15], null, s14, v4, 0
	v_sub_co_u32 v18, vcc_lo, v6, v8
	s_wait_alu 0xfffd
	v_sub_co_ci_u32_e64 v19, null, v7, v3, vcc_lo
	v_add3_u32 v13, v13, v21, v9
	s_delay_alu instid0(VALU_DEP_3) | instskip(SKIP_1) | instid1(VALU_DEP_4)
	v_mul_lo_u32 v3, s17, v18
	v_add3_u32 v15, v15, v22, v20
	v_mul_lo_u32 v21, s16, v19
	s_and_not1_b32 vcc_lo, exec_lo, s74
	v_mad_co_u64_u32 v[8:9], null, s16, v18, v[12:13]
	v_mul_lo_u32 v12, s12, v19
	v_mul_lo_u32 v13, s13, v18
	v_mad_co_u64_u32 v[6:7], null, s12, v18, v[14:15]
	s_delay_alu instid0(VALU_DEP_4) | instskip(NEXT) | instid1(VALU_DEP_2)
	v_add3_u32 v9, v3, v9, v21
	v_add3_u32 v7, v13, v7, v12
	s_wait_alu 0xfffe
	s_cbranch_vccnz .LBB19_29
; %bb.12:                               ;   in Loop: Header=BB19_3 Depth=1
	s_and_not1_b32 vcc_lo, exec_lo, s72
	s_wait_alu 0xfffe
	s_cbranch_vccnz .LBB19_18
; %bb.13:                               ;   in Loop: Header=BB19_3 Depth=1
	s_load_b64 s[54:55], s[46:47], 0x8
                                        ; implicit-def: $vgpr12_vgpr13
	s_mov_b32 s0, exec_lo
	s_wait_kmcnt 0x0
	v_or_b32_e32 v3, s55, v11
	s_delay_alu instid0(VALU_DEP_1)
	v_cmpx_ne_u64_e32 0, v[2:3]
	s_wait_alu 0xfffe
	s_xor_b32 s1, exec_lo, s0
	s_cbranch_execz .LBB19_15
; %bb.14:                               ;   in Loop: Header=BB19_3 Depth=1
	s_ashr_i32 s56, s55, 31
	v_ashrrev_i32_e32 v3, 31, v11
	s_wait_alu 0xfffe
	s_mov_b32 s57, s56
	s_wait_alu 0xfffe
	s_add_nc_u64 s[58:59], s[54:55], s[56:57]
	v_add_co_u32 v12, vcc_lo, v10, v3
	s_wait_alu 0xfffe
	s_xor_b64 s[58:59], s[58:59], s[56:57]
	s_wait_alu 0xfffd
	v_add_co_ci_u32_e64 v13, null, v11, v3, vcc_lo
	s_wait_alu 0xfffe
	s_cvt_f32_u32 s0, s58
	s_cvt_f32_u32 s26, s59
	s_sub_nc_u64 s[62:63], 0, s[58:59]
	v_xor_b32_e32 v22, v12, v3
	v_xor_b32_e32 v23, v13, v3
	s_wait_alu 0xfffe
	s_fmamk_f32 s0, s26, 0x4f800000, s0
	v_xor_b32_e32 v3, s56, v3
	s_wait_alu 0xfffe
	s_delay_alu instid0(SALU_CYCLE_1) | instskip(NEXT) | instid1(TRANS32_DEP_1)
	v_s_rcp_f32 s0, s0
	s_mul_f32 s0, s0, 0x5f7ffffc
	s_wait_alu 0xfffe
	s_delay_alu instid0(SALU_CYCLE_2) | instskip(SKIP_1) | instid1(SALU_CYCLE_2)
	s_mul_f32 s26, s0, 0x2f800000
	s_wait_alu 0xfffe
	s_trunc_f32 s26, s26
	s_wait_alu 0xfffe
	s_delay_alu instid0(SALU_CYCLE_2) | instskip(SKIP_2) | instid1(SALU_CYCLE_1)
	s_fmamk_f32 s0, s26, 0xcf800000, s0
	s_cvt_u32_f32 s61, s26
	s_wait_alu 0xfffe
	s_cvt_u32_f32 s60, s0
	s_wait_alu 0xfffe
	s_delay_alu instid0(SALU_CYCLE_2)
	s_mul_u64 s[64:65], s[62:63], s[60:61]
	s_wait_alu 0xfffe
	s_mul_hi_u32 s67, s60, s65
	s_mul_i32 s66, s60, s65
	s_mul_hi_u32 s26, s60, s64
	s_mul_i32 s53, s61, s64
	s_wait_alu 0xfffe
	s_add_nc_u64 s[66:67], s[26:27], s[66:67]
	s_mul_hi_u32 s0, s61, s64
	s_mul_hi_u32 s57, s61, s65
	s_wait_alu 0xfffe
	s_add_co_u32 s26, s66, s53
	s_add_co_ci_u32 s26, s67, s0
	s_mul_i32 s64, s61, s65
	s_add_co_ci_u32 s65, s57, 0
	s_wait_alu 0xfffe
	s_add_nc_u64 s[64:65], s[26:27], s[64:65]
	s_wait_alu 0xfffe
	s_add_co_u32 s60, s60, s64
	s_cselect_b32 s0, -1, 0
	s_wait_alu 0xfffe
	s_cmp_lg_u32 s0, 0
	s_add_co_ci_u32 s61, s61, s65
	s_wait_alu 0xfffe
	s_mul_u64 s[62:63], s[62:63], s[60:61]
	s_wait_alu 0xfffe
	s_mul_hi_u32 s65, s60, s63
	s_mul_i32 s64, s60, s63
	s_mul_hi_u32 s26, s60, s62
	s_mul_i32 s53, s61, s62
	s_wait_alu 0xfffe
	s_add_nc_u64 s[64:65], s[26:27], s[64:65]
	s_mul_hi_u32 s0, s61, s62
	s_mul_hi_u32 s57, s61, s63
	s_wait_alu 0xfffe
	s_add_co_u32 s26, s64, s53
	s_add_co_ci_u32 s26, s65, s0
	s_mul_i32 s62, s61, s63
	s_add_co_ci_u32 s63, s57, 0
	s_wait_alu 0xfffe
	s_add_nc_u64 s[62:63], s[26:27], s[62:63]
	s_wait_alu 0xfffe
	s_add_co_u32 s0, s60, s62
	s_cselect_b32 s26, -1, 0
	s_wait_alu 0xfffe
	v_mul_hi_u32 v24, v22, s0
	s_cmp_lg_u32 s26, 0
	v_mad_co_u64_u32 v[14:15], null, v23, s0, 0
	s_add_co_ci_u32 s26, s61, s63
	s_wait_alu 0xfffe
	v_mad_co_u64_u32 v[12:13], null, v22, s26, 0
	v_mad_co_u64_u32 v[20:21], null, v23, s26, 0
	s_delay_alu instid0(VALU_DEP_2) | instskip(SKIP_1) | instid1(VALU_DEP_3)
	v_add_co_u32 v12, vcc_lo, v24, v12
	s_wait_alu 0xfffd
	v_add_co_ci_u32_e64 v13, null, 0, v13, vcc_lo
	s_delay_alu instid0(VALU_DEP_2) | instskip(SKIP_1) | instid1(VALU_DEP_2)
	v_add_co_u32 v12, vcc_lo, v12, v14
	s_wait_alu 0xfffd
	v_add_co_ci_u32_e32 v12, vcc_lo, v13, v15, vcc_lo
	s_wait_alu 0xfffd
	v_add_co_ci_u32_e32 v13, vcc_lo, 0, v21, vcc_lo
	s_delay_alu instid0(VALU_DEP_2) | instskip(SKIP_1) | instid1(VALU_DEP_2)
	v_add_co_u32 v14, vcc_lo, v12, v20
	s_wait_alu 0xfffd
	v_add_co_ci_u32_e64 v15, null, 0, v13, vcc_lo
	s_delay_alu instid0(VALU_DEP_2) | instskip(SKIP_1) | instid1(VALU_DEP_3)
	v_mul_lo_u32 v20, s59, v14
	v_mad_co_u64_u32 v[12:13], null, s58, v14, 0
	v_mul_lo_u32 v21, s58, v15
	s_delay_alu instid0(VALU_DEP_2) | instskip(NEXT) | instid1(VALU_DEP_2)
	v_sub_co_u32 v12, vcc_lo, v22, v12
	v_add3_u32 v13, v13, v21, v20
	v_add_co_u32 v21, s0, v14, 2
	s_wait_alu 0xf1ff
	v_add_co_ci_u32_e64 v22, null, 0, v15, s0
	s_delay_alu instid0(VALU_DEP_3) | instskip(SKIP_3) | instid1(VALU_DEP_3)
	v_sub_nc_u32_e32 v20, v23, v13
	v_sub_co_u32 v24, s0, v12, s58
	s_wait_alu 0xfffd
	v_sub_co_ci_u32_e64 v13, null, v23, v13, vcc_lo
	v_subrev_co_ci_u32_e64 v20, null, s59, v20, vcc_lo
	s_delay_alu instid0(VALU_DEP_3) | instskip(SKIP_1) | instid1(VALU_DEP_2)
	v_cmp_le_u32_e32 vcc_lo, s58, v24
	s_wait_alu 0xf1ff
	v_subrev_co_ci_u32_e64 v20, null, 0, v20, s0
	s_wait_alu 0xfffd
	v_cndmask_b32_e64 v23, 0, -1, vcc_lo
	s_delay_alu instid0(VALU_DEP_2)
	v_cmp_le_u32_e32 vcc_lo, s59, v20
	s_wait_alu 0xfffd
	v_cndmask_b32_e64 v24, 0, -1, vcc_lo
	v_cmp_le_u32_e32 vcc_lo, s58, v12
	s_wait_alu 0xfffd
	v_cndmask_b32_e64 v12, 0, -1, vcc_lo
	;; [unrolled: 3-line block ×3, first 2 shown]
	v_cmp_eq_u32_e32 vcc_lo, s59, v20
	s_wait_alu 0xfffd
	v_cndmask_b32_e32 v20, v24, v23, vcc_lo
	v_add_co_u32 v23, vcc_lo, v14, 1
	s_wait_alu 0xfffd
	v_add_co_ci_u32_e64 v24, null, 0, v15, vcc_lo
	v_cmp_eq_u32_e32 vcc_lo, s59, v13
	s_wait_alu 0xfffd
	v_cndmask_b32_e32 v12, v25, v12, vcc_lo
	v_cmp_ne_u32_e32 vcc_lo, 0, v20
	s_wait_alu 0xfffd
	v_cndmask_b32_e32 v13, v24, v22, vcc_lo
	s_delay_alu instid0(VALU_DEP_3) | instskip(SKIP_2) | instid1(VALU_DEP_2)
	v_cmp_ne_u32_e64 s0, 0, v12
	v_cndmask_b32_e32 v12, v23, v21, vcc_lo
	s_wait_alu 0xf1ff
	v_cndmask_b32_e64 v13, v15, v13, s0
	s_delay_alu instid0(VALU_DEP_2) | instskip(NEXT) | instid1(VALU_DEP_2)
	v_cndmask_b32_e64 v12, v14, v12, s0
	v_xor_b32_e32 v13, v13, v3
	s_delay_alu instid0(VALU_DEP_2) | instskip(NEXT) | instid1(VALU_DEP_1)
	v_xor_b32_e32 v12, v12, v3
	v_sub_co_u32 v12, vcc_lo, v12, v3
	s_wait_alu 0xfffd
	s_delay_alu instid0(VALU_DEP_3)
	v_sub_co_ci_u32_e64 v13, null, v13, v3, vcc_lo
.LBB19_15:                              ;   in Loop: Header=BB19_3 Depth=1
	s_wait_alu 0xfffe
	s_and_not1_saveexec_b32 s0, s1
	s_cbranch_execz .LBB19_17
; %bb.16:                               ;   in Loop: Header=BB19_3 Depth=1
	v_cvt_f32_u32_e32 v3, s54
	s_sub_co_i32 s1, 0, s54
	s_delay_alu instid0(VALU_DEP_1) | instskip(NEXT) | instid1(TRANS32_DEP_1)
	v_rcp_iflag_f32_e32 v3, v3
	v_mul_f32_e32 v3, 0x4f7ffffe, v3
	s_delay_alu instid0(VALU_DEP_1) | instskip(SKIP_1) | instid1(VALU_DEP_1)
	v_cvt_u32_f32_e32 v3, v3
	s_wait_alu 0xfffe
	v_mul_lo_u32 v12, s1, v3
	s_delay_alu instid0(VALU_DEP_1) | instskip(NEXT) | instid1(VALU_DEP_1)
	v_mul_hi_u32 v12, v3, v12
	v_add_nc_u32_e32 v3, v3, v12
	s_delay_alu instid0(VALU_DEP_1) | instskip(NEXT) | instid1(VALU_DEP_1)
	v_mul_hi_u32 v3, v10, v3
	v_mul_lo_u32 v12, v3, s54
	v_add_nc_u32_e32 v13, 1, v3
	s_delay_alu instid0(VALU_DEP_2) | instskip(NEXT) | instid1(VALU_DEP_1)
	v_sub_nc_u32_e32 v12, v10, v12
	v_subrev_nc_u32_e32 v14, s54, v12
	v_cmp_le_u32_e32 vcc_lo, s54, v12
	s_wait_alu 0xfffd
	s_delay_alu instid0(VALU_DEP_2) | instskip(NEXT) | instid1(VALU_DEP_1)
	v_dual_cndmask_b32 v12, v12, v14 :: v_dual_cndmask_b32 v3, v3, v13
	v_cmp_le_u32_e32 vcc_lo, s54, v12
	s_delay_alu instid0(VALU_DEP_2) | instskip(SKIP_1) | instid1(VALU_DEP_1)
	v_add_nc_u32_e32 v13, 1, v3
	s_wait_alu 0xfffd
	v_dual_cndmask_b32 v12, v3, v13 :: v_dual_mov_b32 v13, v2
.LBB19_17:                              ;   in Loop: Header=BB19_3 Depth=1
	s_wait_alu 0xfffe
	s_or_b32 exec_lo, exec_lo, s0
	s_delay_alu instid0(VALU_DEP_1) | instskip(NEXT) | instid1(VALU_DEP_2)
	v_mul_lo_u32 v3, v13, s54
	v_mul_lo_u32 v20, v12, s55
	s_load_b64 s[0:1], s[46:47], 0xd0
	v_mad_co_u64_u32 v[14:15], null, v12, s54, 0
	s_load_b64 s[54:55], s[48:49], 0xd0
	v_add3_u32 v3, v15, v20, v3
	v_sub_co_u32 v10, vcc_lo, v10, v14
	s_wait_alu 0xfffd
	s_delay_alu instid0(VALU_DEP_2) | instskip(SKIP_1) | instid1(VALU_DEP_1)
	v_sub_co_ci_u32_e64 v3, null, v11, v3, vcc_lo
	s_wait_kmcnt 0x0
	v_mul_lo_u32 v11, s0, v3
	v_mul_lo_u32 v14, s1, v10
	v_mad_co_u64_u32 v[8:9], null, s0, v10, v[8:9]
	v_mul_lo_u32 v3, s54, v3
	v_mul_lo_u32 v15, s55, v10
	v_mad_co_u64_u32 v[6:7], null, s54, v10, v[6:7]
	s_mov_b64 s[0:1], s[36:37]
	v_add3_u32 v9, v14, v9, v11
	v_dual_mov_b32 v10, v12 :: v_dual_mov_b32 v11, v13
	v_add3_u32 v7, v15, v7, v3
	s_and_not1_b32 vcc_lo, exec_lo, s73
	s_wait_alu 0xfffe
	s_cbranch_vccz .LBB19_19
	s_branch .LBB19_29
.LBB19_18:                              ;   in Loop: Header=BB19_3 Depth=1
	s_mov_b64 s[0:1], s[34:35]
	s_and_not1_b32 vcc_lo, exec_lo, s73
	s_wait_alu 0xfffe
	s_cbranch_vccnz .LBB19_29
.LBB19_19:                              ;   in Loop: Header=BB19_3 Depth=1
	s_lshl_b64 s[56:57], s[0:1], 3
	s_add_nc_u64 s[58:59], s[0:1], 1
	s_wait_alu 0xfffe
	s_add_nc_u64 s[54:55], s[50:51], s[56:57]
	s_add_nc_u64 s[56:57], s[22:23], s[56:57]
	s_branch .LBB19_21
.LBB19_20:                              ;   in Loop: Header=BB19_21 Depth=2
	s_wait_alu 0xfffe
	s_or_b32 exec_lo, exec_lo, s0
	v_mul_lo_u32 v3, v13, s60
	v_mul_lo_u32 v24, v12, s61
	v_mad_co_u64_u32 v[20:21], null, v12, s60, 0
	s_load_b64 s[0:1], s[56:57], 0xc8
	s_load_b64 s[60:61], s[54:55], 0x0
	v_mul_lo_u32 v25, v15, s66
	v_mul_lo_u32 v26, v14, s67
	v_mad_co_u64_u32 v[22:23], null, v14, s66, 0
	v_add3_u32 v3, v21, v24, v3
	v_sub_co_u32 v10, vcc_lo, v10, v20
	s_add_nc_u64 s[58:59], s[58:59], -2
	s_add_nc_u64 s[54:55], s[54:55], -16
	s_wait_alu 0xfffd
	v_sub_co_ci_u32_e64 v3, null, v11, v3, vcc_lo
	v_mul_lo_u32 v11, s65, v10
	v_mad_co_u64_u32 v[8:9], null, s64, v10, v[8:9]
	s_delay_alu instid0(VALU_DEP_3)
	v_mul_lo_u32 v20, s64, v3
	v_mul_lo_u32 v21, s63, v10
	v_mad_co_u64_u32 v[6:7], null, s62, v10, v[6:7]
	v_mul_lo_u32 v3, s62, v3
	v_add3_u32 v10, v23, v26, v25
	s_wait_alu 0xfffe
	s_cmp_eq_u64 s[58:59], 0
	s_add_nc_u64 s[56:57], s[56:57], -16
	v_add3_u32 v9, v11, v9, v20
	v_sub_co_u32 v11, vcc_lo, v12, v22
	s_wait_alu 0xfffd
	v_sub_co_ci_u32_e64 v10, null, v13, v10, vcc_lo
	v_add3_u32 v7, v21, v7, v3
	s_wait_kmcnt 0x0
	v_mad_co_u64_u32 v[8:9], null, s0, v11, v[8:9]
	s_delay_alu instid0(VALU_DEP_3) | instskip(SKIP_4) | instid1(VALU_DEP_4)
	v_mul_lo_u32 v3, s0, v10
	v_mul_lo_u32 v12, s1, v11
	;; [unrolled: 1-line block ×4, first 2 shown]
	v_mad_co_u64_u32 v[6:7], null, s60, v11, v[6:7]
	v_add3_u32 v9, v12, v9, v3
	s_delay_alu instid0(VALU_DEP_2)
	v_add3_u32 v7, v13, v7, v10
	v_dual_mov_b32 v10, v14 :: v_dual_mov_b32 v11, v15
	s_cbranch_scc1 .LBB19_29
.LBB19_21:                              ;   Parent Loop BB19_3 Depth=1
                                        ; =>  This Inner Loop Header: Depth=2
	s_load_b64 s[60:61], s[56:57], 0x8
                                        ; implicit-def: $vgpr12_vgpr13
	s_mov_b32 s0, exec_lo
	s_wait_kmcnt 0x0
	v_or_b32_e32 v3, s61, v11
	s_delay_alu instid0(VALU_DEP_1)
	v_cmpx_ne_u64_e32 0, v[2:3]
	s_wait_alu 0xfffe
	s_xor_b32 s1, exec_lo, s0
	s_cbranch_execz .LBB19_23
; %bb.22:                               ;   in Loop: Header=BB19_21 Depth=2
	s_ashr_i32 s62, s61, 31
	v_ashrrev_i32_e32 v3, 31, v11
	s_wait_alu 0xfffe
	s_mov_b32 s63, s62
	s_wait_alu 0xfffe
	s_add_nc_u64 s[64:65], s[60:61], s[62:63]
	v_add_co_u32 v12, vcc_lo, v10, v3
	s_wait_alu 0xfffe
	s_xor_b64 s[64:65], s[64:65], s[62:63]
	s_wait_alu 0xfffd
	v_add_co_ci_u32_e64 v13, null, v11, v3, vcc_lo
	s_wait_alu 0xfffe
	s_cvt_f32_u32 s0, s64
	s_cvt_f32_u32 s26, s65
	s_sub_nc_u64 s[68:69], 0, s[64:65]
	v_xor_b32_e32 v22, v12, v3
	v_xor_b32_e32 v23, v13, v3
	s_wait_alu 0xfffe
	s_fmamk_f32 s0, s26, 0x4f800000, s0
	v_xor_b32_e32 v3, s62, v3
	s_wait_alu 0xfffe
	s_delay_alu instid0(SALU_CYCLE_1) | instskip(NEXT) | instid1(TRANS32_DEP_1)
	v_s_rcp_f32 s0, s0
	s_mul_f32 s0, s0, 0x5f7ffffc
	s_wait_alu 0xfffe
	s_delay_alu instid0(SALU_CYCLE_2) | instskip(SKIP_1) | instid1(SALU_CYCLE_2)
	s_mul_f32 s26, s0, 0x2f800000
	s_wait_alu 0xfffe
	s_trunc_f32 s26, s26
	s_wait_alu 0xfffe
	s_delay_alu instid0(SALU_CYCLE_2) | instskip(SKIP_2) | instid1(SALU_CYCLE_1)
	s_fmamk_f32 s0, s26, 0xcf800000, s0
	s_cvt_u32_f32 s67, s26
	s_wait_alu 0xfffe
	s_cvt_u32_f32 s66, s0
	s_wait_alu 0xfffe
	s_delay_alu instid0(SALU_CYCLE_2)
	s_mul_u64 s[70:71], s[68:69], s[66:67]
	s_wait_alu 0xfffe
	s_mul_hi_u32 s77, s66, s71
	s_mul_i32 s76, s66, s71
	s_mul_hi_u32 s26, s66, s70
	s_mul_i32 s53, s67, s70
	s_wait_alu 0xfffe
	s_add_nc_u64 s[76:77], s[26:27], s[76:77]
	s_mul_hi_u32 s0, s67, s70
	s_mul_hi_u32 s63, s67, s71
	s_add_co_u32 s26, s76, s53
	s_wait_alu 0xfffe
	s_add_co_ci_u32 s26, s77, s0
	s_mul_i32 s70, s67, s71
	s_add_co_ci_u32 s71, s63, 0
	s_wait_alu 0xfffe
	s_add_nc_u64 s[70:71], s[26:27], s[70:71]
	s_wait_alu 0xfffe
	s_add_co_u32 s66, s66, s70
	s_cselect_b32 s0, -1, 0
	s_wait_alu 0xfffe
	s_cmp_lg_u32 s0, 0
	s_add_co_ci_u32 s67, s67, s71
	s_wait_alu 0xfffe
	s_mul_u64 s[68:69], s[68:69], s[66:67]
	s_wait_alu 0xfffe
	s_mul_hi_u32 s71, s66, s69
	s_mul_i32 s70, s66, s69
	s_mul_hi_u32 s26, s66, s68
	s_mul_i32 s53, s67, s68
	s_wait_alu 0xfffe
	s_add_nc_u64 s[70:71], s[26:27], s[70:71]
	s_mul_hi_u32 s0, s67, s68
	s_mul_hi_u32 s63, s67, s69
	s_wait_alu 0xfffe
	s_add_co_u32 s26, s70, s53
	s_add_co_ci_u32 s26, s71, s0
	s_mul_i32 s68, s67, s69
	s_add_co_ci_u32 s69, s63, 0
	s_wait_alu 0xfffe
	s_add_nc_u64 s[68:69], s[26:27], s[68:69]
	s_wait_alu 0xfffe
	s_add_co_u32 s0, s66, s68
	s_cselect_b32 s26, -1, 0
	s_wait_alu 0xfffe
	v_mul_hi_u32 v24, v22, s0
	s_cmp_lg_u32 s26, 0
	v_mad_co_u64_u32 v[14:15], null, v23, s0, 0
	s_add_co_ci_u32 s26, s67, s69
	s_wait_alu 0xfffe
	v_mad_co_u64_u32 v[12:13], null, v22, s26, 0
	v_mad_co_u64_u32 v[20:21], null, v23, s26, 0
	s_delay_alu instid0(VALU_DEP_2) | instskip(SKIP_1) | instid1(VALU_DEP_3)
	v_add_co_u32 v12, vcc_lo, v24, v12
	s_wait_alu 0xfffd
	v_add_co_ci_u32_e64 v13, null, 0, v13, vcc_lo
	s_delay_alu instid0(VALU_DEP_2) | instskip(SKIP_1) | instid1(VALU_DEP_2)
	v_add_co_u32 v12, vcc_lo, v12, v14
	s_wait_alu 0xfffd
	v_add_co_ci_u32_e32 v12, vcc_lo, v13, v15, vcc_lo
	s_wait_alu 0xfffd
	v_add_co_ci_u32_e32 v13, vcc_lo, 0, v21, vcc_lo
	s_delay_alu instid0(VALU_DEP_2) | instskip(SKIP_1) | instid1(VALU_DEP_2)
	v_add_co_u32 v14, vcc_lo, v12, v20
	s_wait_alu 0xfffd
	v_add_co_ci_u32_e64 v15, null, 0, v13, vcc_lo
	s_delay_alu instid0(VALU_DEP_2) | instskip(SKIP_1) | instid1(VALU_DEP_3)
	v_mul_lo_u32 v20, s65, v14
	v_mad_co_u64_u32 v[12:13], null, s64, v14, 0
	v_mul_lo_u32 v21, s64, v15
	s_delay_alu instid0(VALU_DEP_2) | instskip(NEXT) | instid1(VALU_DEP_2)
	v_sub_co_u32 v12, vcc_lo, v22, v12
	v_add3_u32 v13, v13, v21, v20
	v_add_co_u32 v21, s0, v14, 2
	s_wait_alu 0xf1ff
	v_add_co_ci_u32_e64 v22, null, 0, v15, s0
	s_delay_alu instid0(VALU_DEP_3) | instskip(SKIP_3) | instid1(VALU_DEP_3)
	v_sub_nc_u32_e32 v20, v23, v13
	v_sub_co_u32 v24, s0, v12, s64
	s_wait_alu 0xfffd
	v_sub_co_ci_u32_e64 v13, null, v23, v13, vcc_lo
	v_subrev_co_ci_u32_e64 v20, null, s65, v20, vcc_lo
	s_delay_alu instid0(VALU_DEP_3) | instskip(SKIP_1) | instid1(VALU_DEP_2)
	v_cmp_le_u32_e32 vcc_lo, s64, v24
	s_wait_alu 0xf1ff
	v_subrev_co_ci_u32_e64 v20, null, 0, v20, s0
	s_wait_alu 0xfffd
	v_cndmask_b32_e64 v23, 0, -1, vcc_lo
	s_delay_alu instid0(VALU_DEP_2)
	v_cmp_le_u32_e32 vcc_lo, s65, v20
	s_wait_alu 0xfffd
	v_cndmask_b32_e64 v24, 0, -1, vcc_lo
	v_cmp_le_u32_e32 vcc_lo, s64, v12
	s_wait_alu 0xfffd
	v_cndmask_b32_e64 v12, 0, -1, vcc_lo
	;; [unrolled: 3-line block ×3, first 2 shown]
	v_cmp_eq_u32_e32 vcc_lo, s65, v20
	s_wait_alu 0xfffd
	v_cndmask_b32_e32 v20, v24, v23, vcc_lo
	v_add_co_u32 v23, vcc_lo, v14, 1
	s_wait_alu 0xfffd
	v_add_co_ci_u32_e64 v24, null, 0, v15, vcc_lo
	v_cmp_eq_u32_e32 vcc_lo, s65, v13
	s_wait_alu 0xfffd
	v_cndmask_b32_e32 v12, v25, v12, vcc_lo
	v_cmp_ne_u32_e32 vcc_lo, 0, v20
	s_wait_alu 0xfffd
	v_cndmask_b32_e32 v13, v24, v22, vcc_lo
	s_delay_alu instid0(VALU_DEP_3) | instskip(SKIP_2) | instid1(VALU_DEP_2)
	v_cmp_ne_u32_e64 s0, 0, v12
	v_cndmask_b32_e32 v12, v23, v21, vcc_lo
	s_wait_alu 0xf1ff
	v_cndmask_b32_e64 v13, v15, v13, s0
	s_delay_alu instid0(VALU_DEP_2) | instskip(NEXT) | instid1(VALU_DEP_2)
	v_cndmask_b32_e64 v12, v14, v12, s0
	v_xor_b32_e32 v13, v13, v3
	s_delay_alu instid0(VALU_DEP_2) | instskip(NEXT) | instid1(VALU_DEP_1)
	v_xor_b32_e32 v12, v12, v3
	v_sub_co_u32 v12, vcc_lo, v12, v3
	s_wait_alu 0xfffd
	s_delay_alu instid0(VALU_DEP_3)
	v_sub_co_ci_u32_e64 v13, null, v13, v3, vcc_lo
.LBB19_23:                              ;   in Loop: Header=BB19_21 Depth=2
	s_wait_alu 0xfffe
	s_and_not1_saveexec_b32 s0, s1
	s_cbranch_execz .LBB19_25
; %bb.24:                               ;   in Loop: Header=BB19_21 Depth=2
	v_cvt_f32_u32_e32 v3, s60
	s_sub_co_i32 s1, 0, s60
	s_delay_alu instid0(VALU_DEP_1) | instskip(NEXT) | instid1(TRANS32_DEP_1)
	v_rcp_iflag_f32_e32 v3, v3
	v_mul_f32_e32 v3, 0x4f7ffffe, v3
	s_delay_alu instid0(VALU_DEP_1) | instskip(SKIP_1) | instid1(VALU_DEP_1)
	v_cvt_u32_f32_e32 v3, v3
	s_wait_alu 0xfffe
	v_mul_lo_u32 v12, s1, v3
	s_delay_alu instid0(VALU_DEP_1) | instskip(NEXT) | instid1(VALU_DEP_1)
	v_mul_hi_u32 v12, v3, v12
	v_add_nc_u32_e32 v3, v3, v12
	s_delay_alu instid0(VALU_DEP_1) | instskip(NEXT) | instid1(VALU_DEP_1)
	v_mul_hi_u32 v3, v10, v3
	v_mul_lo_u32 v12, v3, s60
	v_add_nc_u32_e32 v13, 1, v3
	s_delay_alu instid0(VALU_DEP_2) | instskip(NEXT) | instid1(VALU_DEP_1)
	v_sub_nc_u32_e32 v12, v10, v12
	v_subrev_nc_u32_e32 v14, s60, v12
	v_cmp_le_u32_e32 vcc_lo, s60, v12
	s_wait_alu 0xfffd
	s_delay_alu instid0(VALU_DEP_2) | instskip(NEXT) | instid1(VALU_DEP_1)
	v_dual_cndmask_b32 v12, v12, v14 :: v_dual_cndmask_b32 v3, v3, v13
	v_cmp_le_u32_e32 vcc_lo, s60, v12
	s_delay_alu instid0(VALU_DEP_2) | instskip(SKIP_1) | instid1(VALU_DEP_1)
	v_add_nc_u32_e32 v13, 1, v3
	s_wait_alu 0xfffd
	v_dual_cndmask_b32 v12, v3, v13 :: v_dual_mov_b32 v13, v2
.LBB19_25:                              ;   in Loop: Header=BB19_21 Depth=2
	s_wait_alu 0xfffe
	s_or_b32 exec_lo, exec_lo, s0
	s_clause 0x1
	s_load_b64 s[66:67], s[56:57], 0x0
	s_load_b64 s[64:65], s[56:57], 0xd0
	;; [unrolled: 1-line block ×3, first 2 shown]
                                        ; implicit-def: $vgpr14_vgpr15
	s_mov_b32 s0, exec_lo
	s_wait_kmcnt 0x0
	v_or_b32_e32 v3, s67, v13
	s_delay_alu instid0(VALU_DEP_1)
	v_cmpx_ne_u64_e32 0, v[2:3]
	s_wait_alu 0xfffe
	s_xor_b32 s1, exec_lo, s0
	s_cbranch_execz .LBB19_27
; %bb.26:                               ;   in Loop: Header=BB19_21 Depth=2
	s_ashr_i32 s68, s67, 31
	v_ashrrev_i32_e32 v3, 31, v13
	s_wait_alu 0xfffe
	s_mov_b32 s69, s68
	s_wait_alu 0xfffe
	s_add_nc_u64 s[70:71], s[66:67], s[68:69]
	v_add_co_u32 v14, vcc_lo, v12, v3
	s_wait_alu 0xfffe
	s_xor_b64 s[70:71], s[70:71], s[68:69]
	s_wait_alu 0xfffd
	v_add_co_ci_u32_e64 v15, null, v13, v3, vcc_lo
	s_wait_alu 0xfffe
	s_cvt_f32_u32 s0, s70
	s_cvt_f32_u32 s26, s71
	s_sub_nc_u64 s[78:79], 0, s[70:71]
	v_xor_b32_e32 v24, v14, v3
	v_xor_b32_e32 v25, v15, v3
	s_wait_alu 0xfffe
	s_fmamk_f32 s0, s26, 0x4f800000, s0
	v_xor_b32_e32 v3, s68, v3
	s_wait_alu 0xfffe
	s_delay_alu instid0(SALU_CYCLE_1) | instskip(NEXT) | instid1(TRANS32_DEP_1)
	v_s_rcp_f32 s0, s0
	s_mul_f32 s0, s0, 0x5f7ffffc
	s_wait_alu 0xfffe
	s_delay_alu instid0(SALU_CYCLE_2) | instskip(SKIP_1) | instid1(SALU_CYCLE_2)
	s_mul_f32 s26, s0, 0x2f800000
	s_wait_alu 0xfffe
	s_trunc_f32 s26, s26
	s_wait_alu 0xfffe
	s_delay_alu instid0(SALU_CYCLE_2) | instskip(SKIP_2) | instid1(SALU_CYCLE_1)
	s_fmamk_f32 s0, s26, 0xcf800000, s0
	s_cvt_u32_f32 s77, s26
	s_wait_alu 0xfffe
	s_cvt_u32_f32 s76, s0
	s_delay_alu instid0(SALU_CYCLE_3) | instskip(NEXT) | instid1(SALU_CYCLE_1)
	s_mul_u64 s[80:81], s[78:79], s[76:77]
	s_mul_hi_u32 s83, s76, s81
	s_mul_i32 s82, s76, s81
	s_mul_hi_u32 s26, s76, s80
	s_mul_i32 s53, s77, s80
	s_wait_alu 0xfffe
	s_add_nc_u64 s[82:83], s[26:27], s[82:83]
	s_mul_hi_u32 s0, s77, s80
	s_mul_hi_u32 s69, s77, s81
	s_add_co_u32 s26, s82, s53
	s_wait_alu 0xfffe
	s_add_co_ci_u32 s26, s83, s0
	s_mul_i32 s80, s77, s81
	s_add_co_ci_u32 s81, s69, 0
	s_wait_alu 0xfffe
	s_add_nc_u64 s[80:81], s[26:27], s[80:81]
	s_delay_alu instid0(SALU_CYCLE_1) | instskip(SKIP_4) | instid1(SALU_CYCLE_1)
	s_add_co_u32 s76, s76, s80
	s_cselect_b32 s0, -1, 0
	s_wait_alu 0xfffe
	s_cmp_lg_u32 s0, 0
	s_add_co_ci_u32 s77, s77, s81
	s_mul_u64 s[78:79], s[78:79], s[76:77]
	s_delay_alu instid0(SALU_CYCLE_1)
	s_mul_hi_u32 s81, s76, s79
	s_mul_i32 s80, s76, s79
	s_mul_hi_u32 s26, s76, s78
	s_mul_i32 s53, s77, s78
	s_wait_alu 0xfffe
	s_add_nc_u64 s[80:81], s[26:27], s[80:81]
	s_mul_hi_u32 s0, s77, s78
	s_mul_hi_u32 s69, s77, s79
	s_add_co_u32 s26, s80, s53
	s_wait_alu 0xfffe
	s_add_co_ci_u32 s26, s81, s0
	s_mul_i32 s78, s77, s79
	s_add_co_ci_u32 s79, s69, 0
	s_wait_alu 0xfffe
	s_add_nc_u64 s[78:79], s[26:27], s[78:79]
	s_delay_alu instid0(SALU_CYCLE_1)
	s_add_co_u32 s0, s76, s78
	s_cselect_b32 s26, -1, 0
	s_wait_alu 0xfffe
	v_mul_hi_u32 v26, v24, s0
	s_cmp_lg_u32 s26, 0
	v_mad_co_u64_u32 v[20:21], null, v25, s0, 0
	s_add_co_ci_u32 s26, s77, s79
	s_wait_alu 0xfffe
	v_mad_co_u64_u32 v[14:15], null, v24, s26, 0
	v_mad_co_u64_u32 v[22:23], null, v25, s26, 0
	s_delay_alu instid0(VALU_DEP_2) | instskip(SKIP_1) | instid1(VALU_DEP_3)
	v_add_co_u32 v14, vcc_lo, v26, v14
	s_wait_alu 0xfffd
	v_add_co_ci_u32_e64 v15, null, 0, v15, vcc_lo
	s_delay_alu instid0(VALU_DEP_2) | instskip(SKIP_1) | instid1(VALU_DEP_2)
	v_add_co_u32 v14, vcc_lo, v14, v20
	s_wait_alu 0xfffd
	v_add_co_ci_u32_e32 v14, vcc_lo, v15, v21, vcc_lo
	s_wait_alu 0xfffd
	v_add_co_ci_u32_e32 v15, vcc_lo, 0, v23, vcc_lo
	s_delay_alu instid0(VALU_DEP_2) | instskip(SKIP_1) | instid1(VALU_DEP_2)
	v_add_co_u32 v20, vcc_lo, v14, v22
	s_wait_alu 0xfffd
	v_add_co_ci_u32_e64 v21, null, 0, v15, vcc_lo
	s_delay_alu instid0(VALU_DEP_2) | instskip(SKIP_1) | instid1(VALU_DEP_3)
	v_mul_lo_u32 v22, s71, v20
	v_mad_co_u64_u32 v[14:15], null, s70, v20, 0
	v_mul_lo_u32 v23, s70, v21
	s_delay_alu instid0(VALU_DEP_2) | instskip(NEXT) | instid1(VALU_DEP_2)
	v_sub_co_u32 v14, vcc_lo, v24, v14
	v_add3_u32 v15, v15, v23, v22
	v_add_co_u32 v23, s0, v20, 2
	s_wait_alu 0xf1ff
	v_add_co_ci_u32_e64 v24, null, 0, v21, s0
	s_delay_alu instid0(VALU_DEP_3) | instskip(SKIP_3) | instid1(VALU_DEP_3)
	v_sub_nc_u32_e32 v22, v25, v15
	v_sub_co_u32 v26, s0, v14, s70
	s_wait_alu 0xfffd
	v_sub_co_ci_u32_e64 v15, null, v25, v15, vcc_lo
	v_subrev_co_ci_u32_e64 v22, null, s71, v22, vcc_lo
	s_delay_alu instid0(VALU_DEP_3) | instskip(SKIP_1) | instid1(VALU_DEP_2)
	v_cmp_le_u32_e32 vcc_lo, s70, v26
	s_wait_alu 0xf1ff
	v_subrev_co_ci_u32_e64 v22, null, 0, v22, s0
	s_wait_alu 0xfffd
	v_cndmask_b32_e64 v25, 0, -1, vcc_lo
	s_delay_alu instid0(VALU_DEP_2)
	v_cmp_le_u32_e32 vcc_lo, s71, v22
	s_wait_alu 0xfffd
	v_cndmask_b32_e64 v26, 0, -1, vcc_lo
	v_cmp_le_u32_e32 vcc_lo, s70, v14
	s_wait_alu 0xfffd
	v_cndmask_b32_e64 v14, 0, -1, vcc_lo
	;; [unrolled: 3-line block ×3, first 2 shown]
	v_cmp_eq_u32_e32 vcc_lo, s71, v22
	s_wait_alu 0xfffd
	v_cndmask_b32_e32 v22, v26, v25, vcc_lo
	v_add_co_u32 v25, vcc_lo, v20, 1
	s_wait_alu 0xfffd
	v_add_co_ci_u32_e64 v26, null, 0, v21, vcc_lo
	v_cmp_eq_u32_e32 vcc_lo, s71, v15
	s_wait_alu 0xfffd
	v_cndmask_b32_e32 v14, v27, v14, vcc_lo
	v_cmp_ne_u32_e32 vcc_lo, 0, v22
	s_wait_alu 0xfffd
	v_cndmask_b32_e32 v15, v26, v24, vcc_lo
	s_delay_alu instid0(VALU_DEP_3) | instskip(SKIP_2) | instid1(VALU_DEP_2)
	v_cmp_ne_u32_e64 s0, 0, v14
	v_cndmask_b32_e32 v14, v25, v23, vcc_lo
	s_wait_alu 0xf1ff
	v_cndmask_b32_e64 v15, v21, v15, s0
	s_delay_alu instid0(VALU_DEP_2) | instskip(NEXT) | instid1(VALU_DEP_2)
	v_cndmask_b32_e64 v14, v20, v14, s0
	v_xor_b32_e32 v15, v15, v3
	s_delay_alu instid0(VALU_DEP_2) | instskip(NEXT) | instid1(VALU_DEP_1)
	v_xor_b32_e32 v14, v14, v3
	v_sub_co_u32 v14, vcc_lo, v14, v3
	s_wait_alu 0xfffd
	s_delay_alu instid0(VALU_DEP_3)
	v_sub_co_ci_u32_e64 v15, null, v15, v3, vcc_lo
.LBB19_27:                              ;   in Loop: Header=BB19_21 Depth=2
	s_wait_alu 0xfffe
	s_and_not1_saveexec_b32 s0, s1
	s_cbranch_execz .LBB19_20
; %bb.28:                               ;   in Loop: Header=BB19_21 Depth=2
	v_cvt_f32_u32_e32 v3, s66
	s_sub_co_i32 s1, 0, s66
	s_delay_alu instid0(VALU_DEP_1) | instskip(NEXT) | instid1(TRANS32_DEP_1)
	v_rcp_iflag_f32_e32 v3, v3
	v_mul_f32_e32 v3, 0x4f7ffffe, v3
	s_delay_alu instid0(VALU_DEP_1) | instskip(SKIP_1) | instid1(VALU_DEP_1)
	v_cvt_u32_f32_e32 v3, v3
	s_wait_alu 0xfffe
	v_mul_lo_u32 v14, s1, v3
	s_delay_alu instid0(VALU_DEP_1) | instskip(NEXT) | instid1(VALU_DEP_1)
	v_mul_hi_u32 v14, v3, v14
	v_add_nc_u32_e32 v3, v3, v14
	s_delay_alu instid0(VALU_DEP_1) | instskip(NEXT) | instid1(VALU_DEP_1)
	v_mul_hi_u32 v3, v12, v3
	v_mul_lo_u32 v14, v3, s66
	v_add_nc_u32_e32 v15, 1, v3
	s_delay_alu instid0(VALU_DEP_2) | instskip(NEXT) | instid1(VALU_DEP_1)
	v_sub_nc_u32_e32 v14, v12, v14
	v_subrev_nc_u32_e32 v20, s66, v14
	v_cmp_le_u32_e32 vcc_lo, s66, v14
	s_wait_alu 0xfffd
	s_delay_alu instid0(VALU_DEP_2) | instskip(NEXT) | instid1(VALU_DEP_1)
	v_dual_cndmask_b32 v14, v14, v20 :: v_dual_cndmask_b32 v3, v3, v15
	v_cmp_le_u32_e32 vcc_lo, s66, v14
	s_delay_alu instid0(VALU_DEP_2) | instskip(SKIP_1) | instid1(VALU_DEP_1)
	v_add_nc_u32_e32 v15, 1, v3
	s_wait_alu 0xfffd
	v_dual_cndmask_b32 v14, v3, v15 :: v_dual_mov_b32 v15, v2
	s_branch .LBB19_20
.LBB19_29:                              ;   in Loop: Header=BB19_3 Depth=1
	v_sub_co_u32 v10, vcc_lo, v4, v18
	s_wait_alu 0xfffd
	v_sub_co_ci_u32_e64 v11, null, v5, v19, vcc_lo
	v_dual_mov_b32 v3, 0 :: v_dual_mov_b32 v12, 0
	s_mov_b32 s0, exec_lo
	s_delay_alu instid0(VALU_DEP_2)
	v_cmpx_ge_i64_e64 s[4:5], v[10:11]
	s_cbranch_execz .LBB19_39
; %bb.30:                               ;   in Loop: Header=BB19_3 Depth=1
	v_dual_mov_b32 v3, 0 :: v_dual_mov_b32 v12, 0
	s_mov_b32 s1, exec_lo
	v_cmpx_gt_i64_e64 s[10:11], v[4:5]
	s_cbranch_execz .LBB19_38
; %bb.31:                               ;   in Loop: Header=BB19_3 Depth=1
	v_lshlrev_b64_e32 v[8:9], 1, v[8:9]
	v_mov_b32_e32 v3, v2
	s_delay_alu instid0(VALU_DEP_2) | instskip(SKIP_1) | instid1(VALU_DEP_3)
	v_add_co_u32 v8, vcc_lo, s20, v8
	s_wait_alu 0xfffd
	v_add_co_ci_u32_e64 v9, null, s21, v9, vcc_lo
	v_add_co_u32 v12, vcc_lo, v4, 1
	s_wait_alu 0xfffd
	v_add_co_ci_u32_e64 v13, null, 0, v5, vcc_lo
	s_delay_alu instid0(VALU_DEP_1)
	v_cmp_gt_i64_e32 vcc_lo, s[10:11], v[12:13]
	v_mov_b32_e32 v12, 0
	global_load_d16_b16 v3, v[8:9], off
	s_and_saveexec_b32 s26, vcc_lo
	s_wait_alu 0xfffe
	s_xor_b32 s26, exec_lo, s26
	s_cbranch_execz .LBB19_37
; %bb.32:                               ;   in Loop: Header=BB19_3 Depth=1
	s_lshl_b64 s[54:55], s[18:19], 1
	s_wait_alu 0xfffe
	v_add_co_u32 v12, vcc_lo, v8, s54
	s_wait_alu 0xfffd
	v_add_co_ci_u32_e64 v13, null, s55, v9, vcc_lo
	s_wait_loadcnt 0x0
	global_load_d16_hi_b16 v3, v[12:13], off
	v_add_co_u32 v12, vcc_lo, v4, 2
	s_wait_alu 0xfffd
	v_add_co_ci_u32_e64 v13, null, 0, v5, vcc_lo
	s_delay_alu instid0(VALU_DEP_1)
	v_cmp_gt_i64_e32 vcc_lo, s[10:11], v[12:13]
	v_mov_b32_e32 v12, 0
	s_and_saveexec_b32 s53, vcc_lo
	s_wait_alu 0xfffe
	s_xor_b32 s53, exec_lo, s53
	s_cbranch_execz .LBB19_36
; %bb.33:                               ;   in Loop: Header=BB19_3 Depth=1
	v_add_co_u32 v13, vcc_lo, v8, s42
	s_wait_alu 0xfffd
	v_add_co_ci_u32_e64 v14, null, s43, v9, vcc_lo
	v_mov_b32_e32 v12, v2
	s_mov_b32 s54, exec_lo
	global_load_d16_b16 v12, v[13:14], off
	v_add_co_u32 v13, vcc_lo, v4, 3
	s_wait_alu 0xfffd
	v_add_co_ci_u32_e64 v14, null, 0, v5, vcc_lo
	s_delay_alu instid0(VALU_DEP_1)
	v_cmpx_gt_i64_e64 s[10:11], v[13:14]
	s_wait_alu 0xfffe
	s_xor_b32 s54, exec_lo, s54
	s_cbranch_execz .LBB19_35
; %bb.34:                               ;   in Loop: Header=BB19_3 Depth=1
	v_add_co_u32 v8, vcc_lo, v8, s44
	s_wait_alu 0xfffd
	v_add_co_ci_u32_e64 v9, null, s45, v9, vcc_lo
	s_wait_loadcnt 0x0
	global_load_d16_hi_b16 v12, v[8:9], off
.LBB19_35:                              ;   in Loop: Header=BB19_3 Depth=1
	s_wait_alu 0xfffe
	s_or_b32 exec_lo, exec_lo, s54
.LBB19_36:                              ;   in Loop: Header=BB19_3 Depth=1
	s_wait_alu 0xfffe
	s_or_b32 exec_lo, exec_lo, s53
.LBB19_37:                              ;   in Loop: Header=BB19_3 Depth=1
	s_wait_alu 0xfffe
	s_or_b32 exec_lo, exec_lo, s26
.LBB19_38:                              ;   in Loop: Header=BB19_3 Depth=1
	s_wait_alu 0xfffe
	s_or_b32 exec_lo, exec_lo, s1
	v_add_co_u32 v8, vcc_lo, v10, 1
	s_wait_alu 0xfffd
	v_add_co_ci_u32_e64 v9, null, 0, v11, vcc_lo
	v_add_co_u32 v13, vcc_lo, v10, 2
	s_wait_alu 0xfffd
	v_add_co_ci_u32_e64 v14, null, 0, v11, vcc_lo
	;; [unrolled: 3-line block ×3, first 2 shown]
	s_delay_alu instid0(VALU_DEP_3)
	v_cmp_ge_i64_e32 vcc_lo, s[30:31], v[13:14]
	s_wait_loadcnt 0x0
	v_lshrrev_b32_e32 v15, 16, v3
	v_lshrrev_b32_e32 v18, 16, v12
	s_wait_alu 0xfffd
	v_cndmask_b32_e32 v13, 0, v12, vcc_lo
	v_cmp_ge_i64_e32 vcc_lo, s[28:29], v[8:9]
	s_wait_alu 0xfffd
	v_cndmask_b32_e32 v8, 0, v15, vcc_lo
	v_cmp_ge_i64_e32 vcc_lo, s[4:5], v[10:11]
	s_delay_alu instid0(VALU_DEP_2) | instskip(SKIP_2) | instid1(VALU_DEP_1)
	v_perm_b32 v12, v8, v3, 0x5040100
	s_wait_alu 0xfffd
	v_cndmask_b32_e32 v9, 0, v18, vcc_lo
	v_perm_b32 v3, v9, v13, 0x5040100
.LBB19_39:                              ;   in Loop: Header=BB19_3 Depth=1
	s_wait_alu 0xfffe
	s_or_b32 exec_lo, exec_lo, s0
	s_delay_alu instid0(SALU_CYCLE_1)
	s_mov_b32 s0, exec_lo
	v_cmpx_gt_i64_e64 s[10:11], v[4:5]
	s_cbranch_execz .LBB19_2
; %bb.40:                               ;   in Loop: Header=BB19_3 Depth=1
	v_lshlrev_b64_e32 v[6:7], 1, v[6:7]
	v_add_co_u32 v8, vcc_lo, v4, 1
	s_wait_alu 0xfffd
	v_add_co_ci_u32_e64 v9, null, 0, v5, vcc_lo
	s_mov_b32 s1, exec_lo
	v_add_co_u32 v6, vcc_lo, s24, v6
	s_wait_alu 0xfffd
	v_add_co_ci_u32_e64 v7, null, s25, v7, vcc_lo
	global_store_b16 v[6:7], v12, off
	v_cmpx_gt_i64_e64 s[10:11], v[8:9]
	s_wait_alu 0xfffe
	s_xor_b32 s1, exec_lo, s1
	s_cbranch_execz .LBB19_2
; %bb.41:                               ;   in Loop: Header=BB19_3 Depth=1
	s_lshl_b64 s[54:55], s[14:15], 1
	v_add_co_u32 v8, vcc_lo, v4, 2
	s_wait_alu 0xfffd
	v_add_co_ci_u32_e64 v9, null, 0, v5, vcc_lo
	s_wait_alu 0xfffe
	v_add_co_u32 v10, vcc_lo, v6, s54
	s_wait_alu 0xfffd
	v_add_co_ci_u32_e64 v11, null, s55, v7, vcc_lo
	s_mov_b32 s1, exec_lo
	global_store_d16_hi_b16 v[10:11], v12, off
	v_cmpx_gt_i64_e64 s[10:11], v[8:9]
	s_wait_alu 0xfffe
	s_xor_b32 s1, exec_lo, s1
	s_cbranch_execz .LBB19_2
; %bb.42:                               ;   in Loop: Header=BB19_3 Depth=1
	v_add_co_u32 v4, vcc_lo, v4, 3
	s_wait_alu 0xfffd
	v_add_co_ci_u32_e64 v5, null, 0, v5, vcc_lo
	v_add_co_u32 v8, vcc_lo, v6, s38
	s_wait_alu 0xfffd
	v_add_co_ci_u32_e64 v9, null, s39, v7, vcc_lo
	s_mov_b32 s1, exec_lo
	global_store_b16 v[8:9], v3, off
	v_cmpx_gt_i64_e64 s[10:11], v[4:5]
	s_wait_alu 0xfffe
	s_xor_b32 s1, exec_lo, s1
	s_cbranch_execz .LBB19_2
; %bb.43:                               ;   in Loop: Header=BB19_3 Depth=1
	v_add_co_u32 v4, vcc_lo, v6, s40
	s_wait_alu 0xfffd
	v_add_co_ci_u32_e64 v5, null, s41, v7, vcc_lo
	global_store_d16_hi_b16 v[4:5], v3, off
	s_branch .LBB19_2
.LBB19_44:
	s_endpgm
	.section	.rodata,"a",@progbits
	.p2align	6, 0x0
	.amdhsa_kernel _ZN2at6native16triu_tril_kernelIslLb0ELi4ELb0EEEvNS_4cuda6detail10TensorInfoIT_T0_EENS4_IKS5_S6_EEllS6_
		.amdhsa_group_segment_fixed_size 0
		.amdhsa_private_segment_fixed_size 0
		.amdhsa_kernarg_size 1112
		.amdhsa_user_sgpr_count 2
		.amdhsa_user_sgpr_dispatch_ptr 0
		.amdhsa_user_sgpr_queue_ptr 0
		.amdhsa_user_sgpr_kernarg_segment_ptr 1
		.amdhsa_user_sgpr_dispatch_id 0
		.amdhsa_user_sgpr_private_segment_size 0
		.amdhsa_wavefront_size32 1
		.amdhsa_uses_dynamic_stack 0
		.amdhsa_enable_private_segment 0
		.amdhsa_system_sgpr_workgroup_id_x 1
		.amdhsa_system_sgpr_workgroup_id_y 0
		.amdhsa_system_sgpr_workgroup_id_z 0
		.amdhsa_system_sgpr_workgroup_info 0
		.amdhsa_system_vgpr_workitem_id 0
		.amdhsa_next_free_vgpr 28
		.amdhsa_next_free_sgpr 84
		.amdhsa_reserve_vcc 1
		.amdhsa_float_round_mode_32 0
		.amdhsa_float_round_mode_16_64 0
		.amdhsa_float_denorm_mode_32 3
		.amdhsa_float_denorm_mode_16_64 3
		.amdhsa_fp16_overflow 0
		.amdhsa_workgroup_processor_mode 1
		.amdhsa_memory_ordered 1
		.amdhsa_forward_progress 1
		.amdhsa_inst_pref_size 55
		.amdhsa_round_robin_scheduling 0
		.amdhsa_exception_fp_ieee_invalid_op 0
		.amdhsa_exception_fp_denorm_src 0
		.amdhsa_exception_fp_ieee_div_zero 0
		.amdhsa_exception_fp_ieee_overflow 0
		.amdhsa_exception_fp_ieee_underflow 0
		.amdhsa_exception_fp_ieee_inexact 0
		.amdhsa_exception_int_div_zero 0
	.end_amdhsa_kernel
	.section	.text._ZN2at6native16triu_tril_kernelIslLb0ELi4ELb0EEEvNS_4cuda6detail10TensorInfoIT_T0_EENS4_IKS5_S6_EEllS6_,"axG",@progbits,_ZN2at6native16triu_tril_kernelIslLb0ELi4ELb0EEEvNS_4cuda6detail10TensorInfoIT_T0_EENS4_IKS5_S6_EEllS6_,comdat
.Lfunc_end19:
	.size	_ZN2at6native16triu_tril_kernelIslLb0ELi4ELb0EEEvNS_4cuda6detail10TensorInfoIT_T0_EENS4_IKS5_S6_EEllS6_, .Lfunc_end19-_ZN2at6native16triu_tril_kernelIslLb0ELi4ELb0EEEvNS_4cuda6detail10TensorInfoIT_T0_EENS4_IKS5_S6_EEllS6_
                                        ; -- End function
	.set _ZN2at6native16triu_tril_kernelIslLb0ELi4ELb0EEEvNS_4cuda6detail10TensorInfoIT_T0_EENS4_IKS5_S6_EEllS6_.num_vgpr, 28
	.set _ZN2at6native16triu_tril_kernelIslLb0ELi4ELb0EEEvNS_4cuda6detail10TensorInfoIT_T0_EENS4_IKS5_S6_EEllS6_.num_agpr, 0
	.set _ZN2at6native16triu_tril_kernelIslLb0ELi4ELb0EEEvNS_4cuda6detail10TensorInfoIT_T0_EENS4_IKS5_S6_EEllS6_.numbered_sgpr, 84
	.set _ZN2at6native16triu_tril_kernelIslLb0ELi4ELb0EEEvNS_4cuda6detail10TensorInfoIT_T0_EENS4_IKS5_S6_EEllS6_.num_named_barrier, 0
	.set _ZN2at6native16triu_tril_kernelIslLb0ELi4ELb0EEEvNS_4cuda6detail10TensorInfoIT_T0_EENS4_IKS5_S6_EEllS6_.private_seg_size, 0
	.set _ZN2at6native16triu_tril_kernelIslLb0ELi4ELb0EEEvNS_4cuda6detail10TensorInfoIT_T0_EENS4_IKS5_S6_EEllS6_.uses_vcc, 1
	.set _ZN2at6native16triu_tril_kernelIslLb0ELi4ELb0EEEvNS_4cuda6detail10TensorInfoIT_T0_EENS4_IKS5_S6_EEllS6_.uses_flat_scratch, 0
	.set _ZN2at6native16triu_tril_kernelIslLb0ELi4ELb0EEEvNS_4cuda6detail10TensorInfoIT_T0_EENS4_IKS5_S6_EEllS6_.has_dyn_sized_stack, 0
	.set _ZN2at6native16triu_tril_kernelIslLb0ELi4ELb0EEEvNS_4cuda6detail10TensorInfoIT_T0_EENS4_IKS5_S6_EEllS6_.has_recursion, 0
	.set _ZN2at6native16triu_tril_kernelIslLb0ELi4ELb0EEEvNS_4cuda6detail10TensorInfoIT_T0_EENS4_IKS5_S6_EEllS6_.has_indirect_call, 0
	.section	.AMDGPU.csdata,"",@progbits
; Kernel info:
; codeLenInByte = 6944
; TotalNumSgprs: 86
; NumVgprs: 28
; ScratchSize: 0
; MemoryBound: 0
; FloatMode: 240
; IeeeMode: 1
; LDSByteSize: 0 bytes/workgroup (compile time only)
; SGPRBlocks: 0
; VGPRBlocks: 3
; NumSGPRsForWavesPerEU: 86
; NumVGPRsForWavesPerEU: 28
; Occupancy: 16
; WaveLimiterHint : 0
; COMPUTE_PGM_RSRC2:SCRATCH_EN: 0
; COMPUTE_PGM_RSRC2:USER_SGPR: 2
; COMPUTE_PGM_RSRC2:TRAP_HANDLER: 0
; COMPUTE_PGM_RSRC2:TGID_X_EN: 1
; COMPUTE_PGM_RSRC2:TGID_Y_EN: 0
; COMPUTE_PGM_RSRC2:TGID_Z_EN: 0
; COMPUTE_PGM_RSRC2:TIDIG_COMP_CNT: 0
	.section	.text._ZN2at6native16triu_tril_kernelIdiLb0ELi2ELb1EEEvNS_4cuda6detail10TensorInfoIT_T0_EENS4_IKS5_S6_EEllS6_,"axG",@progbits,_ZN2at6native16triu_tril_kernelIdiLb0ELi2ELb1EEEvNS_4cuda6detail10TensorInfoIT_T0_EENS4_IKS5_S6_EEllS6_,comdat
	.protected	_ZN2at6native16triu_tril_kernelIdiLb0ELi2ELb1EEEvNS_4cuda6detail10TensorInfoIT_T0_EENS4_IKS5_S6_EEllS6_ ; -- Begin function _ZN2at6native16triu_tril_kernelIdiLb0ELi2ELb1EEEvNS_4cuda6detail10TensorInfoIT_T0_EENS4_IKS5_S6_EEllS6_
	.globl	_ZN2at6native16triu_tril_kernelIdiLb0ELi2ELb1EEEvNS_4cuda6detail10TensorInfoIT_T0_EENS4_IKS5_S6_EEllS6_
	.p2align	8
	.type	_ZN2at6native16triu_tril_kernelIdiLb0ELi2ELb1EEEvNS_4cuda6detail10TensorInfoIT_T0_EENS4_IKS5_S6_EEllS6_,@function
_ZN2at6native16triu_tril_kernelIdiLb0ELi2ELb1EEEvNS_4cuda6detail10TensorInfoIT_T0_EENS4_IKS5_S6_EEllS6_: ; @_ZN2at6native16triu_tril_kernelIdiLb0ELi2ELb1EEEvNS_4cuda6detail10TensorInfoIT_T0_EENS4_IKS5_S6_EEllS6_
; %bb.0:
	s_clause 0x1
	s_load_b32 s2, s[0:1], 0x1d4
	s_load_b128 s[4:7], s[0:1], 0x1b0
	v_mov_b32_e32 v2, 0
	s_mov_b32 s3, exec_lo
	s_delay_alu instid0(VALU_DEP_1)
	v_mov_b32_e32 v1, v2
	s_wait_kmcnt 0x0
	s_and_b32 s2, s2, 0xffff
	s_delay_alu instid0(VALU_DEP_1) | instid1(SALU_CYCLE_1)
	v_mad_co_u64_u32 v[0:1], null, s2, ttmp9, v[0:1]
	s_delay_alu instid0(VALU_DEP_1) | instskip(NEXT) | instid1(VALU_DEP_1)
	v_lshlrev_b64_e32 v[0:1], 1, v[0:1]
	v_cmpx_gt_i64_e64 s[6:7], v[0:1]
	s_cbranch_execz .LBB20_62
; %bb.1:
	s_clause 0x1
	s_load_b32 s20, s[0:1], 0x1a8
	s_load_b32 s8, s[0:1], 0x1c0
	s_add_nc_u64 s[12:13], s[0:1], 0x1c8
	s_add_nc_u64 s[10:11], s[0:1], 0xd8
	s_load_b32 s3, s[12:13], 0x0
	s_mov_b32 s19, 0
	s_mov_b32 s57, 0
	s_wait_kmcnt 0x0
	s_ashr_i32 s21, s20, 31
	v_cvt_f32_u32_e32 v3, s8
	s_lshl_b64 s[22:23], s[20:21], 2
	s_add_co_i32 s9, s20, 6
	s_add_nc_u64 s[12:13], s[10:11], s[22:23]
	s_mul_i32 s3, s3, s2
	s_clause 0x1
	s_load_b32 s14, s[12:13], 0x0
	s_load_b64 s[16:17], s[0:1], 0x0
	v_rcp_iflag_f32_e32 v3, v3
	s_and_b32 s18, s20, 7
	s_add_co_i32 s33, s20, -3
	s_and_b32 s52, s9, 7
	s_lshl_b32 s53, s3, 1
	s_ashr_i32 s9, s8, 31
	v_cmp_gt_i64_e64 s56, s[20:21], 2
	s_add_nc_u64 s[20:21], s[0:1], s[22:23]
	s_wait_kmcnt 0x0
	v_cvt_f32_u32_e32 v4, s14
	s_ashr_i32 s15, s14, 31
	s_cmp_lg_u32 s18, 2
	s_cselect_b32 s54, -1, 0
	s_delay_alu instid0(VALU_DEP_1)
	v_rcp_iflag_f32_e32 v4, v4
	v_mul_f32_e32 v3, 0x4f7ffffe, v3
	s_cmp_gt_u32 s33, 6
	s_cselect_b32 s55, -1, 0
	s_sub_co_i32 s2, 0, s8
	s_wait_alu 0xfffe
	s_ashr_i32 s22, s9, 31
	s_ashr_i32 s24, s15, 31
	s_delay_alu instid0(TRANS32_DEP_1) | instskip(SKIP_1) | instid1(VALU_DEP_2)
	v_mul_f32_e32 v4, 0x4f7ffffe, v4
	v_cvt_u32_f32_e32 v3, v3
	v_cvt_u32_f32_e32 v25, v4
	s_delay_alu instid0(VALU_DEP_2) | instskip(NEXT) | instid1(VALU_DEP_1)
	v_mul_lo_u32 v5, s2, v3
	v_mul_hi_u32 v5, v3, v5
	s_delay_alu instid0(VALU_DEP_1)
	v_add_nc_u32_e32 v26, v3, v5
	s_branch .LBB20_3
.LBB20_2:                               ;   in Loop: Header=BB20_3 Depth=1
	s_wait_alu 0xfffe
	s_or_b32 exec_lo, exec_lo, s23
	v_add_co_u32 v0, vcc_lo, v0, s53
	s_wait_alu 0xfffd
	v_add_co_ci_u32_e64 v1, null, 0, v1, vcc_lo
	s_delay_alu instid0(VALU_DEP_1) | instskip(SKIP_1) | instid1(SALU_CYCLE_1)
	v_cmp_le_i64_e32 vcc_lo, s[6:7], v[0:1]
	s_or_b32 s57, vcc_lo, s57
	s_and_not1_b32 exec_lo, exec_lo, s57
	s_cbranch_execz .LBB20_62
.LBB20_3:                               ; =>This Loop Header: Depth=1
                                        ;     Child Loop BB20_16 Depth 2
                                        ;     Child Loop BB20_22 Depth 2
	v_or_b32_e32 v3, s9, v1
                                        ; implicit-def: $vgpr4_vgpr5
	s_mov_b32 s2, exec_lo
	s_delay_alu instid0(VALU_DEP_1)
	v_cmpx_ne_u64_e32 0, v[2:3]
	s_wait_alu 0xfffe
	s_xor_b32 s3, exec_lo, s2
	s_cbranch_execz .LBB20_5
; %bb.4:                                ;   in Loop: Header=BB20_3 Depth=1
	s_mov_b32 s23, s22
	v_ashrrev_i32_e32 v9, 31, v1
	s_wait_alu 0xfffe
	s_add_nc_u64 s[26:27], s[8:9], s[22:23]
	s_wait_alu 0xfffe
	s_xor_b64 s[26:27], s[26:27], s[22:23]
	v_add_co_u32 v3, vcc_lo, v0, v9
	s_wait_alu 0xfffe
	s_cvt_f32_u32 s2, s26
	s_cvt_f32_u32 s18, s27
	s_sub_nc_u64 s[30:31], 0, s[26:27]
	s_wait_alu 0xfffd
	v_add_co_ci_u32_e64 v4, null, v1, v9, vcc_lo
	s_wait_alu 0xfffe
	s_fmamk_f32 s2, s18, 0x4f800000, s2
	v_xor_b32_e32 v10, v3, v9
	s_delay_alu instid0(VALU_DEP_2) | instskip(SKIP_2) | instid1(TRANS32_DEP_1)
	v_xor_b32_e32 v11, v4, v9
	s_wait_alu 0xfffe
	v_s_rcp_f32 s2, s2
	s_mul_f32 s2, s2, 0x5f7ffffc
	s_wait_alu 0xfffe
	s_delay_alu instid0(SALU_CYCLE_2) | instskip(SKIP_1) | instid1(SALU_CYCLE_2)
	s_mul_f32 s18, s2, 0x2f800000
	s_wait_alu 0xfffe
	s_trunc_f32 s18, s18
	s_wait_alu 0xfffe
	s_delay_alu instid0(SALU_CYCLE_2) | instskip(SKIP_2) | instid1(SALU_CYCLE_1)
	s_fmamk_f32 s2, s18, 0xcf800000, s2
	s_cvt_u32_f32 s29, s18
	s_wait_alu 0xfffe
	s_cvt_u32_f32 s28, s2
	s_wait_alu 0xfffe
	s_delay_alu instid0(SALU_CYCLE_2)
	s_mul_u64 s[34:35], s[30:31], s[28:29]
	s_wait_alu 0xfffe
	s_mul_hi_u32 s37, s28, s35
	s_mul_i32 s36, s28, s35
	s_mul_hi_u32 s18, s28, s34
	s_mul_i32 s23, s29, s34
	s_wait_alu 0xfffe
	s_add_nc_u64 s[36:37], s[18:19], s[36:37]
	s_mul_hi_u32 s2, s29, s34
	s_mul_hi_u32 s25, s29, s35
	s_wait_alu 0xfffe
	s_add_co_u32 s18, s36, s23
	s_add_co_ci_u32 s18, s37, s2
	s_mul_i32 s34, s29, s35
	s_add_co_ci_u32 s35, s25, 0
	s_wait_alu 0xfffe
	s_add_nc_u64 s[34:35], s[18:19], s[34:35]
	s_wait_alu 0xfffe
	s_add_co_u32 s28, s28, s34
	s_cselect_b32 s2, -1, 0
	s_wait_alu 0xfffe
	s_cmp_lg_u32 s2, 0
	s_add_co_ci_u32 s29, s29, s35
	s_wait_alu 0xfffe
	s_mul_u64 s[30:31], s[30:31], s[28:29]
	s_wait_alu 0xfffe
	s_mul_hi_u32 s35, s28, s31
	s_mul_i32 s34, s28, s31
	s_mul_hi_u32 s18, s28, s30
	s_mul_i32 s23, s29, s30
	s_wait_alu 0xfffe
	s_add_nc_u64 s[34:35], s[18:19], s[34:35]
	s_mul_hi_u32 s2, s29, s30
	s_mul_hi_u32 s25, s29, s31
	s_wait_alu 0xfffe
	s_add_co_u32 s18, s34, s23
	s_add_co_ci_u32 s18, s35, s2
	s_mul_i32 s30, s29, s31
	s_add_co_ci_u32 s31, s25, 0
	s_wait_alu 0xfffe
	s_add_nc_u64 s[30:31], s[18:19], s[30:31]
	s_wait_alu 0xfffe
	s_add_co_u32 s2, s28, s30
	s_cselect_b32 s18, -1, 0
	s_wait_alu 0xfffe
	v_mul_hi_u32 v12, v10, s2
	s_cmp_lg_u32 s18, 0
	v_mad_co_u64_u32 v[5:6], null, v11, s2, 0
	s_add_co_ci_u32 s18, s29, s31
	s_wait_alu 0xfffe
	v_mad_co_u64_u32 v[3:4], null, v10, s18, 0
	v_mad_co_u64_u32 v[7:8], null, v11, s18, 0
	s_delay_alu instid0(VALU_DEP_2) | instskip(SKIP_1) | instid1(VALU_DEP_3)
	v_add_co_u32 v3, vcc_lo, v12, v3
	s_wait_alu 0xfffd
	v_add_co_ci_u32_e64 v4, null, 0, v4, vcc_lo
	s_delay_alu instid0(VALU_DEP_2) | instskip(SKIP_1) | instid1(VALU_DEP_2)
	v_add_co_u32 v3, vcc_lo, v3, v5
	s_wait_alu 0xfffd
	v_add_co_ci_u32_e32 v3, vcc_lo, v4, v6, vcc_lo
	s_wait_alu 0xfffd
	v_add_co_ci_u32_e32 v4, vcc_lo, 0, v8, vcc_lo
	s_delay_alu instid0(VALU_DEP_2) | instskip(SKIP_1) | instid1(VALU_DEP_2)
	v_add_co_u32 v5, vcc_lo, v3, v7
	s_wait_alu 0xfffd
	v_add_co_ci_u32_e64 v6, null, 0, v4, vcc_lo
	s_delay_alu instid0(VALU_DEP_2) | instskip(SKIP_1) | instid1(VALU_DEP_3)
	v_mul_lo_u32 v7, s27, v5
	v_mad_co_u64_u32 v[3:4], null, s26, v5, 0
	v_mul_lo_u32 v8, s26, v6
	s_delay_alu instid0(VALU_DEP_2) | instskip(NEXT) | instid1(VALU_DEP_2)
	v_sub_co_u32 v3, vcc_lo, v10, v3
	v_add3_u32 v4, v4, v8, v7
	v_add_co_u32 v8, s2, v5, 2
	s_wait_alu 0xf1ff
	v_add_co_ci_u32_e64 v10, null, 0, v6, s2
	s_delay_alu instid0(VALU_DEP_3) | instskip(SKIP_3) | instid1(VALU_DEP_3)
	v_sub_nc_u32_e32 v7, v11, v4
	v_sub_co_u32 v12, s2, v3, s26
	s_wait_alu 0xfffd
	v_sub_co_ci_u32_e64 v4, null, v11, v4, vcc_lo
	v_subrev_co_ci_u32_e64 v7, null, s27, v7, vcc_lo
	s_delay_alu instid0(VALU_DEP_3) | instskip(SKIP_1) | instid1(VALU_DEP_2)
	v_cmp_le_u32_e32 vcc_lo, s26, v12
	s_wait_alu 0xf1ff
	v_subrev_co_ci_u32_e64 v7, null, 0, v7, s2
	s_wait_alu 0xfffd
	v_cndmask_b32_e64 v11, 0, -1, vcc_lo
	s_delay_alu instid0(VALU_DEP_2)
	v_cmp_le_u32_e32 vcc_lo, s27, v7
	s_wait_alu 0xfffd
	v_cndmask_b32_e64 v12, 0, -1, vcc_lo
	v_cmp_le_u32_e32 vcc_lo, s26, v3
	s_wait_alu 0xfffd
	v_cndmask_b32_e64 v3, 0, -1, vcc_lo
	;; [unrolled: 3-line block ×3, first 2 shown]
	v_cmp_eq_u32_e32 vcc_lo, s27, v7
	s_wait_alu 0xfffd
	v_cndmask_b32_e32 v7, v12, v11, vcc_lo
	v_add_co_u32 v11, vcc_lo, v5, 1
	s_wait_alu 0xfffd
	v_add_co_ci_u32_e64 v12, null, 0, v6, vcc_lo
	v_cmp_eq_u32_e32 vcc_lo, s27, v4
	s_wait_alu 0xfffd
	v_cndmask_b32_e32 v3, v13, v3, vcc_lo
	v_cmp_ne_u32_e32 vcc_lo, 0, v7
	v_xor_b32_e32 v7, s22, v9
	s_wait_alu 0xfffd
	v_cndmask_b32_e32 v4, v12, v10, vcc_lo
	v_cmp_ne_u32_e64 s2, 0, v3
	v_cndmask_b32_e32 v3, v11, v8, vcc_lo
	s_wait_alu 0xf1ff
	s_delay_alu instid0(VALU_DEP_2) | instskip(NEXT) | instid1(VALU_DEP_2)
	v_cndmask_b32_e64 v4, v6, v4, s2
	v_cndmask_b32_e64 v3, v5, v3, s2
	s_delay_alu instid0(VALU_DEP_2) | instskip(NEXT) | instid1(VALU_DEP_2)
	v_xor_b32_e32 v5, v4, v7
	v_xor_b32_e32 v3, v3, v7
	s_delay_alu instid0(VALU_DEP_1) | instskip(SKIP_1) | instid1(VALU_DEP_3)
	v_sub_co_u32 v4, vcc_lo, v3, v7
	s_wait_alu 0xfffd
	v_sub_co_ci_u32_e64 v5, null, v5, v7, vcc_lo
.LBB20_5:                               ;   in Loop: Header=BB20_3 Depth=1
	s_wait_alu 0xfffe
	s_and_not1_saveexec_b32 s2, s3
	s_cbranch_execz .LBB20_7
; %bb.6:                                ;   in Loop: Header=BB20_3 Depth=1
	v_mul_hi_u32 v3, v0, v26
	s_delay_alu instid0(VALU_DEP_1) | instskip(NEXT) | instid1(VALU_DEP_1)
	v_mul_lo_u32 v4, v3, s8
	v_sub_nc_u32_e32 v4, v0, v4
	s_delay_alu instid0(VALU_DEP_1) | instskip(SKIP_2) | instid1(VALU_DEP_2)
	v_subrev_nc_u32_e32 v6, s8, v4
	v_cmp_le_u32_e32 vcc_lo, s8, v4
	s_wait_alu 0xfffd
	v_dual_cndmask_b32 v4, v4, v6 :: v_dual_add_nc_u32 v5, 1, v3
	s_delay_alu instid0(VALU_DEP_1) | instskip(NEXT) | instid1(VALU_DEP_2)
	v_cndmask_b32_e32 v3, v3, v5, vcc_lo
	v_cmp_le_u32_e32 vcc_lo, s8, v4
	s_delay_alu instid0(VALU_DEP_2) | instskip(SKIP_1) | instid1(VALU_DEP_1)
	v_add_nc_u32_e32 v5, 1, v3
	s_wait_alu 0xfffd
	v_dual_cndmask_b32 v4, v3, v5 :: v_dual_mov_b32 v5, v2
.LBB20_7:                               ;   in Loop: Header=BB20_3 Depth=1
	s_wait_alu 0xfffe
	s_or_b32 exec_lo, exec_lo, s2
	s_delay_alu instid0(VALU_DEP_1) | instskip(SKIP_1) | instid1(VALU_DEP_1)
	v_or_b32_e32 v3, s15, v5
                                        ; implicit-def: $vgpr7_vgpr8
	s_mov_b32 s2, exec_lo
	v_cmpx_ne_u64_e32 0, v[2:3]
	s_wait_alu 0xfffe
	s_xor_b32 s3, exec_lo, s2
	s_cbranch_execz .LBB20_9
; %bb.8:                                ;   in Loop: Header=BB20_3 Depth=1
	s_mov_b32 s25, s24
	v_ashrrev_i32_e32 v3, 31, v5
	s_wait_alu 0xfffe
	s_add_nc_u64 s[26:27], s[14:15], s[24:25]
	s_wait_alu 0xfffe
	s_xor_b64 s[26:27], s[26:27], s[24:25]
	v_add_co_u32 v6, vcc_lo, v4, v3
	s_wait_alu 0xfffe
	s_cvt_f32_u32 s2, s26
	s_cvt_f32_u32 s18, s27
	s_sub_nc_u64 s[30:31], 0, s[26:27]
	s_wait_alu 0xfffd
	v_add_co_ci_u32_e64 v5, null, v5, v3, vcc_lo
	s_wait_alu 0xfffe
	s_fmamk_f32 s2, s18, 0x4f800000, s2
	v_xor_b32_e32 v11, v6, v3
	s_delay_alu instid0(VALU_DEP_2) | instskip(SKIP_3) | instid1(TRANS32_DEP_1)
	v_xor_b32_e32 v12, v5, v3
	s_wait_alu 0xfffe
	v_s_rcp_f32 s2, s2
	v_xor_b32_e32 v3, s24, v3
	s_mul_f32 s2, s2, 0x5f7ffffc
	s_wait_alu 0xfffe
	s_delay_alu instid0(SALU_CYCLE_2) | instskip(SKIP_1) | instid1(SALU_CYCLE_2)
	s_mul_f32 s18, s2, 0x2f800000
	s_wait_alu 0xfffe
	s_trunc_f32 s18, s18
	s_wait_alu 0xfffe
	s_delay_alu instid0(SALU_CYCLE_2) | instskip(SKIP_2) | instid1(SALU_CYCLE_1)
	s_fmamk_f32 s2, s18, 0xcf800000, s2
	s_cvt_u32_f32 s29, s18
	s_wait_alu 0xfffe
	s_cvt_u32_f32 s28, s2
	s_wait_alu 0xfffe
	s_delay_alu instid0(SALU_CYCLE_2)
	s_mul_u64 s[34:35], s[30:31], s[28:29]
	s_wait_alu 0xfffe
	s_mul_hi_u32 s37, s28, s35
	s_mul_i32 s36, s28, s35
	s_mul_hi_u32 s18, s28, s34
	s_mul_i32 s23, s29, s34
	s_wait_alu 0xfffe
	s_add_nc_u64 s[36:37], s[18:19], s[36:37]
	s_mul_hi_u32 s2, s29, s34
	s_mul_hi_u32 s25, s29, s35
	s_wait_alu 0xfffe
	s_add_co_u32 s18, s36, s23
	s_add_co_ci_u32 s18, s37, s2
	s_mul_i32 s34, s29, s35
	s_add_co_ci_u32 s35, s25, 0
	s_wait_alu 0xfffe
	s_add_nc_u64 s[34:35], s[18:19], s[34:35]
	s_wait_alu 0xfffe
	s_add_co_u32 s28, s28, s34
	s_cselect_b32 s2, -1, 0
	s_wait_alu 0xfffe
	s_cmp_lg_u32 s2, 0
	s_add_co_ci_u32 s29, s29, s35
	s_wait_alu 0xfffe
	s_mul_u64 s[30:31], s[30:31], s[28:29]
	s_wait_alu 0xfffe
	s_mul_hi_u32 s35, s28, s31
	s_mul_i32 s34, s28, s31
	s_mul_hi_u32 s18, s28, s30
	s_mul_i32 s23, s29, s30
	s_wait_alu 0xfffe
	s_add_nc_u64 s[34:35], s[18:19], s[34:35]
	s_mul_hi_u32 s2, s29, s30
	s_mul_hi_u32 s25, s29, s31
	s_wait_alu 0xfffe
	s_add_co_u32 s18, s34, s23
	s_add_co_ci_u32 s18, s35, s2
	s_mul_i32 s30, s29, s31
	s_add_co_ci_u32 s31, s25, 0
	s_wait_alu 0xfffe
	s_add_nc_u64 s[30:31], s[18:19], s[30:31]
	s_wait_alu 0xfffe
	s_add_co_u32 s2, s28, s30
	s_cselect_b32 s18, -1, 0
	s_wait_alu 0xfffe
	v_mul_hi_u32 v13, v11, s2
	s_cmp_lg_u32 s18, 0
	v_mad_co_u64_u32 v[7:8], null, v12, s2, 0
	s_add_co_ci_u32 s18, s29, s31
	s_wait_alu 0xfffe
	v_mad_co_u64_u32 v[5:6], null, v11, s18, 0
	v_mad_co_u64_u32 v[9:10], null, v12, s18, 0
	s_delay_alu instid0(VALU_DEP_2) | instskip(SKIP_1) | instid1(VALU_DEP_3)
	v_add_co_u32 v5, vcc_lo, v13, v5
	s_wait_alu 0xfffd
	v_add_co_ci_u32_e64 v6, null, 0, v6, vcc_lo
	s_delay_alu instid0(VALU_DEP_2) | instskip(SKIP_1) | instid1(VALU_DEP_2)
	v_add_co_u32 v5, vcc_lo, v5, v7
	s_wait_alu 0xfffd
	v_add_co_ci_u32_e32 v5, vcc_lo, v6, v8, vcc_lo
	s_wait_alu 0xfffd
	v_add_co_ci_u32_e32 v6, vcc_lo, 0, v10, vcc_lo
	s_delay_alu instid0(VALU_DEP_2) | instskip(SKIP_1) | instid1(VALU_DEP_2)
	v_add_co_u32 v7, vcc_lo, v5, v9
	s_wait_alu 0xfffd
	v_add_co_ci_u32_e64 v8, null, 0, v6, vcc_lo
	s_delay_alu instid0(VALU_DEP_2) | instskip(SKIP_1) | instid1(VALU_DEP_3)
	v_mul_lo_u32 v9, s27, v7
	v_mad_co_u64_u32 v[5:6], null, s26, v7, 0
	v_mul_lo_u32 v10, s26, v8
	s_delay_alu instid0(VALU_DEP_2) | instskip(NEXT) | instid1(VALU_DEP_2)
	v_sub_co_u32 v5, vcc_lo, v11, v5
	v_add3_u32 v6, v6, v10, v9
	v_add_co_u32 v10, s2, v7, 2
	s_wait_alu 0xf1ff
	v_add_co_ci_u32_e64 v11, null, 0, v8, s2
	s_delay_alu instid0(VALU_DEP_3) | instskip(SKIP_3) | instid1(VALU_DEP_3)
	v_sub_nc_u32_e32 v9, v12, v6
	v_sub_co_u32 v13, s2, v5, s26
	s_wait_alu 0xfffd
	v_sub_co_ci_u32_e64 v6, null, v12, v6, vcc_lo
	v_subrev_co_ci_u32_e64 v9, null, s27, v9, vcc_lo
	s_delay_alu instid0(VALU_DEP_3) | instskip(SKIP_1) | instid1(VALU_DEP_2)
	v_cmp_le_u32_e32 vcc_lo, s26, v13
	s_wait_alu 0xf1ff
	v_subrev_co_ci_u32_e64 v9, null, 0, v9, s2
	s_wait_alu 0xfffd
	v_cndmask_b32_e64 v12, 0, -1, vcc_lo
	s_delay_alu instid0(VALU_DEP_2)
	v_cmp_le_u32_e32 vcc_lo, s27, v9
	s_wait_alu 0xfffd
	v_cndmask_b32_e64 v13, 0, -1, vcc_lo
	v_cmp_le_u32_e32 vcc_lo, s26, v5
	s_wait_alu 0xfffd
	v_cndmask_b32_e64 v5, 0, -1, vcc_lo
	;; [unrolled: 3-line block ×3, first 2 shown]
	v_cmp_eq_u32_e32 vcc_lo, s27, v9
	s_wait_alu 0xfffd
	v_cndmask_b32_e32 v9, v13, v12, vcc_lo
	v_add_co_u32 v12, vcc_lo, v7, 1
	s_wait_alu 0xfffd
	v_add_co_ci_u32_e64 v13, null, 0, v8, vcc_lo
	v_cmp_eq_u32_e32 vcc_lo, s27, v6
	s_wait_alu 0xfffd
	v_cndmask_b32_e32 v5, v14, v5, vcc_lo
	v_cmp_ne_u32_e32 vcc_lo, 0, v9
	s_wait_alu 0xfffd
	v_cndmask_b32_e32 v6, v13, v11, vcc_lo
	s_delay_alu instid0(VALU_DEP_3) | instskip(SKIP_2) | instid1(VALU_DEP_2)
	v_cmp_ne_u32_e64 s2, 0, v5
	v_cndmask_b32_e32 v5, v12, v10, vcc_lo
	s_wait_alu 0xf1ff
	v_cndmask_b32_e64 v6, v8, v6, s2
	s_delay_alu instid0(VALU_DEP_2) | instskip(NEXT) | instid1(VALU_DEP_2)
	v_cndmask_b32_e64 v5, v7, v5, s2
	v_xor_b32_e32 v6, v6, v3
	s_delay_alu instid0(VALU_DEP_2) | instskip(NEXT) | instid1(VALU_DEP_1)
	v_xor_b32_e32 v5, v5, v3
	v_sub_co_u32 v7, vcc_lo, v5, v3
	s_wait_alu 0xfffd
	s_delay_alu instid0(VALU_DEP_3)
	v_sub_co_ci_u32_e64 v8, null, v6, v3, vcc_lo
.LBB20_9:                               ;   in Loop: Header=BB20_3 Depth=1
	s_wait_alu 0xfffe
	s_and_not1_saveexec_b32 s2, s3
	s_cbranch_execz .LBB20_11
; %bb.10:                               ;   in Loop: Header=BB20_3 Depth=1
	s_sub_co_i32 s3, 0, s14
	v_mov_b32_e32 v8, v2
	s_wait_alu 0xfffe
	v_mul_lo_u32 v3, s3, v25
	s_delay_alu instid0(VALU_DEP_1) | instskip(NEXT) | instid1(VALU_DEP_1)
	v_mul_hi_u32 v3, v25, v3
	v_add_nc_u32_e32 v3, v25, v3
	s_delay_alu instid0(VALU_DEP_1) | instskip(NEXT) | instid1(VALU_DEP_1)
	v_mul_hi_u32 v3, v4, v3
	v_mul_lo_u32 v5, v3, s14
	v_add_nc_u32_e32 v6, 1, v3
	s_delay_alu instid0(VALU_DEP_2) | instskip(NEXT) | instid1(VALU_DEP_1)
	v_sub_nc_u32_e32 v5, v4, v5
	v_subrev_nc_u32_e32 v7, s14, v5
	v_cmp_le_u32_e32 vcc_lo, s14, v5
	s_wait_alu 0xfffd
	s_delay_alu instid0(VALU_DEP_2) | instskip(SKIP_1) | instid1(VALU_DEP_2)
	v_cndmask_b32_e32 v5, v5, v7, vcc_lo
	v_cndmask_b32_e32 v3, v3, v6, vcc_lo
	v_cmp_le_u32_e32 vcc_lo, s14, v5
	s_delay_alu instid0(VALU_DEP_2) | instskip(SKIP_1) | instid1(VALU_DEP_1)
	v_add_nc_u32_e32 v6, 1, v3
	s_wait_alu 0xfffd
	v_cndmask_b32_e32 v7, v3, v6, vcc_lo
.LBB20_11:                              ;   in Loop: Header=BB20_3 Depth=1
	s_wait_alu 0xfffe
	s_or_b32 exec_lo, exec_lo, s2
	v_mad_co_u64_u32 v[5:6], null, v4, s8, 0
	s_delay_alu instid0(VALU_DEP_2) | instskip(SKIP_3) | instid1(VALU_DEP_1)
	v_mad_co_u64_u32 v[9:10], null, v7, s14, 0
	s_mov_b32 s23, exec_lo
	v_sub_co_u32 v28, null, v0, v5
	v_sub_co_u32 v27, null, v4, v9
	v_sub_nc_u32_e32 v6, v28, v27
	s_delay_alu instid0(VALU_DEP_1) | instskip(NEXT) | instid1(VALU_DEP_1)
	v_add_nc_u32_e32 v3, 2, v6
	v_ashrrev_i32_e32 v4, 31, v3
	s_delay_alu instid0(VALU_DEP_1)
	v_cmpx_lt_i64_e64 s[4:5], v[3:4]
	s_cbranch_execz .LBB20_2
; %bb.12:                               ;   in Loop: Header=BB20_3 Depth=1
	s_load_b64 s[2:3], s[20:21], 0x64
	s_and_not1_b32 vcc_lo, exec_lo, s56
	s_wait_kmcnt 0x0
	v_mul_lo_u32 v3, s3, v28
	s_delay_alu instid0(VALU_DEP_1)
	v_mad_co_u64_u32 v[4:5], null, s2, v27, v[3:4]
	s_wait_alu 0xfffe
	s_cbranch_vccnz .LBB20_56
; %bb.13:                               ;   in Loop: Header=BB20_3 Depth=1
	s_mov_b32 s25, s52
	s_and_not1_b32 vcc_lo, exec_lo, s54
	s_mov_b32 s18, s33
	s_mov_b32 s2, s33
	s_wait_alu 0xfffe
	s_cbranch_vccz .LBB20_16
; %bb.14:                               ;   in Loop: Header=BB20_3 Depth=1
	s_and_not1_b32 vcc_lo, exec_lo, s55
	s_wait_alu 0xfffe
	s_cbranch_vccz .LBB20_21
	s_branch .LBB20_56
.LBB20_15:                              ;   in Loop: Header=BB20_16 Depth=2
	s_wait_alu 0xfffe
	s_or_b32 exec_lo, exec_lo, s2
	s_add_nc_u64 s[26:27], s[0:1], s[26:27]
	v_mul_lo_u32 v3, v9, s28
	s_load_b32 s2, s[26:27], 0x6c
	s_add_co_i32 s25, s25, -1
	s_add_co_i32 s18, s18, -1
	s_wait_alu 0xfffe
	s_cmp_lg_u32 s25, 0
	s_delay_alu instid0(VALU_DEP_1) | instskip(SKIP_2) | instid1(VALU_DEP_2)
	v_sub_nc_u32_e32 v3, v7, v3
	v_dual_mov_b32 v7, v9 :: v_dual_mov_b32 v8, v10
	s_wait_kmcnt 0x0
	v_mad_co_u64_u32 v[4:5], null, s2, v3, v[4:5]
	s_cbranch_scc0 .LBB20_20
.LBB20_16:                              ;   Parent Loop BB20_3 Depth=1
                                        ; =>  This Inner Loop Header: Depth=2
	s_lshl_b64 s[26:27], s[18:19], 2
                                        ; implicit-def: $vgpr9_vgpr10
	s_mov_b32 s2, exec_lo
	s_wait_alu 0xfffe
	s_add_nc_u64 s[28:29], s[10:11], s[26:27]
	s_load_b32 s28, s[28:29], 0x8
	s_wait_kmcnt 0x0
	s_ashr_i32 s29, s28, 31
	s_wait_alu 0xfffe
	v_or_b32_e32 v3, s29, v8
	s_delay_alu instid0(VALU_DEP_1)
	v_cmpx_ne_u64_e32 0, v[2:3]
	s_xor_b32 s36, exec_lo, s2
	s_cbranch_execz .LBB20_18
; %bb.17:                               ;   in Loop: Header=BB20_16 Depth=2
	s_ashr_i32 s30, s29, 31
	s_mov_b32 s43, s19
	s_wait_alu 0xfffe
	s_mov_b32 s31, s30
	s_mov_b32 s47, s19
	s_wait_alu 0xfffe
	s_add_nc_u64 s[34:35], s[28:29], s[30:31]
	v_ashrrev_i32_e32 v3, 31, v8
	s_wait_alu 0xfffe
	s_xor_b64 s[34:35], s[34:35], s[30:31]
	s_wait_alu 0xfffe
	s_cvt_f32_u32 s2, s34
	s_cvt_f32_u32 s29, s35
	s_sub_nc_u64 s[40:41], 0, s[34:35]
	v_add_co_u32 v5, vcc_lo, v7, v3
	s_wait_alu 0xfffe
	s_fmamk_f32 s2, s29, 0x4f800000, s2
	s_wait_alu 0xfffd
	v_add_co_ci_u32_e64 v8, null, v8, v3, vcc_lo
	v_xor_b32_e32 v5, v5, v3
	s_wait_alu 0xfffe
	v_s_rcp_f32 s2, s2
	s_delay_alu instid0(VALU_DEP_2) | instskip(SKIP_1) | instid1(TRANS32_DEP_1)
	v_xor_b32_e32 v14, v8, v3
	v_xor_b32_e32 v3, s30, v3
	s_mul_f32 s2, s2, 0x5f7ffffc
	s_wait_alu 0xfffe
	s_delay_alu instid0(SALU_CYCLE_2) | instskip(SKIP_1) | instid1(SALU_CYCLE_2)
	s_mul_f32 s29, s2, 0x2f800000
	s_wait_alu 0xfffe
	s_trunc_f32 s29, s29
	s_wait_alu 0xfffe
	s_delay_alu instid0(SALU_CYCLE_2) | instskip(SKIP_2) | instid1(SALU_CYCLE_1)
	s_fmamk_f32 s2, s29, 0xcf800000, s2
	s_cvt_u32_f32 s39, s29
	s_wait_alu 0xfffe
	s_cvt_u32_f32 s38, s2
	s_wait_alu 0xfffe
	s_delay_alu instid0(SALU_CYCLE_2)
	s_mul_u64 s[44:45], s[40:41], s[38:39]
	s_wait_alu 0xfffe
	s_mul_hi_u32 s49, s38, s45
	s_mul_i32 s48, s38, s45
	s_mul_hi_u32 s42, s38, s44
	s_mul_i32 s29, s39, s44
	s_wait_alu 0xfffe
	s_add_nc_u64 s[42:43], s[42:43], s[48:49]
	s_mul_hi_u32 s2, s39, s44
	s_mul_hi_u32 s31, s39, s45
	s_wait_alu 0xfffe
	s_add_co_u32 s29, s42, s29
	s_add_co_ci_u32 s46, s43, s2
	s_mul_i32 s44, s39, s45
	s_add_co_ci_u32 s45, s31, 0
	s_wait_alu 0xfffe
	s_add_nc_u64 s[42:43], s[46:47], s[44:45]
	s_mov_b32 s45, s19
	s_wait_alu 0xfffe
	s_add_co_u32 s38, s38, s42
	s_cselect_b32 s2, -1, 0
	s_wait_alu 0xfffe
	s_cmp_lg_u32 s2, 0
	s_add_co_ci_u32 s39, s39, s43
	s_mov_b32 s43, s19
	s_wait_alu 0xfffe
	s_mul_u64 s[40:41], s[40:41], s[38:39]
	s_wait_alu 0xfffe
	s_mul_hi_u32 s47, s38, s41
	s_mul_i32 s46, s38, s41
	s_mul_hi_u32 s44, s38, s40
	s_mul_i32 s29, s39, s40
	s_wait_alu 0xfffe
	s_add_nc_u64 s[44:45], s[44:45], s[46:47]
	s_mul_hi_u32 s2, s39, s40
	s_mul_hi_u32 s31, s39, s41
	s_wait_alu 0xfffe
	s_add_co_u32 s29, s44, s29
	s_add_co_ci_u32 s42, s45, s2
	s_mul_i32 s40, s39, s41
	s_add_co_ci_u32 s41, s31, 0
	s_wait_alu 0xfffe
	s_add_nc_u64 s[40:41], s[42:43], s[40:41]
	s_wait_alu 0xfffe
	s_add_co_u32 s2, s38, s40
	s_cselect_b32 s29, -1, 0
	s_wait_alu 0xfffe
	v_mul_hi_u32 v15, v5, s2
	s_cmp_lg_u32 s29, 0
	v_mad_co_u64_u32 v[10:11], null, v14, s2, 0
	s_add_co_ci_u32 s29, s39, s41
	s_wait_alu 0xfffe
	v_mad_co_u64_u32 v[8:9], null, v5, s29, 0
	v_mad_co_u64_u32 v[12:13], null, v14, s29, 0
	s_delay_alu instid0(VALU_DEP_2) | instskip(SKIP_1) | instid1(VALU_DEP_3)
	v_add_co_u32 v8, vcc_lo, v15, v8
	s_wait_alu 0xfffd
	v_add_co_ci_u32_e64 v9, null, 0, v9, vcc_lo
	s_delay_alu instid0(VALU_DEP_2) | instskip(SKIP_1) | instid1(VALU_DEP_2)
	v_add_co_u32 v8, vcc_lo, v8, v10
	s_wait_alu 0xfffd
	v_add_co_ci_u32_e32 v8, vcc_lo, v9, v11, vcc_lo
	s_wait_alu 0xfffd
	v_add_co_ci_u32_e32 v9, vcc_lo, 0, v13, vcc_lo
	s_delay_alu instid0(VALU_DEP_2) | instskip(SKIP_1) | instid1(VALU_DEP_2)
	v_add_co_u32 v10, vcc_lo, v8, v12
	s_wait_alu 0xfffd
	v_add_co_ci_u32_e64 v11, null, 0, v9, vcc_lo
	s_delay_alu instid0(VALU_DEP_2) | instskip(SKIP_1) | instid1(VALU_DEP_3)
	v_mul_lo_u32 v12, s35, v10
	v_mad_co_u64_u32 v[8:9], null, s34, v10, 0
	v_mul_lo_u32 v13, s34, v11
	s_delay_alu instid0(VALU_DEP_2) | instskip(NEXT) | instid1(VALU_DEP_2)
	v_sub_co_u32 v5, vcc_lo, v5, v8
	v_add3_u32 v9, v9, v13, v12
	s_delay_alu instid0(VALU_DEP_1) | instskip(SKIP_2) | instid1(VALU_DEP_2)
	v_sub_nc_u32_e32 v12, v14, v9
	s_wait_alu 0xfffd
	v_sub_co_ci_u32_e64 v9, null, v14, v9, vcc_lo
	v_subrev_co_ci_u32_e64 v8, null, s35, v12, vcc_lo
	v_add_co_u32 v12, s2, v10, 2
	s_wait_alu 0xf1ff
	v_add_co_ci_u32_e64 v13, null, 0, v11, s2
	v_sub_co_u32 v15, s2, v5, s34
	s_wait_alu 0xf1ff
	v_subrev_co_ci_u32_e64 v8, null, 0, v8, s2
	s_delay_alu instid0(VALU_DEP_2) | instskip(SKIP_2) | instid1(VALU_DEP_3)
	v_cmp_le_u32_e32 vcc_lo, s34, v15
	s_wait_alu 0xfffd
	v_cndmask_b32_e64 v14, 0, -1, vcc_lo
	v_cmp_le_u32_e32 vcc_lo, s35, v8
	s_wait_alu 0xfffd
	v_cndmask_b32_e64 v15, 0, -1, vcc_lo
	;; [unrolled: 3-line block ×4, first 2 shown]
	v_cmp_eq_u32_e32 vcc_lo, s35, v8
	s_wait_alu 0xfffd
	v_cndmask_b32_e32 v8, v15, v14, vcc_lo
	v_add_co_u32 v14, vcc_lo, v10, 1
	s_wait_alu 0xfffd
	v_add_co_ci_u32_e64 v15, null, 0, v11, vcc_lo
	v_cmp_eq_u32_e32 vcc_lo, s35, v9
	s_wait_alu 0xfffd
	v_cndmask_b32_e32 v5, v16, v5, vcc_lo
	v_cmp_ne_u32_e32 vcc_lo, 0, v8
	s_delay_alu instid0(VALU_DEP_2) | instskip(SKIP_3) | instid1(VALU_DEP_1)
	v_cmp_ne_u32_e64 s2, 0, v5
	s_wait_alu 0xfffd
	v_dual_cndmask_b32 v8, v15, v13 :: v_dual_cndmask_b32 v5, v14, v12
	s_wait_alu 0xf1ff
	v_cndmask_b32_e64 v8, v11, v8, s2
	s_delay_alu instid0(VALU_DEP_2) | instskip(NEXT) | instid1(VALU_DEP_2)
	v_cndmask_b32_e64 v5, v10, v5, s2
	v_xor_b32_e32 v8, v8, v3
	s_delay_alu instid0(VALU_DEP_2) | instskip(NEXT) | instid1(VALU_DEP_1)
	v_xor_b32_e32 v5, v5, v3
	v_sub_co_u32 v9, vcc_lo, v5, v3
	s_wait_alu 0xfffd
	s_delay_alu instid0(VALU_DEP_3)
	v_sub_co_ci_u32_e64 v10, null, v8, v3, vcc_lo
.LBB20_18:                              ;   in Loop: Header=BB20_16 Depth=2
	s_wait_alu 0xfffe
	s_and_not1_saveexec_b32 s2, s36
	s_cbranch_execz .LBB20_15
; %bb.19:                               ;   in Loop: Header=BB20_16 Depth=2
	v_cvt_f32_u32_e32 v3, s28
	s_sub_co_i32 s29, 0, s28
	v_mov_b32_e32 v10, v2
	s_delay_alu instid0(VALU_DEP_2) | instskip(NEXT) | instid1(TRANS32_DEP_1)
	v_rcp_iflag_f32_e32 v3, v3
	v_mul_f32_e32 v3, 0x4f7ffffe, v3
	s_delay_alu instid0(VALU_DEP_1) | instskip(SKIP_1) | instid1(VALU_DEP_1)
	v_cvt_u32_f32_e32 v3, v3
	s_wait_alu 0xfffe
	v_mul_lo_u32 v5, s29, v3
	s_delay_alu instid0(VALU_DEP_1) | instskip(NEXT) | instid1(VALU_DEP_1)
	v_mul_hi_u32 v5, v3, v5
	v_add_nc_u32_e32 v3, v3, v5
	s_delay_alu instid0(VALU_DEP_1) | instskip(NEXT) | instid1(VALU_DEP_1)
	v_mul_hi_u32 v3, v7, v3
	v_mul_lo_u32 v5, v3, s28
	s_delay_alu instid0(VALU_DEP_1) | instskip(NEXT) | instid1(VALU_DEP_1)
	v_sub_nc_u32_e32 v5, v7, v5
	v_subrev_nc_u32_e32 v9, s28, v5
	v_cmp_le_u32_e32 vcc_lo, s28, v5
	s_wait_alu 0xfffd
	s_delay_alu instid0(VALU_DEP_2) | instskip(NEXT) | instid1(VALU_DEP_1)
	v_dual_cndmask_b32 v5, v5, v9 :: v_dual_add_nc_u32 v8, 1, v3
	v_cndmask_b32_e32 v3, v3, v8, vcc_lo
	s_delay_alu instid0(VALU_DEP_2) | instskip(NEXT) | instid1(VALU_DEP_2)
	v_cmp_le_u32_e32 vcc_lo, s28, v5
	v_add_nc_u32_e32 v8, 1, v3
	s_wait_alu 0xfffd
	s_delay_alu instid0(VALU_DEP_1)
	v_cndmask_b32_e32 v9, v3, v8, vcc_lo
	s_branch .LBB20_15
.LBB20_20:                              ;   in Loop: Header=BB20_3 Depth=1
	s_mov_b32 s2, s18
	s_and_not1_b32 vcc_lo, exec_lo, s55
	s_wait_alu 0xfffe
	s_cbranch_vccnz .LBB20_56
.LBB20_21:                              ;   in Loop: Header=BB20_3 Depth=1
	s_add_co_i32 s26, s2, -7
.LBB20_22:                              ;   Parent Loop BB20_3 Depth=1
                                        ; =>  This Inner Loop Header: Depth=2
	s_wait_alu 0xfffe
	s_add_co_i32 s18, s26, 7
                                        ; implicit-def: $vgpr9_vgpr10
	s_mov_b32 s2, exec_lo
	s_wait_alu 0xfffe
	s_lshl_b64 s[34:35], s[18:19], 2
	s_wait_alu 0xfffe
	s_add_nc_u64 s[28:29], s[10:11], s[34:35]
	s_load_b32 s28, s[28:29], 0x8
	s_wait_kmcnt 0x0
	s_ashr_i32 s29, s28, 31
	s_wait_alu 0xfffe
	v_or_b32_e32 v3, s29, v8
	s_delay_alu instid0(VALU_DEP_1)
	v_cmpx_ne_u64_e32 0, v[2:3]
	s_xor_b32 s25, exec_lo, s2
	s_cbranch_execz .LBB20_24
; %bb.23:                               ;   in Loop: Header=BB20_22 Depth=2
	s_ashr_i32 s30, s29, 31
	v_ashrrev_i32_e32 v3, 31, v8
	s_wait_alu 0xfffe
	s_mov_b32 s31, s30
	s_wait_alu 0xfffe
	s_add_nc_u64 s[36:37], s[28:29], s[30:31]
	v_add_co_u32 v5, vcc_lo, v7, v3
	s_wait_alu 0xfffe
	s_xor_b64 s[36:37], s[36:37], s[30:31]
	s_wait_alu 0xfffd
	v_add_co_ci_u32_e64 v8, null, v8, v3, vcc_lo
	s_wait_alu 0xfffe
	s_cvt_f32_u32 s2, s36
	s_cvt_f32_u32 s18, s37
	s_sub_nc_u64 s[40:41], 0, s[36:37]
	v_xor_b32_e32 v5, v5, v3
	v_xor_b32_e32 v14, v8, v3
	s_wait_alu 0xfffe
	s_fmamk_f32 s2, s18, 0x4f800000, s2
	v_xor_b32_e32 v3, s30, v3
	s_wait_alu 0xfffe
	s_delay_alu instid0(SALU_CYCLE_1) | instskip(NEXT) | instid1(TRANS32_DEP_1)
	v_s_rcp_f32 s2, s2
	s_mul_f32 s2, s2, 0x5f7ffffc
	s_wait_alu 0xfffe
	s_delay_alu instid0(SALU_CYCLE_2) | instskip(SKIP_1) | instid1(SALU_CYCLE_2)
	s_mul_f32 s18, s2, 0x2f800000
	s_wait_alu 0xfffe
	s_trunc_f32 s18, s18
	s_wait_alu 0xfffe
	s_delay_alu instid0(SALU_CYCLE_2) | instskip(SKIP_2) | instid1(SALU_CYCLE_1)
	s_fmamk_f32 s2, s18, 0xcf800000, s2
	s_cvt_u32_f32 s39, s18
	s_wait_alu 0xfffe
	s_cvt_u32_f32 s38, s2
	s_wait_alu 0xfffe
	s_delay_alu instid0(SALU_CYCLE_2)
	s_mul_u64 s[42:43], s[40:41], s[38:39]
	s_wait_alu 0xfffe
	s_mul_hi_u32 s45, s38, s43
	s_mul_i32 s44, s38, s43
	s_mul_hi_u32 s18, s38, s42
	s_mul_i32 s27, s39, s42
	s_wait_alu 0xfffe
	s_add_nc_u64 s[44:45], s[18:19], s[44:45]
	s_mul_hi_u32 s2, s39, s42
	s_mul_hi_u32 s29, s39, s43
	s_wait_alu 0xfffe
	s_add_co_u32 s18, s44, s27
	s_add_co_ci_u32 s18, s45, s2
	s_mul_i32 s42, s39, s43
	s_add_co_ci_u32 s43, s29, 0
	s_wait_alu 0xfffe
	s_add_nc_u64 s[42:43], s[18:19], s[42:43]
	s_wait_alu 0xfffe
	s_add_co_u32 s38, s38, s42
	s_cselect_b32 s2, -1, 0
	s_wait_alu 0xfffe
	s_cmp_lg_u32 s2, 0
	s_add_co_ci_u32 s39, s39, s43
	s_wait_alu 0xfffe
	s_mul_u64 s[40:41], s[40:41], s[38:39]
	s_wait_alu 0xfffe
	s_mul_hi_u32 s43, s38, s41
	s_mul_i32 s42, s38, s41
	s_mul_hi_u32 s18, s38, s40
	s_mul_i32 s27, s39, s40
	s_wait_alu 0xfffe
	s_add_nc_u64 s[42:43], s[18:19], s[42:43]
	s_mul_hi_u32 s2, s39, s40
	s_mul_hi_u32 s29, s39, s41
	s_wait_alu 0xfffe
	s_add_co_u32 s18, s42, s27
	s_add_co_ci_u32 s18, s43, s2
	s_mul_i32 s40, s39, s41
	s_add_co_ci_u32 s41, s29, 0
	s_wait_alu 0xfffe
	s_add_nc_u64 s[40:41], s[18:19], s[40:41]
	s_wait_alu 0xfffe
	s_add_co_u32 s2, s38, s40
	s_cselect_b32 s18, -1, 0
	s_wait_alu 0xfffe
	v_mul_hi_u32 v15, v5, s2
	s_cmp_lg_u32 s18, 0
	v_mad_co_u64_u32 v[10:11], null, v14, s2, 0
	s_add_co_ci_u32 s18, s39, s41
	s_wait_alu 0xfffe
	v_mad_co_u64_u32 v[8:9], null, v5, s18, 0
	v_mad_co_u64_u32 v[12:13], null, v14, s18, 0
	s_delay_alu instid0(VALU_DEP_2) | instskip(SKIP_1) | instid1(VALU_DEP_3)
	v_add_co_u32 v8, vcc_lo, v15, v8
	s_wait_alu 0xfffd
	v_add_co_ci_u32_e64 v9, null, 0, v9, vcc_lo
	s_delay_alu instid0(VALU_DEP_2) | instskip(SKIP_1) | instid1(VALU_DEP_2)
	v_add_co_u32 v8, vcc_lo, v8, v10
	s_wait_alu 0xfffd
	v_add_co_ci_u32_e32 v8, vcc_lo, v9, v11, vcc_lo
	s_wait_alu 0xfffd
	v_add_co_ci_u32_e32 v9, vcc_lo, 0, v13, vcc_lo
	s_delay_alu instid0(VALU_DEP_2) | instskip(SKIP_1) | instid1(VALU_DEP_2)
	v_add_co_u32 v10, vcc_lo, v8, v12
	s_wait_alu 0xfffd
	v_add_co_ci_u32_e64 v11, null, 0, v9, vcc_lo
	s_delay_alu instid0(VALU_DEP_2) | instskip(SKIP_1) | instid1(VALU_DEP_3)
	v_mul_lo_u32 v12, s37, v10
	v_mad_co_u64_u32 v[8:9], null, s36, v10, 0
	v_mul_lo_u32 v13, s36, v11
	s_delay_alu instid0(VALU_DEP_2) | instskip(NEXT) | instid1(VALU_DEP_2)
	v_sub_co_u32 v5, vcc_lo, v5, v8
	v_add3_u32 v9, v9, v13, v12
	s_delay_alu instid0(VALU_DEP_1) | instskip(SKIP_2) | instid1(VALU_DEP_2)
	v_sub_nc_u32_e32 v12, v14, v9
	s_wait_alu 0xfffd
	v_sub_co_ci_u32_e64 v9, null, v14, v9, vcc_lo
	v_subrev_co_ci_u32_e64 v8, null, s37, v12, vcc_lo
	v_add_co_u32 v12, s2, v10, 2
	s_wait_alu 0xf1ff
	v_add_co_ci_u32_e64 v13, null, 0, v11, s2
	v_sub_co_u32 v15, s2, v5, s36
	s_wait_alu 0xf1ff
	v_subrev_co_ci_u32_e64 v8, null, 0, v8, s2
	s_delay_alu instid0(VALU_DEP_2) | instskip(SKIP_2) | instid1(VALU_DEP_3)
	v_cmp_le_u32_e32 vcc_lo, s36, v15
	s_wait_alu 0xfffd
	v_cndmask_b32_e64 v14, 0, -1, vcc_lo
	v_cmp_le_u32_e32 vcc_lo, s37, v8
	s_wait_alu 0xfffd
	v_cndmask_b32_e64 v15, 0, -1, vcc_lo
	;; [unrolled: 3-line block ×4, first 2 shown]
	v_cmp_eq_u32_e32 vcc_lo, s37, v8
	s_wait_alu 0xfffd
	v_cndmask_b32_e32 v8, v15, v14, vcc_lo
	v_add_co_u32 v14, vcc_lo, v10, 1
	s_wait_alu 0xfffd
	v_add_co_ci_u32_e64 v15, null, 0, v11, vcc_lo
	v_cmp_eq_u32_e32 vcc_lo, s37, v9
	s_wait_alu 0xfffd
	v_cndmask_b32_e32 v5, v16, v5, vcc_lo
	v_cmp_ne_u32_e32 vcc_lo, 0, v8
	s_delay_alu instid0(VALU_DEP_2) | instskip(SKIP_3) | instid1(VALU_DEP_1)
	v_cmp_ne_u32_e64 s2, 0, v5
	s_wait_alu 0xfffd
	v_dual_cndmask_b32 v8, v15, v13 :: v_dual_cndmask_b32 v5, v14, v12
	s_wait_alu 0xf1ff
	v_cndmask_b32_e64 v8, v11, v8, s2
	s_delay_alu instid0(VALU_DEP_2) | instskip(NEXT) | instid1(VALU_DEP_2)
	v_cndmask_b32_e64 v5, v10, v5, s2
	v_xor_b32_e32 v8, v8, v3
	s_delay_alu instid0(VALU_DEP_2) | instskip(NEXT) | instid1(VALU_DEP_1)
	v_xor_b32_e32 v5, v5, v3
	v_sub_co_u32 v9, vcc_lo, v5, v3
	s_wait_alu 0xfffd
	s_delay_alu instid0(VALU_DEP_3)
	v_sub_co_ci_u32_e64 v10, null, v8, v3, vcc_lo
.LBB20_24:                              ;   in Loop: Header=BB20_22 Depth=2
	s_wait_alu 0xfffe
	s_and_not1_saveexec_b32 s2, s25
	s_cbranch_execz .LBB20_26
; %bb.25:                               ;   in Loop: Header=BB20_22 Depth=2
	v_cvt_f32_u32_e32 v3, s28
	s_sub_co_i32 s18, 0, s28
	v_mov_b32_e32 v10, v2
	s_delay_alu instid0(VALU_DEP_2) | instskip(NEXT) | instid1(TRANS32_DEP_1)
	v_rcp_iflag_f32_e32 v3, v3
	v_mul_f32_e32 v3, 0x4f7ffffe, v3
	s_delay_alu instid0(VALU_DEP_1) | instskip(SKIP_1) | instid1(VALU_DEP_1)
	v_cvt_u32_f32_e32 v3, v3
	s_wait_alu 0xfffe
	v_mul_lo_u32 v5, s18, v3
	s_delay_alu instid0(VALU_DEP_1) | instskip(NEXT) | instid1(VALU_DEP_1)
	v_mul_hi_u32 v5, v3, v5
	v_add_nc_u32_e32 v3, v3, v5
	s_delay_alu instid0(VALU_DEP_1) | instskip(NEXT) | instid1(VALU_DEP_1)
	v_mul_hi_u32 v3, v7, v3
	v_mul_lo_u32 v5, v3, s28
	s_delay_alu instid0(VALU_DEP_1) | instskip(NEXT) | instid1(VALU_DEP_1)
	v_sub_nc_u32_e32 v5, v7, v5
	v_subrev_nc_u32_e32 v9, s28, v5
	v_cmp_le_u32_e32 vcc_lo, s28, v5
	s_wait_alu 0xfffd
	s_delay_alu instid0(VALU_DEP_2) | instskip(NEXT) | instid1(VALU_DEP_1)
	v_dual_cndmask_b32 v5, v5, v9 :: v_dual_add_nc_u32 v8, 1, v3
	v_cndmask_b32_e32 v3, v3, v8, vcc_lo
	s_delay_alu instid0(VALU_DEP_2) | instskip(NEXT) | instid1(VALU_DEP_2)
	v_cmp_le_u32_e32 vcc_lo, s28, v5
	v_add_nc_u32_e32 v8, 1, v3
	s_wait_alu 0xfffd
	s_delay_alu instid0(VALU_DEP_1)
	v_cndmask_b32_e32 v9, v3, v8, vcc_lo
.LBB20_26:                              ;   in Loop: Header=BB20_22 Depth=2
	s_wait_alu 0xfffe
	s_or_b32 exec_lo, exec_lo, s2
	s_add_co_i32 s18, s26, 6
	s_add_nc_u64 s[34:35], s[0:1], s[34:35]
	s_wait_alu 0xfffe
	s_lshl_b64 s[36:37], s[18:19], 2
                                        ; implicit-def: $vgpr11_vgpr12
	s_mov_b32 s2, exec_lo
	s_wait_alu 0xfffe
	s_add_nc_u64 s[30:31], s[10:11], s[36:37]
	s_clause 0x1
	s_load_b32 s25, s[34:35], 0x6c
	s_load_b32 s30, s[30:31], 0x8
	s_wait_kmcnt 0x0
	s_ashr_i32 s31, s30, 31
	s_wait_alu 0xfffe
	v_or_b32_e32 v3, s31, v10
	s_delay_alu instid0(VALU_DEP_1)
	v_cmpx_ne_u64_e32 0, v[2:3]
	s_xor_b32 s27, exec_lo, s2
	s_cbranch_execz .LBB20_28
; %bb.27:                               ;   in Loop: Header=BB20_22 Depth=2
	s_ashr_i32 s34, s31, 31
	v_ashrrev_i32_e32 v3, 31, v10
	s_wait_alu 0xfffe
	s_mov_b32 s35, s34
	s_wait_alu 0xfffe
	s_add_nc_u64 s[38:39], s[30:31], s[34:35]
	v_add_co_u32 v5, vcc_lo, v9, v3
	s_wait_alu 0xfffe
	s_xor_b64 s[38:39], s[38:39], s[34:35]
	s_wait_alu 0xfffd
	v_add_co_ci_u32_e64 v8, null, v10, v3, vcc_lo
	s_wait_alu 0xfffe
	s_cvt_f32_u32 s2, s38
	s_cvt_f32_u32 s18, s39
	s_sub_nc_u64 s[42:43], 0, s[38:39]
	v_xor_b32_e32 v5, v5, v3
	v_xor_b32_e32 v8, v8, v3
	s_wait_alu 0xfffe
	s_fmamk_f32 s2, s18, 0x4f800000, s2
	v_xor_b32_e32 v3, s34, v3
	s_wait_alu 0xfffe
	s_delay_alu instid0(SALU_CYCLE_1) | instskip(NEXT) | instid1(TRANS32_DEP_1)
	v_s_rcp_f32 s2, s2
	s_mul_f32 s2, s2, 0x5f7ffffc
	s_wait_alu 0xfffe
	s_delay_alu instid0(SALU_CYCLE_2) | instskip(SKIP_1) | instid1(SALU_CYCLE_2)
	s_mul_f32 s18, s2, 0x2f800000
	s_wait_alu 0xfffe
	s_trunc_f32 s18, s18
	s_wait_alu 0xfffe
	s_delay_alu instid0(SALU_CYCLE_2) | instskip(SKIP_2) | instid1(SALU_CYCLE_1)
	s_fmamk_f32 s2, s18, 0xcf800000, s2
	s_cvt_u32_f32 s41, s18
	s_wait_alu 0xfffe
	s_cvt_u32_f32 s40, s2
	s_wait_alu 0xfffe
	s_delay_alu instid0(SALU_CYCLE_2)
	s_mul_u64 s[44:45], s[42:43], s[40:41]
	s_wait_alu 0xfffe
	s_mul_hi_u32 s47, s40, s45
	s_mul_i32 s46, s40, s45
	s_mul_hi_u32 s18, s40, s44
	s_mul_i32 s29, s41, s44
	s_wait_alu 0xfffe
	s_add_nc_u64 s[46:47], s[18:19], s[46:47]
	s_mul_hi_u32 s2, s41, s44
	s_mul_hi_u32 s31, s41, s45
	s_wait_alu 0xfffe
	s_add_co_u32 s18, s46, s29
	s_add_co_ci_u32 s18, s47, s2
	s_mul_i32 s44, s41, s45
	s_add_co_ci_u32 s45, s31, 0
	s_wait_alu 0xfffe
	s_add_nc_u64 s[44:45], s[18:19], s[44:45]
	s_wait_alu 0xfffe
	s_add_co_u32 s40, s40, s44
	s_cselect_b32 s2, -1, 0
	s_wait_alu 0xfffe
	s_cmp_lg_u32 s2, 0
	s_add_co_ci_u32 s41, s41, s45
	s_wait_alu 0xfffe
	s_mul_u64 s[42:43], s[42:43], s[40:41]
	s_wait_alu 0xfffe
	s_mul_hi_u32 s45, s40, s43
	s_mul_i32 s44, s40, s43
	s_mul_hi_u32 s18, s40, s42
	s_mul_i32 s29, s41, s42
	s_wait_alu 0xfffe
	s_add_nc_u64 s[44:45], s[18:19], s[44:45]
	s_mul_hi_u32 s2, s41, s42
	s_mul_hi_u32 s31, s41, s43
	s_wait_alu 0xfffe
	s_add_co_u32 s18, s44, s29
	s_add_co_ci_u32 s18, s45, s2
	s_mul_i32 s42, s41, s43
	s_add_co_ci_u32 s43, s31, 0
	s_wait_alu 0xfffe
	s_add_nc_u64 s[42:43], s[18:19], s[42:43]
	s_wait_alu 0xfffe
	s_add_co_u32 s2, s40, s42
	s_cselect_b32 s18, -1, 0
	s_wait_alu 0xfffe
	v_mul_hi_u32 v16, v5, s2
	s_cmp_lg_u32 s18, 0
	v_mad_co_u64_u32 v[12:13], null, v8, s2, 0
	s_add_co_ci_u32 s18, s41, s43
	s_wait_alu 0xfffe
	v_mad_co_u64_u32 v[10:11], null, v5, s18, 0
	v_mad_co_u64_u32 v[14:15], null, v8, s18, 0
	s_delay_alu instid0(VALU_DEP_2) | instskip(SKIP_1) | instid1(VALU_DEP_3)
	v_add_co_u32 v10, vcc_lo, v16, v10
	s_wait_alu 0xfffd
	v_add_co_ci_u32_e64 v11, null, 0, v11, vcc_lo
	s_delay_alu instid0(VALU_DEP_2) | instskip(SKIP_1) | instid1(VALU_DEP_2)
	v_add_co_u32 v10, vcc_lo, v10, v12
	s_wait_alu 0xfffd
	v_add_co_ci_u32_e32 v10, vcc_lo, v11, v13, vcc_lo
	s_wait_alu 0xfffd
	v_add_co_ci_u32_e32 v11, vcc_lo, 0, v15, vcc_lo
	s_delay_alu instid0(VALU_DEP_2) | instskip(SKIP_1) | instid1(VALU_DEP_2)
	v_add_co_u32 v12, vcc_lo, v10, v14
	s_wait_alu 0xfffd
	v_add_co_ci_u32_e64 v13, null, 0, v11, vcc_lo
	s_delay_alu instid0(VALU_DEP_2) | instskip(SKIP_1) | instid1(VALU_DEP_3)
	v_mul_lo_u32 v14, s39, v12
	v_mad_co_u64_u32 v[10:11], null, s38, v12, 0
	v_mul_lo_u32 v15, s38, v13
	s_delay_alu instid0(VALU_DEP_2) | instskip(NEXT) | instid1(VALU_DEP_2)
	v_sub_co_u32 v5, vcc_lo, v5, v10
	v_add3_u32 v11, v11, v15, v14
	s_delay_alu instid0(VALU_DEP_1) | instskip(SKIP_2) | instid1(VALU_DEP_2)
	v_sub_nc_u32_e32 v14, v8, v11
	s_wait_alu 0xfffd
	v_sub_co_ci_u32_e64 v8, null, v8, v11, vcc_lo
	v_subrev_co_ci_u32_e64 v10, null, s39, v14, vcc_lo
	v_add_co_u32 v14, s2, v12, 2
	s_wait_alu 0xf1ff
	v_add_co_ci_u32_e64 v15, null, 0, v13, s2
	v_sub_co_u32 v16, s2, v5, s38
	s_wait_alu 0xf1ff
	v_subrev_co_ci_u32_e64 v10, null, 0, v10, s2
	s_delay_alu instid0(VALU_DEP_2) | instskip(SKIP_2) | instid1(VALU_DEP_3)
	v_cmp_le_u32_e32 vcc_lo, s38, v16
	s_wait_alu 0xfffd
	v_cndmask_b32_e64 v11, 0, -1, vcc_lo
	v_cmp_le_u32_e32 vcc_lo, s39, v10
	s_wait_alu 0xfffd
	v_cndmask_b32_e64 v16, 0, -1, vcc_lo
	;; [unrolled: 3-line block ×4, first 2 shown]
	v_cmp_eq_u32_e32 vcc_lo, s39, v10
	s_wait_alu 0xfffd
	v_cndmask_b32_e32 v10, v16, v11, vcc_lo
	v_add_co_u32 v11, vcc_lo, v12, 1
	s_wait_alu 0xfffd
	v_add_co_ci_u32_e64 v16, null, 0, v13, vcc_lo
	v_cmp_eq_u32_e32 vcc_lo, s39, v8
	s_wait_alu 0xfffd
	v_cndmask_b32_e32 v5, v17, v5, vcc_lo
	v_cmp_ne_u32_e32 vcc_lo, 0, v10
	s_delay_alu instid0(VALU_DEP_2) | instskip(SKIP_3) | instid1(VALU_DEP_1)
	v_cmp_ne_u32_e64 s2, 0, v5
	s_wait_alu 0xfffd
	v_dual_cndmask_b32 v8, v16, v15 :: v_dual_cndmask_b32 v5, v11, v14
	s_wait_alu 0xf1ff
	v_cndmask_b32_e64 v8, v13, v8, s2
	s_delay_alu instid0(VALU_DEP_2) | instskip(NEXT) | instid1(VALU_DEP_2)
	v_cndmask_b32_e64 v5, v12, v5, s2
	v_xor_b32_e32 v8, v8, v3
	s_delay_alu instid0(VALU_DEP_2) | instskip(NEXT) | instid1(VALU_DEP_1)
	v_xor_b32_e32 v5, v5, v3
	v_sub_co_u32 v11, vcc_lo, v5, v3
	s_wait_alu 0xfffd
	s_delay_alu instid0(VALU_DEP_3)
	v_sub_co_ci_u32_e64 v12, null, v8, v3, vcc_lo
.LBB20_28:                              ;   in Loop: Header=BB20_22 Depth=2
	s_wait_alu 0xfffe
	s_and_not1_saveexec_b32 s2, s27
	s_cbranch_execz .LBB20_30
; %bb.29:                               ;   in Loop: Header=BB20_22 Depth=2
	v_cvt_f32_u32_e32 v3, s30
	s_sub_co_i32 s18, 0, s30
	v_mov_b32_e32 v12, v2
	s_delay_alu instid0(VALU_DEP_2) | instskip(NEXT) | instid1(TRANS32_DEP_1)
	v_rcp_iflag_f32_e32 v3, v3
	v_mul_f32_e32 v3, 0x4f7ffffe, v3
	s_delay_alu instid0(VALU_DEP_1) | instskip(SKIP_1) | instid1(VALU_DEP_1)
	v_cvt_u32_f32_e32 v3, v3
	s_wait_alu 0xfffe
	v_mul_lo_u32 v5, s18, v3
	s_delay_alu instid0(VALU_DEP_1) | instskip(NEXT) | instid1(VALU_DEP_1)
	v_mul_hi_u32 v5, v3, v5
	v_add_nc_u32_e32 v3, v3, v5
	s_delay_alu instid0(VALU_DEP_1) | instskip(NEXT) | instid1(VALU_DEP_1)
	v_mul_hi_u32 v3, v9, v3
	v_mul_lo_u32 v5, v3, s30
	s_delay_alu instid0(VALU_DEP_1) | instskip(NEXT) | instid1(VALU_DEP_1)
	v_sub_nc_u32_e32 v5, v9, v5
	v_subrev_nc_u32_e32 v10, s30, v5
	v_cmp_le_u32_e32 vcc_lo, s30, v5
	s_wait_alu 0xfffd
	s_delay_alu instid0(VALU_DEP_2) | instskip(NEXT) | instid1(VALU_DEP_1)
	v_dual_cndmask_b32 v5, v5, v10 :: v_dual_add_nc_u32 v8, 1, v3
	v_cndmask_b32_e32 v3, v3, v8, vcc_lo
	s_delay_alu instid0(VALU_DEP_2) | instskip(NEXT) | instid1(VALU_DEP_2)
	v_cmp_le_u32_e32 vcc_lo, s30, v5
	v_add_nc_u32_e32 v8, 1, v3
	s_wait_alu 0xfffd
	s_delay_alu instid0(VALU_DEP_1)
	v_cndmask_b32_e32 v11, v3, v8, vcc_lo
.LBB20_30:                              ;   in Loop: Header=BB20_22 Depth=2
	s_wait_alu 0xfffe
	s_or_b32 exec_lo, exec_lo, s2
	s_add_co_i32 s18, s26, 5
	s_add_nc_u64 s[36:37], s[0:1], s[36:37]
	s_wait_alu 0xfffe
	s_lshl_b64 s[38:39], s[18:19], 2
                                        ; implicit-def: $vgpr13_vgpr14
	s_mov_b32 s2, exec_lo
	s_wait_alu 0xfffe
	s_add_nc_u64 s[34:35], s[10:11], s[38:39]
	s_clause 0x1
	s_load_b32 s29, s[36:37], 0x6c
	s_load_b32 s34, s[34:35], 0x8
	s_wait_kmcnt 0x0
	s_ashr_i32 s35, s34, 31
	s_wait_alu 0xfffe
	v_or_b32_e32 v3, s35, v12
	s_delay_alu instid0(VALU_DEP_1)
	v_cmpx_ne_u64_e32 0, v[2:3]
	s_xor_b32 s27, exec_lo, s2
	s_cbranch_execz .LBB20_32
; %bb.31:                               ;   in Loop: Header=BB20_22 Depth=2
	s_ashr_i32 s36, s35, 31
	v_ashrrev_i32_e32 v3, 31, v12
	s_wait_alu 0xfffe
	s_mov_b32 s37, s36
	s_wait_alu 0xfffe
	s_add_nc_u64 s[40:41], s[34:35], s[36:37]
	v_add_co_u32 v5, vcc_lo, v11, v3
	s_wait_alu 0xfffe
	s_xor_b64 s[40:41], s[40:41], s[36:37]
	s_wait_alu 0xfffd
	v_add_co_ci_u32_e64 v8, null, v12, v3, vcc_lo
	s_wait_alu 0xfffe
	s_cvt_f32_u32 s2, s40
	s_cvt_f32_u32 s18, s41
	s_sub_nc_u64 s[44:45], 0, s[40:41]
	v_xor_b32_e32 v5, v5, v3
	v_xor_b32_e32 v8, v8, v3
	s_wait_alu 0xfffe
	s_fmamk_f32 s2, s18, 0x4f800000, s2
	v_xor_b32_e32 v3, s36, v3
	s_wait_alu 0xfffe
	s_delay_alu instid0(SALU_CYCLE_1) | instskip(NEXT) | instid1(TRANS32_DEP_1)
	v_s_rcp_f32 s2, s2
	s_mul_f32 s2, s2, 0x5f7ffffc
	s_wait_alu 0xfffe
	s_delay_alu instid0(SALU_CYCLE_2) | instskip(SKIP_1) | instid1(SALU_CYCLE_2)
	s_mul_f32 s18, s2, 0x2f800000
	s_wait_alu 0xfffe
	s_trunc_f32 s18, s18
	s_wait_alu 0xfffe
	s_delay_alu instid0(SALU_CYCLE_2) | instskip(SKIP_2) | instid1(SALU_CYCLE_1)
	s_fmamk_f32 s2, s18, 0xcf800000, s2
	s_cvt_u32_f32 s43, s18
	s_wait_alu 0xfffe
	s_cvt_u32_f32 s42, s2
	s_wait_alu 0xfffe
	s_delay_alu instid0(SALU_CYCLE_2)
	s_mul_u64 s[46:47], s[44:45], s[42:43]
	s_wait_alu 0xfffe
	s_mul_hi_u32 s49, s42, s47
	s_mul_i32 s48, s42, s47
	s_mul_hi_u32 s18, s42, s46
	s_mul_i32 s31, s43, s46
	s_wait_alu 0xfffe
	s_add_nc_u64 s[48:49], s[18:19], s[48:49]
	s_mul_hi_u32 s2, s43, s46
	s_mul_hi_u32 s35, s43, s47
	s_wait_alu 0xfffe
	s_add_co_u32 s18, s48, s31
	s_add_co_ci_u32 s18, s49, s2
	s_mul_i32 s46, s43, s47
	s_add_co_ci_u32 s47, s35, 0
	s_wait_alu 0xfffe
	s_add_nc_u64 s[46:47], s[18:19], s[46:47]
	s_wait_alu 0xfffe
	s_add_co_u32 s42, s42, s46
	s_cselect_b32 s2, -1, 0
	s_wait_alu 0xfffe
	s_cmp_lg_u32 s2, 0
	s_add_co_ci_u32 s43, s43, s47
	s_wait_alu 0xfffe
	s_mul_u64 s[44:45], s[44:45], s[42:43]
	s_wait_alu 0xfffe
	s_mul_hi_u32 s47, s42, s45
	s_mul_i32 s46, s42, s45
	s_mul_hi_u32 s18, s42, s44
	s_mul_i32 s31, s43, s44
	s_wait_alu 0xfffe
	s_add_nc_u64 s[46:47], s[18:19], s[46:47]
	s_mul_hi_u32 s2, s43, s44
	s_mul_hi_u32 s35, s43, s45
	s_wait_alu 0xfffe
	s_add_co_u32 s18, s46, s31
	s_add_co_ci_u32 s18, s47, s2
	s_mul_i32 s44, s43, s45
	s_add_co_ci_u32 s45, s35, 0
	s_wait_alu 0xfffe
	s_add_nc_u64 s[44:45], s[18:19], s[44:45]
	s_wait_alu 0xfffe
	s_add_co_u32 s2, s42, s44
	s_cselect_b32 s18, -1, 0
	s_wait_alu 0xfffe
	v_mul_hi_u32 v10, v5, s2
	s_cmp_lg_u32 s18, 0
	v_mad_co_u64_u32 v[14:15], null, v8, s2, 0
	s_add_co_ci_u32 s18, s43, s45
	s_wait_alu 0xfffe
	v_mad_co_u64_u32 v[12:13], null, v5, s18, 0
	v_mad_co_u64_u32 v[16:17], null, v8, s18, 0
	s_delay_alu instid0(VALU_DEP_2) | instskip(SKIP_1) | instid1(VALU_DEP_3)
	v_add_co_u32 v10, vcc_lo, v10, v12
	s_wait_alu 0xfffd
	v_add_co_ci_u32_e64 v12, null, 0, v13, vcc_lo
	s_delay_alu instid0(VALU_DEP_2) | instskip(SKIP_1) | instid1(VALU_DEP_2)
	v_add_co_u32 v10, vcc_lo, v10, v14
	s_wait_alu 0xfffd
	v_add_co_ci_u32_e32 v10, vcc_lo, v12, v15, vcc_lo
	s_wait_alu 0xfffd
	v_add_co_ci_u32_e32 v12, vcc_lo, 0, v17, vcc_lo
	s_delay_alu instid0(VALU_DEP_2) | instskip(SKIP_1) | instid1(VALU_DEP_2)
	v_add_co_u32 v10, vcc_lo, v10, v16
	s_wait_alu 0xfffd
	v_add_co_ci_u32_e64 v14, null, 0, v12, vcc_lo
	s_delay_alu instid0(VALU_DEP_2) | instskip(SKIP_1) | instid1(VALU_DEP_3)
	v_mul_lo_u32 v15, s41, v10
	v_mad_co_u64_u32 v[12:13], null, s40, v10, 0
	v_mul_lo_u32 v16, s40, v14
	s_delay_alu instid0(VALU_DEP_2) | instskip(NEXT) | instid1(VALU_DEP_2)
	v_sub_co_u32 v5, vcc_lo, v5, v12
	v_add3_u32 v13, v13, v16, v15
	s_delay_alu instid0(VALU_DEP_1) | instskip(SKIP_2) | instid1(VALU_DEP_2)
	v_sub_nc_u32_e32 v15, v8, v13
	s_wait_alu 0xfffd
	v_sub_co_ci_u32_e64 v8, null, v8, v13, vcc_lo
	v_subrev_co_ci_u32_e64 v12, null, s41, v15, vcc_lo
	v_add_co_u32 v15, s2, v10, 2
	s_wait_alu 0xf1ff
	v_add_co_ci_u32_e64 v16, null, 0, v14, s2
	v_sub_co_u32 v17, s2, v5, s40
	s_wait_alu 0xf1ff
	v_subrev_co_ci_u32_e64 v12, null, 0, v12, s2
	s_delay_alu instid0(VALU_DEP_2) | instskip(SKIP_2) | instid1(VALU_DEP_3)
	v_cmp_le_u32_e32 vcc_lo, s40, v17
	s_wait_alu 0xfffd
	v_cndmask_b32_e64 v13, 0, -1, vcc_lo
	v_cmp_le_u32_e32 vcc_lo, s41, v12
	s_wait_alu 0xfffd
	v_cndmask_b32_e64 v17, 0, -1, vcc_lo
	;; [unrolled: 3-line block ×4, first 2 shown]
	v_cmp_eq_u32_e32 vcc_lo, s41, v12
	s_wait_alu 0xfffd
	v_cndmask_b32_e32 v12, v17, v13, vcc_lo
	v_add_co_u32 v13, vcc_lo, v10, 1
	s_wait_alu 0xfffd
	v_add_co_ci_u32_e64 v17, null, 0, v14, vcc_lo
	v_cmp_eq_u32_e32 vcc_lo, s41, v8
	s_wait_alu 0xfffd
	v_cndmask_b32_e32 v5, v18, v5, vcc_lo
	v_cmp_ne_u32_e32 vcc_lo, 0, v12
	s_wait_alu 0xfffd
	v_cndmask_b32_e32 v8, v17, v16, vcc_lo
	s_delay_alu instid0(VALU_DEP_3) | instskip(SKIP_2) | instid1(VALU_DEP_2)
	v_cmp_ne_u32_e64 s2, 0, v5
	v_cndmask_b32_e32 v5, v13, v15, vcc_lo
	s_wait_alu 0xf1ff
	v_cndmask_b32_e64 v8, v14, v8, s2
	s_delay_alu instid0(VALU_DEP_2) | instskip(NEXT) | instid1(VALU_DEP_2)
	v_cndmask_b32_e64 v5, v10, v5, s2
	v_xor_b32_e32 v8, v8, v3
	s_delay_alu instid0(VALU_DEP_2) | instskip(NEXT) | instid1(VALU_DEP_1)
	v_xor_b32_e32 v5, v5, v3
	v_sub_co_u32 v13, vcc_lo, v5, v3
	s_wait_alu 0xfffd
	s_delay_alu instid0(VALU_DEP_3)
	v_sub_co_ci_u32_e64 v14, null, v8, v3, vcc_lo
.LBB20_32:                              ;   in Loop: Header=BB20_22 Depth=2
	s_wait_alu 0xfffe
	s_and_not1_saveexec_b32 s2, s27
	s_cbranch_execz .LBB20_34
; %bb.33:                               ;   in Loop: Header=BB20_22 Depth=2
	v_cvt_f32_u32_e32 v3, s34
	s_sub_co_i32 s18, 0, s34
	v_mov_b32_e32 v14, v2
	s_delay_alu instid0(VALU_DEP_2) | instskip(NEXT) | instid1(TRANS32_DEP_1)
	v_rcp_iflag_f32_e32 v3, v3
	v_mul_f32_e32 v3, 0x4f7ffffe, v3
	s_delay_alu instid0(VALU_DEP_1) | instskip(SKIP_1) | instid1(VALU_DEP_1)
	v_cvt_u32_f32_e32 v3, v3
	s_wait_alu 0xfffe
	v_mul_lo_u32 v5, s18, v3
	s_delay_alu instid0(VALU_DEP_1) | instskip(NEXT) | instid1(VALU_DEP_1)
	v_mul_hi_u32 v5, v3, v5
	v_add_nc_u32_e32 v3, v3, v5
	s_delay_alu instid0(VALU_DEP_1) | instskip(NEXT) | instid1(VALU_DEP_1)
	v_mul_hi_u32 v3, v11, v3
	v_mul_lo_u32 v5, v3, s34
	s_delay_alu instid0(VALU_DEP_1) | instskip(NEXT) | instid1(VALU_DEP_1)
	v_sub_nc_u32_e32 v5, v11, v5
	v_subrev_nc_u32_e32 v10, s34, v5
	v_cmp_le_u32_e32 vcc_lo, s34, v5
	s_wait_alu 0xfffd
	s_delay_alu instid0(VALU_DEP_2) | instskip(NEXT) | instid1(VALU_DEP_1)
	v_dual_cndmask_b32 v5, v5, v10 :: v_dual_add_nc_u32 v8, 1, v3
	v_cndmask_b32_e32 v3, v3, v8, vcc_lo
	s_delay_alu instid0(VALU_DEP_2) | instskip(NEXT) | instid1(VALU_DEP_2)
	v_cmp_le_u32_e32 vcc_lo, s34, v5
	v_add_nc_u32_e32 v8, 1, v3
	s_wait_alu 0xfffd
	s_delay_alu instid0(VALU_DEP_1)
	v_cndmask_b32_e32 v13, v3, v8, vcc_lo
.LBB20_34:                              ;   in Loop: Header=BB20_22 Depth=2
	s_wait_alu 0xfffe
	s_or_b32 exec_lo, exec_lo, s2
	s_add_co_i32 s18, s26, 4
	s_add_nc_u64 s[38:39], s[0:1], s[38:39]
	s_wait_alu 0xfffe
	s_lshl_b64 s[40:41], s[18:19], 2
                                        ; implicit-def: $vgpr15_vgpr16
	s_mov_b32 s2, exec_lo
	s_wait_alu 0xfffe
	s_add_nc_u64 s[36:37], s[10:11], s[40:41]
	s_clause 0x1
	s_load_b32 s31, s[38:39], 0x6c
	s_load_b32 s36, s[36:37], 0x8
	s_wait_kmcnt 0x0
	s_ashr_i32 s37, s36, 31
	s_wait_alu 0xfffe
	v_or_b32_e32 v3, s37, v14
	s_delay_alu instid0(VALU_DEP_1)
	v_cmpx_ne_u64_e32 0, v[2:3]
	s_xor_b32 s27, exec_lo, s2
	s_cbranch_execz .LBB20_36
; %bb.35:                               ;   in Loop: Header=BB20_22 Depth=2
	s_ashr_i32 s38, s37, 31
	v_ashrrev_i32_e32 v3, 31, v14
	s_wait_alu 0xfffe
	s_mov_b32 s39, s38
	s_wait_alu 0xfffe
	s_add_nc_u64 s[42:43], s[36:37], s[38:39]
	v_add_co_u32 v5, vcc_lo, v13, v3
	s_wait_alu 0xfffe
	s_xor_b64 s[42:43], s[42:43], s[38:39]
	s_wait_alu 0xfffd
	v_add_co_ci_u32_e64 v8, null, v14, v3, vcc_lo
	s_wait_alu 0xfffe
	s_cvt_f32_u32 s2, s42
	s_cvt_f32_u32 s18, s43
	s_sub_nc_u64 s[46:47], 0, s[42:43]
	v_xor_b32_e32 v5, v5, v3
	v_xor_b32_e32 v8, v8, v3
	s_wait_alu 0xfffe
	s_fmamk_f32 s2, s18, 0x4f800000, s2
	v_xor_b32_e32 v3, s38, v3
	s_wait_alu 0xfffe
	s_delay_alu instid0(SALU_CYCLE_1) | instskip(NEXT) | instid1(TRANS32_DEP_1)
	v_s_rcp_f32 s2, s2
	s_mul_f32 s2, s2, 0x5f7ffffc
	s_wait_alu 0xfffe
	s_delay_alu instid0(SALU_CYCLE_2) | instskip(SKIP_1) | instid1(SALU_CYCLE_2)
	s_mul_f32 s18, s2, 0x2f800000
	s_wait_alu 0xfffe
	s_trunc_f32 s18, s18
	s_wait_alu 0xfffe
	s_delay_alu instid0(SALU_CYCLE_2) | instskip(SKIP_2) | instid1(SALU_CYCLE_1)
	s_fmamk_f32 s2, s18, 0xcf800000, s2
	s_cvt_u32_f32 s45, s18
	s_wait_alu 0xfffe
	s_cvt_u32_f32 s44, s2
	s_wait_alu 0xfffe
	s_delay_alu instid0(SALU_CYCLE_2)
	s_mul_u64 s[48:49], s[46:47], s[44:45]
	s_wait_alu 0xfffe
	s_mul_hi_u32 s51, s44, s49
	s_mul_i32 s50, s44, s49
	s_mul_hi_u32 s18, s44, s48
	s_mul_i32 s35, s45, s48
	s_wait_alu 0xfffe
	s_add_nc_u64 s[50:51], s[18:19], s[50:51]
	s_mul_hi_u32 s2, s45, s48
	s_mul_hi_u32 s37, s45, s49
	s_wait_alu 0xfffe
	s_add_co_u32 s18, s50, s35
	s_add_co_ci_u32 s18, s51, s2
	s_mul_i32 s48, s45, s49
	s_add_co_ci_u32 s49, s37, 0
	s_wait_alu 0xfffe
	s_add_nc_u64 s[48:49], s[18:19], s[48:49]
	s_wait_alu 0xfffe
	s_add_co_u32 s44, s44, s48
	s_cselect_b32 s2, -1, 0
	s_wait_alu 0xfffe
	s_cmp_lg_u32 s2, 0
	s_add_co_ci_u32 s45, s45, s49
	s_wait_alu 0xfffe
	s_mul_u64 s[46:47], s[46:47], s[44:45]
	s_wait_alu 0xfffe
	s_mul_hi_u32 s49, s44, s47
	s_mul_i32 s48, s44, s47
	s_mul_hi_u32 s18, s44, s46
	s_mul_i32 s35, s45, s46
	s_wait_alu 0xfffe
	s_add_nc_u64 s[48:49], s[18:19], s[48:49]
	s_mul_hi_u32 s2, s45, s46
	s_mul_hi_u32 s37, s45, s47
	s_wait_alu 0xfffe
	s_add_co_u32 s18, s48, s35
	s_add_co_ci_u32 s18, s49, s2
	s_mul_i32 s46, s45, s47
	s_add_co_ci_u32 s47, s37, 0
	s_wait_alu 0xfffe
	s_add_nc_u64 s[46:47], s[18:19], s[46:47]
	s_wait_alu 0xfffe
	s_add_co_u32 s2, s44, s46
	s_cselect_b32 s18, -1, 0
	s_wait_alu 0xfffe
	v_mul_hi_u32 v10, v5, s2
	s_cmp_lg_u32 s18, 0
	v_mad_co_u64_u32 v[16:17], null, v8, s2, 0
	s_add_co_ci_u32 s18, s45, s47
	s_wait_alu 0xfffe
	v_mad_co_u64_u32 v[14:15], null, v5, s18, 0
	v_mad_co_u64_u32 v[18:19], null, v8, s18, 0
	s_delay_alu instid0(VALU_DEP_2) | instskip(SKIP_1) | instid1(VALU_DEP_3)
	v_add_co_u32 v10, vcc_lo, v10, v14
	s_wait_alu 0xfffd
	v_add_co_ci_u32_e64 v12, null, 0, v15, vcc_lo
	s_delay_alu instid0(VALU_DEP_2) | instskip(SKIP_1) | instid1(VALU_DEP_2)
	v_add_co_u32 v10, vcc_lo, v10, v16
	s_wait_alu 0xfffd
	v_add_co_ci_u32_e32 v10, vcc_lo, v12, v17, vcc_lo
	s_wait_alu 0xfffd
	v_add_co_ci_u32_e32 v12, vcc_lo, 0, v19, vcc_lo
	s_delay_alu instid0(VALU_DEP_2) | instskip(SKIP_1) | instid1(VALU_DEP_2)
	v_add_co_u32 v10, vcc_lo, v10, v18
	s_wait_alu 0xfffd
	v_add_co_ci_u32_e64 v12, null, 0, v12, vcc_lo
	s_delay_alu instid0(VALU_DEP_2) | instskip(SKIP_1) | instid1(VALU_DEP_3)
	v_mul_lo_u32 v16, s43, v10
	v_mad_co_u64_u32 v[14:15], null, s42, v10, 0
	v_mul_lo_u32 v17, s42, v12
	s_delay_alu instid0(VALU_DEP_2) | instskip(NEXT) | instid1(VALU_DEP_2)
	v_sub_co_u32 v5, vcc_lo, v5, v14
	v_add3_u32 v15, v15, v17, v16
	s_delay_alu instid0(VALU_DEP_1) | instskip(SKIP_2) | instid1(VALU_DEP_2)
	v_sub_nc_u32_e32 v16, v8, v15
	s_wait_alu 0xfffd
	v_sub_co_ci_u32_e64 v8, null, v8, v15, vcc_lo
	v_subrev_co_ci_u32_e64 v14, null, s43, v16, vcc_lo
	v_add_co_u32 v16, s2, v10, 2
	s_wait_alu 0xf1ff
	v_add_co_ci_u32_e64 v17, null, 0, v12, s2
	v_sub_co_u32 v18, s2, v5, s42
	s_wait_alu 0xf1ff
	v_subrev_co_ci_u32_e64 v14, null, 0, v14, s2
	s_delay_alu instid0(VALU_DEP_2) | instskip(SKIP_2) | instid1(VALU_DEP_3)
	v_cmp_le_u32_e32 vcc_lo, s42, v18
	s_wait_alu 0xfffd
	v_cndmask_b32_e64 v15, 0, -1, vcc_lo
	v_cmp_le_u32_e32 vcc_lo, s43, v14
	s_wait_alu 0xfffd
	v_cndmask_b32_e64 v18, 0, -1, vcc_lo
	;; [unrolled: 3-line block ×4, first 2 shown]
	v_cmp_eq_u32_e32 vcc_lo, s43, v14
	s_wait_alu 0xfffd
	v_cndmask_b32_e32 v14, v18, v15, vcc_lo
	v_add_co_u32 v15, vcc_lo, v10, 1
	s_wait_alu 0xfffd
	v_add_co_ci_u32_e64 v18, null, 0, v12, vcc_lo
	v_cmp_eq_u32_e32 vcc_lo, s43, v8
	s_wait_alu 0xfffd
	v_cndmask_b32_e32 v5, v19, v5, vcc_lo
	v_cmp_ne_u32_e32 vcc_lo, 0, v14
	s_delay_alu instid0(VALU_DEP_2) | instskip(SKIP_3) | instid1(VALU_DEP_1)
	v_cmp_ne_u32_e64 s2, 0, v5
	s_wait_alu 0xfffd
	v_dual_cndmask_b32 v8, v18, v17 :: v_dual_cndmask_b32 v5, v15, v16
	s_wait_alu 0xf1ff
	v_cndmask_b32_e64 v8, v12, v8, s2
	s_delay_alu instid0(VALU_DEP_2) | instskip(NEXT) | instid1(VALU_DEP_2)
	v_cndmask_b32_e64 v5, v10, v5, s2
	v_xor_b32_e32 v8, v8, v3
	s_delay_alu instid0(VALU_DEP_2) | instskip(NEXT) | instid1(VALU_DEP_1)
	v_xor_b32_e32 v5, v5, v3
	v_sub_co_u32 v15, vcc_lo, v5, v3
	s_wait_alu 0xfffd
	s_delay_alu instid0(VALU_DEP_3)
	v_sub_co_ci_u32_e64 v16, null, v8, v3, vcc_lo
.LBB20_36:                              ;   in Loop: Header=BB20_22 Depth=2
	s_wait_alu 0xfffe
	s_and_not1_saveexec_b32 s2, s27
	s_cbranch_execz .LBB20_38
; %bb.37:                               ;   in Loop: Header=BB20_22 Depth=2
	v_cvt_f32_u32_e32 v3, s36
	s_sub_co_i32 s18, 0, s36
	v_mov_b32_e32 v16, v2
	s_delay_alu instid0(VALU_DEP_2) | instskip(NEXT) | instid1(TRANS32_DEP_1)
	v_rcp_iflag_f32_e32 v3, v3
	v_mul_f32_e32 v3, 0x4f7ffffe, v3
	s_delay_alu instid0(VALU_DEP_1) | instskip(SKIP_1) | instid1(VALU_DEP_1)
	v_cvt_u32_f32_e32 v3, v3
	s_wait_alu 0xfffe
	v_mul_lo_u32 v5, s18, v3
	s_delay_alu instid0(VALU_DEP_1) | instskip(NEXT) | instid1(VALU_DEP_1)
	v_mul_hi_u32 v5, v3, v5
	v_add_nc_u32_e32 v3, v3, v5
	s_delay_alu instid0(VALU_DEP_1) | instskip(NEXT) | instid1(VALU_DEP_1)
	v_mul_hi_u32 v3, v13, v3
	v_mul_lo_u32 v5, v3, s36
	s_delay_alu instid0(VALU_DEP_1) | instskip(NEXT) | instid1(VALU_DEP_1)
	v_sub_nc_u32_e32 v5, v13, v5
	v_subrev_nc_u32_e32 v10, s36, v5
	v_cmp_le_u32_e32 vcc_lo, s36, v5
	s_wait_alu 0xfffd
	s_delay_alu instid0(VALU_DEP_2) | instskip(NEXT) | instid1(VALU_DEP_1)
	v_dual_cndmask_b32 v5, v5, v10 :: v_dual_add_nc_u32 v8, 1, v3
	v_cndmask_b32_e32 v3, v3, v8, vcc_lo
	s_delay_alu instid0(VALU_DEP_2) | instskip(NEXT) | instid1(VALU_DEP_2)
	v_cmp_le_u32_e32 vcc_lo, s36, v5
	v_add_nc_u32_e32 v8, 1, v3
	s_wait_alu 0xfffd
	s_delay_alu instid0(VALU_DEP_1)
	v_cndmask_b32_e32 v15, v3, v8, vcc_lo
.LBB20_38:                              ;   in Loop: Header=BB20_22 Depth=2
	s_wait_alu 0xfffe
	s_or_b32 exec_lo, exec_lo, s2
	s_add_co_i32 s18, s26, 3
	s_add_nc_u64 s[40:41], s[0:1], s[40:41]
	s_wait_alu 0xfffe
	s_lshl_b64 s[42:43], s[18:19], 2
                                        ; implicit-def: $vgpr17_vgpr18
	s_mov_b32 s2, exec_lo
	s_wait_alu 0xfffe
	s_add_nc_u64 s[38:39], s[10:11], s[42:43]
	s_clause 0x1
	s_load_b32 s35, s[40:41], 0x6c
	s_load_b32 s38, s[38:39], 0x8
	s_wait_kmcnt 0x0
	s_ashr_i32 s39, s38, 31
	s_wait_alu 0xfffe
	v_or_b32_e32 v3, s39, v16
	s_delay_alu instid0(VALU_DEP_1)
	v_cmpx_ne_u64_e32 0, v[2:3]
	s_xor_b32 s27, exec_lo, s2
	s_cbranch_execz .LBB20_40
; %bb.39:                               ;   in Loop: Header=BB20_22 Depth=2
	s_ashr_i32 s40, s39, 31
	v_ashrrev_i32_e32 v3, 31, v16
	s_wait_alu 0xfffe
	s_mov_b32 s41, s40
	s_wait_alu 0xfffe
	s_add_nc_u64 s[44:45], s[38:39], s[40:41]
	v_add_co_u32 v5, vcc_lo, v15, v3
	s_wait_alu 0xfffe
	s_xor_b64 s[44:45], s[44:45], s[40:41]
	s_wait_alu 0xfffd
	v_add_co_ci_u32_e64 v8, null, v16, v3, vcc_lo
	s_wait_alu 0xfffe
	s_cvt_f32_u32 s2, s44
	s_cvt_f32_u32 s18, s45
	s_sub_nc_u64 s[48:49], 0, s[44:45]
	v_xor_b32_e32 v5, v5, v3
	v_xor_b32_e32 v8, v8, v3
	s_wait_alu 0xfffe
	s_fmamk_f32 s2, s18, 0x4f800000, s2
	v_xor_b32_e32 v3, s40, v3
	s_wait_alu 0xfffe
	s_delay_alu instid0(SALU_CYCLE_1) | instskip(NEXT) | instid1(TRANS32_DEP_1)
	v_s_rcp_f32 s2, s2
	s_mul_f32 s2, s2, 0x5f7ffffc
	s_wait_alu 0xfffe
	s_delay_alu instid0(SALU_CYCLE_2) | instskip(SKIP_1) | instid1(SALU_CYCLE_2)
	s_mul_f32 s18, s2, 0x2f800000
	s_wait_alu 0xfffe
	s_trunc_f32 s18, s18
	s_wait_alu 0xfffe
	s_delay_alu instid0(SALU_CYCLE_2) | instskip(SKIP_2) | instid1(SALU_CYCLE_1)
	s_fmamk_f32 s2, s18, 0xcf800000, s2
	s_cvt_u32_f32 s47, s18
	s_wait_alu 0xfffe
	s_cvt_u32_f32 s46, s2
	s_wait_alu 0xfffe
	s_delay_alu instid0(SALU_CYCLE_2)
	s_mul_u64 s[50:51], s[48:49], s[46:47]
	s_wait_alu 0xfffe
	s_mul_hi_u32 s59, s46, s51
	s_mul_i32 s58, s46, s51
	s_mul_hi_u32 s18, s46, s50
	s_mul_i32 s37, s47, s50
	s_wait_alu 0xfffe
	s_add_nc_u64 s[58:59], s[18:19], s[58:59]
	s_mul_hi_u32 s2, s47, s50
	s_mul_hi_u32 s39, s47, s51
	s_add_co_u32 s18, s58, s37
	s_wait_alu 0xfffe
	s_add_co_ci_u32 s18, s59, s2
	s_mul_i32 s50, s47, s51
	s_add_co_ci_u32 s51, s39, 0
	s_wait_alu 0xfffe
	s_add_nc_u64 s[50:51], s[18:19], s[50:51]
	s_wait_alu 0xfffe
	s_add_co_u32 s46, s46, s50
	s_cselect_b32 s2, -1, 0
	s_wait_alu 0xfffe
	s_cmp_lg_u32 s2, 0
	s_add_co_ci_u32 s47, s47, s51
	s_wait_alu 0xfffe
	s_mul_u64 s[48:49], s[48:49], s[46:47]
	s_wait_alu 0xfffe
	s_mul_hi_u32 s51, s46, s49
	s_mul_i32 s50, s46, s49
	s_mul_hi_u32 s18, s46, s48
	s_mul_i32 s37, s47, s48
	s_wait_alu 0xfffe
	s_add_nc_u64 s[50:51], s[18:19], s[50:51]
	s_mul_hi_u32 s2, s47, s48
	s_mul_hi_u32 s39, s47, s49
	s_wait_alu 0xfffe
	s_add_co_u32 s18, s50, s37
	s_add_co_ci_u32 s18, s51, s2
	s_mul_i32 s48, s47, s49
	s_add_co_ci_u32 s49, s39, 0
	s_wait_alu 0xfffe
	s_add_nc_u64 s[48:49], s[18:19], s[48:49]
	s_wait_alu 0xfffe
	s_add_co_u32 s2, s46, s48
	s_cselect_b32 s18, -1, 0
	s_wait_alu 0xfffe
	v_mul_hi_u32 v10, v5, s2
	s_cmp_lg_u32 s18, 0
	v_mad_co_u64_u32 v[18:19], null, v8, s2, 0
	s_add_co_ci_u32 s18, s47, s49
	s_wait_alu 0xfffe
	v_mad_co_u64_u32 v[16:17], null, v5, s18, 0
	v_mad_co_u64_u32 v[20:21], null, v8, s18, 0
	s_delay_alu instid0(VALU_DEP_2) | instskip(SKIP_1) | instid1(VALU_DEP_3)
	v_add_co_u32 v10, vcc_lo, v10, v16
	s_wait_alu 0xfffd
	v_add_co_ci_u32_e64 v12, null, 0, v17, vcc_lo
	s_delay_alu instid0(VALU_DEP_2) | instskip(SKIP_1) | instid1(VALU_DEP_2)
	v_add_co_u32 v10, vcc_lo, v10, v18
	s_wait_alu 0xfffd
	v_add_co_ci_u32_e32 v10, vcc_lo, v12, v19, vcc_lo
	s_wait_alu 0xfffd
	v_add_co_ci_u32_e32 v12, vcc_lo, 0, v21, vcc_lo
	s_delay_alu instid0(VALU_DEP_2) | instskip(SKIP_1) | instid1(VALU_DEP_2)
	v_add_co_u32 v10, vcc_lo, v10, v20
	s_wait_alu 0xfffd
	v_add_co_ci_u32_e64 v12, null, 0, v12, vcc_lo
	s_delay_alu instid0(VALU_DEP_2) | instskip(SKIP_1) | instid1(VALU_DEP_3)
	v_mul_lo_u32 v14, s45, v10
	v_mad_co_u64_u32 v[16:17], null, s44, v10, 0
	v_mul_lo_u32 v18, s44, v12
	s_delay_alu instid0(VALU_DEP_2) | instskip(NEXT) | instid1(VALU_DEP_2)
	v_sub_co_u32 v5, vcc_lo, v5, v16
	v_add3_u32 v14, v17, v18, v14
	s_delay_alu instid0(VALU_DEP_1) | instskip(SKIP_2) | instid1(VALU_DEP_2)
	v_sub_nc_u32_e32 v17, v8, v14
	s_wait_alu 0xfffd
	v_sub_co_ci_u32_e64 v8, null, v8, v14, vcc_lo
	v_subrev_co_ci_u32_e64 v16, null, s45, v17, vcc_lo
	v_add_co_u32 v17, s2, v10, 2
	s_wait_alu 0xf1ff
	v_add_co_ci_u32_e64 v18, null, 0, v12, s2
	v_sub_co_u32 v19, s2, v5, s44
	s_wait_alu 0xf1ff
	v_subrev_co_ci_u32_e64 v16, null, 0, v16, s2
	s_delay_alu instid0(VALU_DEP_2) | instskip(SKIP_2) | instid1(VALU_DEP_3)
	v_cmp_le_u32_e32 vcc_lo, s44, v19
	s_wait_alu 0xfffd
	v_cndmask_b32_e64 v14, 0, -1, vcc_lo
	v_cmp_le_u32_e32 vcc_lo, s45, v16
	s_wait_alu 0xfffd
	v_cndmask_b32_e64 v19, 0, -1, vcc_lo
	;; [unrolled: 3-line block ×4, first 2 shown]
	v_cmp_eq_u32_e32 vcc_lo, s45, v16
	s_wait_alu 0xfffd
	v_cndmask_b32_e32 v14, v19, v14, vcc_lo
	v_add_co_u32 v16, vcc_lo, v10, 1
	s_wait_alu 0xfffd
	v_add_co_ci_u32_e64 v19, null, 0, v12, vcc_lo
	v_cmp_eq_u32_e32 vcc_lo, s45, v8
	s_wait_alu 0xfffd
	v_cndmask_b32_e32 v5, v20, v5, vcc_lo
	v_cmp_ne_u32_e32 vcc_lo, 0, v14
	s_delay_alu instid0(VALU_DEP_2) | instskip(SKIP_3) | instid1(VALU_DEP_1)
	v_cmp_ne_u32_e64 s2, 0, v5
	s_wait_alu 0xfffd
	v_dual_cndmask_b32 v8, v19, v18 :: v_dual_cndmask_b32 v5, v16, v17
	s_wait_alu 0xf1ff
	v_cndmask_b32_e64 v8, v12, v8, s2
	s_delay_alu instid0(VALU_DEP_2) | instskip(NEXT) | instid1(VALU_DEP_2)
	v_cndmask_b32_e64 v5, v10, v5, s2
	v_xor_b32_e32 v8, v8, v3
	s_delay_alu instid0(VALU_DEP_2) | instskip(NEXT) | instid1(VALU_DEP_1)
	v_xor_b32_e32 v5, v5, v3
	v_sub_co_u32 v17, vcc_lo, v5, v3
	s_wait_alu 0xfffd
	s_delay_alu instid0(VALU_DEP_3)
	v_sub_co_ci_u32_e64 v18, null, v8, v3, vcc_lo
.LBB20_40:                              ;   in Loop: Header=BB20_22 Depth=2
	s_wait_alu 0xfffe
	s_and_not1_saveexec_b32 s2, s27
	s_cbranch_execz .LBB20_42
; %bb.41:                               ;   in Loop: Header=BB20_22 Depth=2
	v_cvt_f32_u32_e32 v3, s38
	s_sub_co_i32 s18, 0, s38
	v_mov_b32_e32 v18, v2
	s_delay_alu instid0(VALU_DEP_2) | instskip(NEXT) | instid1(TRANS32_DEP_1)
	v_rcp_iflag_f32_e32 v3, v3
	v_mul_f32_e32 v3, 0x4f7ffffe, v3
	s_delay_alu instid0(VALU_DEP_1) | instskip(SKIP_1) | instid1(VALU_DEP_1)
	v_cvt_u32_f32_e32 v3, v3
	s_wait_alu 0xfffe
	v_mul_lo_u32 v5, s18, v3
	s_delay_alu instid0(VALU_DEP_1) | instskip(NEXT) | instid1(VALU_DEP_1)
	v_mul_hi_u32 v5, v3, v5
	v_add_nc_u32_e32 v3, v3, v5
	s_delay_alu instid0(VALU_DEP_1) | instskip(NEXT) | instid1(VALU_DEP_1)
	v_mul_hi_u32 v3, v15, v3
	v_mul_lo_u32 v5, v3, s38
	s_delay_alu instid0(VALU_DEP_1) | instskip(NEXT) | instid1(VALU_DEP_1)
	v_sub_nc_u32_e32 v5, v15, v5
	v_subrev_nc_u32_e32 v10, s38, v5
	v_cmp_le_u32_e32 vcc_lo, s38, v5
	s_wait_alu 0xfffd
	s_delay_alu instid0(VALU_DEP_2) | instskip(NEXT) | instid1(VALU_DEP_1)
	v_dual_cndmask_b32 v5, v5, v10 :: v_dual_add_nc_u32 v8, 1, v3
	v_cndmask_b32_e32 v3, v3, v8, vcc_lo
	s_delay_alu instid0(VALU_DEP_2) | instskip(NEXT) | instid1(VALU_DEP_2)
	v_cmp_le_u32_e32 vcc_lo, s38, v5
	v_add_nc_u32_e32 v8, 1, v3
	s_wait_alu 0xfffd
	s_delay_alu instid0(VALU_DEP_1)
	v_cndmask_b32_e32 v17, v3, v8, vcc_lo
.LBB20_42:                              ;   in Loop: Header=BB20_22 Depth=2
	s_wait_alu 0xfffe
	s_or_b32 exec_lo, exec_lo, s2
	s_add_co_i32 s18, s26, 2
	s_add_nc_u64 s[42:43], s[0:1], s[42:43]
	s_wait_alu 0xfffe
	s_lshl_b64 s[44:45], s[18:19], 2
                                        ; implicit-def: $vgpr19_vgpr20
	s_mov_b32 s2, exec_lo
	s_wait_alu 0xfffe
	s_add_nc_u64 s[40:41], s[10:11], s[44:45]
	s_clause 0x1
	s_load_b32 s37, s[42:43], 0x6c
	s_load_b32 s40, s[40:41], 0x8
	s_wait_kmcnt 0x0
	s_ashr_i32 s41, s40, 31
	s_wait_alu 0xfffe
	v_or_b32_e32 v3, s41, v18
	s_delay_alu instid0(VALU_DEP_1)
	v_cmpx_ne_u64_e32 0, v[2:3]
	s_xor_b32 s27, exec_lo, s2
	s_cbranch_execz .LBB20_44
; %bb.43:                               ;   in Loop: Header=BB20_22 Depth=2
	s_ashr_i32 s42, s41, 31
	v_ashrrev_i32_e32 v3, 31, v18
	s_wait_alu 0xfffe
	s_mov_b32 s43, s42
	s_wait_alu 0xfffe
	s_add_nc_u64 s[46:47], s[40:41], s[42:43]
	v_add_co_u32 v5, vcc_lo, v17, v3
	s_wait_alu 0xfffe
	s_xor_b64 s[46:47], s[46:47], s[42:43]
	s_wait_alu 0xfffd
	v_add_co_ci_u32_e64 v8, null, v18, v3, vcc_lo
	s_wait_alu 0xfffe
	s_cvt_f32_u32 s2, s46
	s_cvt_f32_u32 s18, s47
	s_sub_nc_u64 s[50:51], 0, s[46:47]
	v_xor_b32_e32 v5, v5, v3
	v_xor_b32_e32 v8, v8, v3
	s_wait_alu 0xfffe
	s_fmamk_f32 s2, s18, 0x4f800000, s2
	v_xor_b32_e32 v3, s42, v3
	s_wait_alu 0xfffe
	s_delay_alu instid0(SALU_CYCLE_1) | instskip(NEXT) | instid1(TRANS32_DEP_1)
	v_s_rcp_f32 s2, s2
	s_mul_f32 s2, s2, 0x5f7ffffc
	s_wait_alu 0xfffe
	s_delay_alu instid0(SALU_CYCLE_2) | instskip(SKIP_1) | instid1(SALU_CYCLE_2)
	s_mul_f32 s18, s2, 0x2f800000
	s_wait_alu 0xfffe
	s_trunc_f32 s18, s18
	s_wait_alu 0xfffe
	s_delay_alu instid0(SALU_CYCLE_2) | instskip(SKIP_2) | instid1(SALU_CYCLE_1)
	s_fmamk_f32 s2, s18, 0xcf800000, s2
	s_cvt_u32_f32 s49, s18
	s_wait_alu 0xfffe
	s_cvt_u32_f32 s48, s2
	s_wait_alu 0xfffe
	s_delay_alu instid0(SALU_CYCLE_2) | instskip(NEXT) | instid1(SALU_CYCLE_1)
	s_mul_u64 s[58:59], s[50:51], s[48:49]
	s_mul_hi_u32 s61, s48, s59
	s_mul_i32 s60, s48, s59
	s_mul_hi_u32 s18, s48, s58
	s_mul_i32 s39, s49, s58
	s_wait_alu 0xfffe
	s_add_nc_u64 s[60:61], s[18:19], s[60:61]
	s_mul_hi_u32 s2, s49, s58
	s_mul_hi_u32 s41, s49, s59
	s_add_co_u32 s18, s60, s39
	s_wait_alu 0xfffe
	s_add_co_ci_u32 s18, s61, s2
	s_mul_i32 s58, s49, s59
	s_add_co_ci_u32 s59, s41, 0
	s_wait_alu 0xfffe
	s_add_nc_u64 s[58:59], s[18:19], s[58:59]
	s_delay_alu instid0(SALU_CYCLE_1)
	s_add_co_u32 s48, s48, s58
	s_cselect_b32 s2, -1, 0
	s_wait_alu 0xfffe
	s_cmp_lg_u32 s2, 0
	s_add_co_ci_u32 s49, s49, s59
	s_wait_alu 0xfffe
	s_mul_u64 s[50:51], s[50:51], s[48:49]
	s_wait_alu 0xfffe
	s_mul_hi_u32 s59, s48, s51
	s_mul_i32 s58, s48, s51
	s_mul_hi_u32 s18, s48, s50
	s_mul_i32 s39, s49, s50
	s_wait_alu 0xfffe
	s_add_nc_u64 s[58:59], s[18:19], s[58:59]
	s_mul_hi_u32 s2, s49, s50
	s_mul_hi_u32 s41, s49, s51
	s_add_co_u32 s18, s58, s39
	s_wait_alu 0xfffe
	s_add_co_ci_u32 s18, s59, s2
	s_mul_i32 s50, s49, s51
	s_add_co_ci_u32 s51, s41, 0
	s_wait_alu 0xfffe
	s_add_nc_u64 s[50:51], s[18:19], s[50:51]
	s_wait_alu 0xfffe
	s_add_co_u32 s2, s48, s50
	s_cselect_b32 s18, -1, 0
	s_wait_alu 0xfffe
	v_mul_hi_u32 v10, v5, s2
	s_cmp_lg_u32 s18, 0
	v_mad_co_u64_u32 v[20:21], null, v8, s2, 0
	s_add_co_ci_u32 s18, s49, s51
	s_wait_alu 0xfffe
	v_mad_co_u64_u32 v[18:19], null, v5, s18, 0
	v_mad_co_u64_u32 v[22:23], null, v8, s18, 0
	s_delay_alu instid0(VALU_DEP_2) | instskip(SKIP_1) | instid1(VALU_DEP_3)
	v_add_co_u32 v10, vcc_lo, v10, v18
	s_wait_alu 0xfffd
	v_add_co_ci_u32_e64 v12, null, 0, v19, vcc_lo
	s_delay_alu instid0(VALU_DEP_2) | instskip(SKIP_1) | instid1(VALU_DEP_2)
	v_add_co_u32 v10, vcc_lo, v10, v20
	s_wait_alu 0xfffd
	v_add_co_ci_u32_e32 v10, vcc_lo, v12, v21, vcc_lo
	s_wait_alu 0xfffd
	v_add_co_ci_u32_e32 v12, vcc_lo, 0, v23, vcc_lo
	s_delay_alu instid0(VALU_DEP_2) | instskip(SKIP_1) | instid1(VALU_DEP_2)
	v_add_co_u32 v10, vcc_lo, v10, v22
	s_wait_alu 0xfffd
	v_add_co_ci_u32_e64 v12, null, 0, v12, vcc_lo
	s_delay_alu instid0(VALU_DEP_2) | instskip(SKIP_1) | instid1(VALU_DEP_3)
	v_mul_lo_u32 v14, s47, v10
	v_mad_co_u64_u32 v[18:19], null, s46, v10, 0
	v_mul_lo_u32 v16, s46, v12
	s_delay_alu instid0(VALU_DEP_2) | instskip(NEXT) | instid1(VALU_DEP_2)
	v_sub_co_u32 v5, vcc_lo, v5, v18
	v_add3_u32 v14, v19, v16, v14
	v_add_co_u32 v18, s2, v10, 2
	s_wait_alu 0xf1ff
	v_add_co_ci_u32_e64 v19, null, 0, v12, s2
	s_delay_alu instid0(VALU_DEP_3) | instskip(SKIP_3) | instid1(VALU_DEP_3)
	v_sub_nc_u32_e32 v16, v8, v14
	v_sub_co_u32 v20, s2, v5, s46
	s_wait_alu 0xfffd
	v_sub_co_ci_u32_e64 v8, null, v8, v14, vcc_lo
	v_subrev_co_ci_u32_e64 v16, null, s47, v16, vcc_lo
	s_delay_alu instid0(VALU_DEP_3) | instskip(SKIP_1) | instid1(VALU_DEP_2)
	v_cmp_le_u32_e32 vcc_lo, s46, v20
	s_wait_alu 0xf1ff
	v_subrev_co_ci_u32_e64 v16, null, 0, v16, s2
	s_wait_alu 0xfffd
	v_cndmask_b32_e64 v14, 0, -1, vcc_lo
	s_delay_alu instid0(VALU_DEP_2)
	v_cmp_le_u32_e32 vcc_lo, s47, v16
	s_wait_alu 0xfffd
	v_cndmask_b32_e64 v20, 0, -1, vcc_lo
	v_cmp_le_u32_e32 vcc_lo, s46, v5
	s_wait_alu 0xfffd
	v_cndmask_b32_e64 v5, 0, -1, vcc_lo
	;; [unrolled: 3-line block ×3, first 2 shown]
	v_cmp_eq_u32_e32 vcc_lo, s47, v16
	s_wait_alu 0xfffd
	v_cndmask_b32_e32 v14, v20, v14, vcc_lo
	v_add_co_u32 v16, vcc_lo, v10, 1
	s_wait_alu 0xfffd
	v_add_co_ci_u32_e64 v20, null, 0, v12, vcc_lo
	v_cmp_eq_u32_e32 vcc_lo, s47, v8
	s_wait_alu 0xfffd
	v_cndmask_b32_e32 v5, v21, v5, vcc_lo
	v_cmp_ne_u32_e32 vcc_lo, 0, v14
	s_delay_alu instid0(VALU_DEP_2) | instskip(SKIP_4) | instid1(VALU_DEP_2)
	v_cmp_ne_u32_e64 s2, 0, v5
	s_wait_alu 0xfffd
	v_cndmask_b32_e32 v5, v16, v18, vcc_lo
	v_cndmask_b32_e32 v8, v20, v19, vcc_lo
	s_wait_alu 0xf1ff
	v_cndmask_b32_e64 v5, v10, v5, s2
	s_delay_alu instid0(VALU_DEP_2) | instskip(NEXT) | instid1(VALU_DEP_2)
	v_cndmask_b32_e64 v8, v12, v8, s2
	v_xor_b32_e32 v5, v5, v3
	s_delay_alu instid0(VALU_DEP_2) | instskip(NEXT) | instid1(VALU_DEP_2)
	v_xor_b32_e32 v8, v8, v3
	v_sub_co_u32 v19, vcc_lo, v5, v3
	s_wait_alu 0xfffd
	s_delay_alu instid0(VALU_DEP_2)
	v_sub_co_ci_u32_e64 v20, null, v8, v3, vcc_lo
.LBB20_44:                              ;   in Loop: Header=BB20_22 Depth=2
	s_wait_alu 0xfffe
	s_and_not1_saveexec_b32 s2, s27
	s_cbranch_execz .LBB20_46
; %bb.45:                               ;   in Loop: Header=BB20_22 Depth=2
	v_cvt_f32_u32_e32 v3, s40
	s_sub_co_i32 s18, 0, s40
	v_mov_b32_e32 v20, v2
	s_delay_alu instid0(VALU_DEP_2) | instskip(NEXT) | instid1(TRANS32_DEP_1)
	v_rcp_iflag_f32_e32 v3, v3
	v_mul_f32_e32 v3, 0x4f7ffffe, v3
	s_delay_alu instid0(VALU_DEP_1) | instskip(SKIP_1) | instid1(VALU_DEP_1)
	v_cvt_u32_f32_e32 v3, v3
	s_wait_alu 0xfffe
	v_mul_lo_u32 v5, s18, v3
	s_delay_alu instid0(VALU_DEP_1) | instskip(NEXT) | instid1(VALU_DEP_1)
	v_mul_hi_u32 v5, v3, v5
	v_add_nc_u32_e32 v3, v3, v5
	s_delay_alu instid0(VALU_DEP_1) | instskip(NEXT) | instid1(VALU_DEP_1)
	v_mul_hi_u32 v3, v17, v3
	v_mul_lo_u32 v5, v3, s40
	s_delay_alu instid0(VALU_DEP_1) | instskip(NEXT) | instid1(VALU_DEP_1)
	v_sub_nc_u32_e32 v5, v17, v5
	v_subrev_nc_u32_e32 v10, s40, v5
	v_cmp_le_u32_e32 vcc_lo, s40, v5
	s_wait_alu 0xfffd
	s_delay_alu instid0(VALU_DEP_2) | instskip(NEXT) | instid1(VALU_DEP_1)
	v_dual_cndmask_b32 v5, v5, v10 :: v_dual_add_nc_u32 v8, 1, v3
	v_cndmask_b32_e32 v3, v3, v8, vcc_lo
	s_delay_alu instid0(VALU_DEP_2) | instskip(NEXT) | instid1(VALU_DEP_2)
	v_cmp_le_u32_e32 vcc_lo, s40, v5
	v_add_nc_u32_e32 v8, 1, v3
	s_wait_alu 0xfffd
	s_delay_alu instid0(VALU_DEP_1)
	v_cndmask_b32_e32 v19, v3, v8, vcc_lo
.LBB20_46:                              ;   in Loop: Header=BB20_22 Depth=2
	s_wait_alu 0xfffe
	s_or_b32 exec_lo, exec_lo, s2
	s_add_co_i32 s18, s26, 1
	s_add_nc_u64 s[44:45], s[0:1], s[44:45]
	s_wait_alu 0xfffe
	s_lshl_b64 s[48:49], s[18:19], 2
                                        ; implicit-def: $vgpr21_vgpr22
	s_mov_b32 s2, exec_lo
	s_wait_alu 0xfffe
	s_add_nc_u64 s[42:43], s[10:11], s[48:49]
	s_clause 0x1
	s_load_b32 s39, s[44:45], 0x6c
	s_load_b32 s42, s[42:43], 0x8
	s_wait_kmcnt 0x0
	s_ashr_i32 s43, s42, 31
	s_wait_alu 0xfffe
	v_or_b32_e32 v3, s43, v20
	s_delay_alu instid0(VALU_DEP_1)
	v_cmpx_ne_u64_e32 0, v[2:3]
	s_xor_b32 s27, exec_lo, s2
	s_cbranch_execz .LBB20_48
; %bb.47:                               ;   in Loop: Header=BB20_22 Depth=2
	s_ashr_i32 s44, s43, 31
	v_ashrrev_i32_e32 v3, 31, v20
	s_wait_alu 0xfffe
	s_mov_b32 s45, s44
	s_wait_alu 0xfffe
	s_add_nc_u64 s[46:47], s[42:43], s[44:45]
	v_add_co_u32 v5, vcc_lo, v19, v3
	s_wait_alu 0xfffe
	s_xor_b64 s[46:47], s[46:47], s[44:45]
	s_wait_alu 0xfffd
	v_add_co_ci_u32_e64 v8, null, v20, v3, vcc_lo
	s_wait_alu 0xfffe
	s_cvt_f32_u32 s2, s46
	s_cvt_f32_u32 s18, s47
	s_sub_nc_u64 s[58:59], 0, s[46:47]
	v_xor_b32_e32 v5, v5, v3
	v_xor_b32_e32 v8, v8, v3
	s_wait_alu 0xfffe
	s_fmamk_f32 s2, s18, 0x4f800000, s2
	v_xor_b32_e32 v3, s44, v3
	s_wait_alu 0xfffe
	s_delay_alu instid0(SALU_CYCLE_1) | instskip(NEXT) | instid1(TRANS32_DEP_1)
	v_s_rcp_f32 s2, s2
	s_mul_f32 s2, s2, 0x5f7ffffc
	s_wait_alu 0xfffe
	s_delay_alu instid0(SALU_CYCLE_2) | instskip(SKIP_1) | instid1(SALU_CYCLE_2)
	s_mul_f32 s18, s2, 0x2f800000
	s_wait_alu 0xfffe
	s_trunc_f32 s18, s18
	s_wait_alu 0xfffe
	s_delay_alu instid0(SALU_CYCLE_2) | instskip(SKIP_2) | instid1(SALU_CYCLE_1)
	s_fmamk_f32 s2, s18, 0xcf800000, s2
	s_cvt_u32_f32 s51, s18
	s_wait_alu 0xfffe
	s_cvt_u32_f32 s50, s2
	s_wait_alu 0xfffe
	s_delay_alu instid0(SALU_CYCLE_2) | instskip(NEXT) | instid1(SALU_CYCLE_1)
	s_mul_u64 s[60:61], s[58:59], s[50:51]
	s_mul_hi_u32 s63, s50, s61
	s_mul_i32 s62, s50, s61
	s_mul_hi_u32 s18, s50, s60
	s_mul_i32 s41, s51, s60
	s_wait_alu 0xfffe
	s_add_nc_u64 s[62:63], s[18:19], s[62:63]
	s_mul_hi_u32 s2, s51, s60
	s_mul_hi_u32 s43, s51, s61
	s_add_co_u32 s18, s62, s41
	s_wait_alu 0xfffe
	s_add_co_ci_u32 s18, s63, s2
	s_mul_i32 s60, s51, s61
	s_add_co_ci_u32 s61, s43, 0
	s_wait_alu 0xfffe
	s_add_nc_u64 s[60:61], s[18:19], s[60:61]
	s_delay_alu instid0(SALU_CYCLE_1)
	s_add_co_u32 s50, s50, s60
	s_cselect_b32 s2, -1, 0
	s_wait_alu 0xfffe
	s_cmp_lg_u32 s2, 0
	s_add_co_ci_u32 s51, s51, s61
	s_wait_alu 0xfffe
	s_mul_u64 s[58:59], s[58:59], s[50:51]
	s_delay_alu instid0(SALU_CYCLE_1)
	s_mul_hi_u32 s61, s50, s59
	s_mul_i32 s60, s50, s59
	s_mul_hi_u32 s18, s50, s58
	s_mul_i32 s41, s51, s58
	s_wait_alu 0xfffe
	s_add_nc_u64 s[60:61], s[18:19], s[60:61]
	s_mul_hi_u32 s2, s51, s58
	s_mul_hi_u32 s43, s51, s59
	s_add_co_u32 s18, s60, s41
	s_wait_alu 0xfffe
	s_add_co_ci_u32 s18, s61, s2
	s_mul_i32 s58, s51, s59
	s_add_co_ci_u32 s59, s43, 0
	s_wait_alu 0xfffe
	s_add_nc_u64 s[58:59], s[18:19], s[58:59]
	s_delay_alu instid0(SALU_CYCLE_1)
	s_add_co_u32 s2, s50, s58
	s_cselect_b32 s18, -1, 0
	s_wait_alu 0xfffe
	v_mul_hi_u32 v10, v5, s2
	s_cmp_lg_u32 s18, 0
	v_mad_co_u64_u32 v[22:23], null, v8, s2, 0
	s_add_co_ci_u32 s18, s51, s59
	s_wait_alu 0xfffe
	v_mad_co_u64_u32 v[20:21], null, v5, s18, 0
	v_mad_co_u64_u32 v[29:30], null, v8, s18, 0
	s_delay_alu instid0(VALU_DEP_2) | instskip(SKIP_1) | instid1(VALU_DEP_3)
	v_add_co_u32 v10, vcc_lo, v10, v20
	s_wait_alu 0xfffd
	v_add_co_ci_u32_e64 v12, null, 0, v21, vcc_lo
	s_delay_alu instid0(VALU_DEP_2) | instskip(SKIP_1) | instid1(VALU_DEP_2)
	v_add_co_u32 v10, vcc_lo, v10, v22
	s_wait_alu 0xfffd
	v_add_co_ci_u32_e32 v10, vcc_lo, v12, v23, vcc_lo
	s_wait_alu 0xfffd
	v_add_co_ci_u32_e32 v12, vcc_lo, 0, v30, vcc_lo
	s_delay_alu instid0(VALU_DEP_2) | instskip(SKIP_1) | instid1(VALU_DEP_2)
	v_add_co_u32 v10, vcc_lo, v10, v29
	s_wait_alu 0xfffd
	v_add_co_ci_u32_e64 v12, null, 0, v12, vcc_lo
	s_delay_alu instid0(VALU_DEP_2) | instskip(SKIP_1) | instid1(VALU_DEP_3)
	v_mul_lo_u32 v14, s47, v10
	v_mad_co_u64_u32 v[20:21], null, s46, v10, 0
	v_mul_lo_u32 v16, s46, v12
	v_add_co_u32 v18, s2, v10, 2
	s_delay_alu instid0(VALU_DEP_3) | instskip(NEXT) | instid1(VALU_DEP_3)
	v_sub_co_u32 v5, vcc_lo, v5, v20
	v_add3_u32 v14, v21, v16, v14
	s_wait_alu 0xf1ff
	v_add_co_ci_u32_e64 v20, null, 0, v12, s2
	s_delay_alu instid0(VALU_DEP_3) | instskip(NEXT) | instid1(VALU_DEP_3)
	v_sub_co_u32 v21, s2, v5, s46
	v_sub_nc_u32_e32 v16, v8, v14
	s_wait_alu 0xfffd
	v_sub_co_ci_u32_e64 v8, null, v8, v14, vcc_lo
	s_delay_alu instid0(VALU_DEP_2) | instskip(SKIP_2) | instid1(VALU_DEP_2)
	v_subrev_co_ci_u32_e64 v16, null, s47, v16, vcc_lo
	v_cmp_le_u32_e32 vcc_lo, s46, v21
	s_wait_alu 0xf1ff
	v_subrev_co_ci_u32_e64 v16, null, 0, v16, s2
	s_wait_alu 0xfffd
	v_cndmask_b32_e64 v14, 0, -1, vcc_lo
	s_delay_alu instid0(VALU_DEP_2)
	v_cmp_le_u32_e32 vcc_lo, s47, v16
	s_wait_alu 0xfffd
	v_cndmask_b32_e64 v21, 0, -1, vcc_lo
	v_cmp_le_u32_e32 vcc_lo, s46, v5
	s_wait_alu 0xfffd
	v_cndmask_b32_e64 v5, 0, -1, vcc_lo
	;; [unrolled: 3-line block ×3, first 2 shown]
	v_cmp_eq_u32_e32 vcc_lo, s47, v16
	s_wait_alu 0xfffd
	v_cndmask_b32_e32 v14, v21, v14, vcc_lo
	v_add_co_u32 v16, vcc_lo, v10, 1
	s_wait_alu 0xfffd
	v_add_co_ci_u32_e64 v21, null, 0, v12, vcc_lo
	v_cmp_eq_u32_e32 vcc_lo, s47, v8
	s_wait_alu 0xfffd
	v_cndmask_b32_e32 v5, v22, v5, vcc_lo
	v_cmp_ne_u32_e32 vcc_lo, 0, v14
	s_delay_alu instid0(VALU_DEP_2) | instskip(SKIP_3) | instid1(VALU_DEP_1)
	v_cmp_ne_u32_e64 s2, 0, v5
	s_wait_alu 0xfffd
	v_dual_cndmask_b32 v8, v21, v20 :: v_dual_cndmask_b32 v5, v16, v18
	s_wait_alu 0xf1ff
	v_cndmask_b32_e64 v8, v12, v8, s2
	s_delay_alu instid0(VALU_DEP_2) | instskip(NEXT) | instid1(VALU_DEP_2)
	v_cndmask_b32_e64 v5, v10, v5, s2
	v_xor_b32_e32 v8, v8, v3
	s_delay_alu instid0(VALU_DEP_2) | instskip(NEXT) | instid1(VALU_DEP_1)
	v_xor_b32_e32 v5, v5, v3
	v_sub_co_u32 v21, vcc_lo, v5, v3
	s_wait_alu 0xfffd
	s_delay_alu instid0(VALU_DEP_3)
	v_sub_co_ci_u32_e64 v22, null, v8, v3, vcc_lo
.LBB20_48:                              ;   in Loop: Header=BB20_22 Depth=2
	s_wait_alu 0xfffe
	s_and_not1_saveexec_b32 s2, s27
	s_cbranch_execz .LBB20_50
; %bb.49:                               ;   in Loop: Header=BB20_22 Depth=2
	v_cvt_f32_u32_e32 v3, s42
	s_sub_co_i32 s18, 0, s42
	v_mov_b32_e32 v22, v2
	s_delay_alu instid0(VALU_DEP_2) | instskip(NEXT) | instid1(TRANS32_DEP_1)
	v_rcp_iflag_f32_e32 v3, v3
	v_mul_f32_e32 v3, 0x4f7ffffe, v3
	s_delay_alu instid0(VALU_DEP_1) | instskip(SKIP_1) | instid1(VALU_DEP_1)
	v_cvt_u32_f32_e32 v3, v3
	s_wait_alu 0xfffe
	v_mul_lo_u32 v5, s18, v3
	s_delay_alu instid0(VALU_DEP_1) | instskip(NEXT) | instid1(VALU_DEP_1)
	v_mul_hi_u32 v5, v3, v5
	v_add_nc_u32_e32 v3, v3, v5
	s_delay_alu instid0(VALU_DEP_1) | instskip(NEXT) | instid1(VALU_DEP_1)
	v_mul_hi_u32 v3, v19, v3
	v_mul_lo_u32 v5, v3, s42
	s_delay_alu instid0(VALU_DEP_1) | instskip(NEXT) | instid1(VALU_DEP_1)
	v_sub_nc_u32_e32 v5, v19, v5
	v_subrev_nc_u32_e32 v10, s42, v5
	v_cmp_le_u32_e32 vcc_lo, s42, v5
	s_wait_alu 0xfffd
	s_delay_alu instid0(VALU_DEP_2) | instskip(NEXT) | instid1(VALU_DEP_1)
	v_dual_cndmask_b32 v5, v5, v10 :: v_dual_add_nc_u32 v8, 1, v3
	v_cndmask_b32_e32 v3, v3, v8, vcc_lo
	s_delay_alu instid0(VALU_DEP_2) | instskip(NEXT) | instid1(VALU_DEP_2)
	v_cmp_le_u32_e32 vcc_lo, s42, v5
	v_add_nc_u32_e32 v8, 1, v3
	s_wait_alu 0xfffd
	s_delay_alu instid0(VALU_DEP_1)
	v_cndmask_b32_e32 v21, v3, v8, vcc_lo
.LBB20_50:                              ;   in Loop: Header=BB20_22 Depth=2
	s_wait_alu 0xfffe
	s_or_b32 exec_lo, exec_lo, s2
	s_mov_b32 s27, s19
	s_add_nc_u64 s[48:49], s[0:1], s[48:49]
	s_wait_alu 0xfffe
	s_lshl_b64 s[46:47], s[26:27], 2
                                        ; implicit-def: $vgpr23_vgpr24
	s_mov_b32 s2, exec_lo
	s_wait_alu 0xfffe
	s_add_nc_u64 s[44:45], s[10:11], s[46:47]
	s_clause 0x1
	s_load_b32 s27, s[48:49], 0x6c
	s_load_b32 s44, s[44:45], 0x8
	s_wait_kmcnt 0x0
	s_ashr_i32 s45, s44, 31
	s_wait_alu 0xfffe
	v_or_b32_e32 v3, s45, v22
	s_delay_alu instid0(VALU_DEP_1)
	v_cmpx_ne_u64_e32 0, v[2:3]
	s_xor_b32 s41, exec_lo, s2
	s_cbranch_execz .LBB20_52
; %bb.51:                               ;   in Loop: Header=BB20_22 Depth=2
	s_ashr_i32 s48, s45, 31
	v_ashrrev_i32_e32 v3, 31, v22
	s_wait_alu 0xfffe
	s_mov_b32 s49, s48
	s_wait_alu 0xfffe
	s_add_nc_u64 s[50:51], s[44:45], s[48:49]
	v_add_co_u32 v5, vcc_lo, v21, v3
	s_wait_alu 0xfffe
	s_xor_b64 s[50:51], s[50:51], s[48:49]
	s_wait_alu 0xfffd
	v_add_co_ci_u32_e64 v8, null, v22, v3, vcc_lo
	s_wait_alu 0xfffe
	s_cvt_f32_u32 s2, s50
	s_cvt_f32_u32 s18, s51
	s_sub_nc_u64 s[60:61], 0, s[50:51]
	v_xor_b32_e32 v5, v5, v3
	v_xor_b32_e32 v8, v8, v3
	s_wait_alu 0xfffe
	s_fmamk_f32 s2, s18, 0x4f800000, s2
	v_xor_b32_e32 v3, s48, v3
	s_wait_alu 0xfffe
	s_delay_alu instid0(SALU_CYCLE_1) | instskip(NEXT) | instid1(TRANS32_DEP_1)
	v_s_rcp_f32 s2, s2
	s_mul_f32 s2, s2, 0x5f7ffffc
	s_wait_alu 0xfffe
	s_delay_alu instid0(SALU_CYCLE_2) | instskip(SKIP_1) | instid1(SALU_CYCLE_2)
	s_mul_f32 s18, s2, 0x2f800000
	s_wait_alu 0xfffe
	s_trunc_f32 s18, s18
	s_wait_alu 0xfffe
	s_delay_alu instid0(SALU_CYCLE_2) | instskip(SKIP_2) | instid1(SALU_CYCLE_1)
	s_fmamk_f32 s2, s18, 0xcf800000, s2
	s_cvt_u32_f32 s59, s18
	s_wait_alu 0xfffe
	s_cvt_u32_f32 s58, s2
	s_delay_alu instid0(SALU_CYCLE_3) | instskip(NEXT) | instid1(SALU_CYCLE_1)
	s_mul_u64 s[62:63], s[60:61], s[58:59]
	s_mul_hi_u32 s65, s58, s63
	s_mul_i32 s64, s58, s63
	s_mul_hi_u32 s18, s58, s62
	s_mul_i32 s43, s59, s62
	s_wait_alu 0xfffe
	s_add_nc_u64 s[64:65], s[18:19], s[64:65]
	s_mul_hi_u32 s2, s59, s62
	s_mul_hi_u32 s45, s59, s63
	s_add_co_u32 s18, s64, s43
	s_wait_alu 0xfffe
	s_add_co_ci_u32 s18, s65, s2
	s_mul_i32 s62, s59, s63
	s_add_co_ci_u32 s63, s45, 0
	s_wait_alu 0xfffe
	s_add_nc_u64 s[62:63], s[18:19], s[62:63]
	s_delay_alu instid0(SALU_CYCLE_1) | instskip(SKIP_4) | instid1(SALU_CYCLE_1)
	s_add_co_u32 s58, s58, s62
	s_cselect_b32 s2, -1, 0
	s_wait_alu 0xfffe
	s_cmp_lg_u32 s2, 0
	s_add_co_ci_u32 s59, s59, s63
	s_mul_u64 s[60:61], s[60:61], s[58:59]
	s_delay_alu instid0(SALU_CYCLE_1)
	s_mul_hi_u32 s63, s58, s61
	s_mul_i32 s62, s58, s61
	s_mul_hi_u32 s18, s58, s60
	s_mul_i32 s43, s59, s60
	s_wait_alu 0xfffe
	s_add_nc_u64 s[62:63], s[18:19], s[62:63]
	s_mul_hi_u32 s2, s59, s60
	s_mul_hi_u32 s45, s59, s61
	s_add_co_u32 s18, s62, s43
	s_wait_alu 0xfffe
	s_add_co_ci_u32 s18, s63, s2
	s_mul_i32 s60, s59, s61
	s_add_co_ci_u32 s61, s45, 0
	s_wait_alu 0xfffe
	s_add_nc_u64 s[60:61], s[18:19], s[60:61]
	s_delay_alu instid0(SALU_CYCLE_1)
	s_add_co_u32 s2, s58, s60
	s_cselect_b32 s18, -1, 0
	s_wait_alu 0xfffe
	v_mul_hi_u32 v10, v5, s2
	s_cmp_lg_u32 s18, 0
	v_mad_co_u64_u32 v[29:30], null, v8, s2, 0
	s_add_co_ci_u32 s18, s59, s61
	s_wait_alu 0xfffe
	v_mad_co_u64_u32 v[22:23], null, v5, s18, 0
	v_mad_co_u64_u32 v[31:32], null, v8, s18, 0
	s_delay_alu instid0(VALU_DEP_2) | instskip(SKIP_1) | instid1(VALU_DEP_3)
	v_add_co_u32 v10, vcc_lo, v10, v22
	s_wait_alu 0xfffd
	v_add_co_ci_u32_e64 v12, null, 0, v23, vcc_lo
	s_delay_alu instid0(VALU_DEP_2) | instskip(SKIP_1) | instid1(VALU_DEP_2)
	v_add_co_u32 v10, vcc_lo, v10, v29
	s_wait_alu 0xfffd
	v_add_co_ci_u32_e32 v10, vcc_lo, v12, v30, vcc_lo
	s_wait_alu 0xfffd
	v_add_co_ci_u32_e32 v12, vcc_lo, 0, v32, vcc_lo
	s_delay_alu instid0(VALU_DEP_2) | instskip(SKIP_1) | instid1(VALU_DEP_2)
	v_add_co_u32 v10, vcc_lo, v10, v31
	s_wait_alu 0xfffd
	v_add_co_ci_u32_e64 v12, null, 0, v12, vcc_lo
	s_delay_alu instid0(VALU_DEP_2) | instskip(SKIP_1) | instid1(VALU_DEP_3)
	v_mul_lo_u32 v14, s51, v10
	v_mad_co_u64_u32 v[22:23], null, s50, v10, 0
	v_mul_lo_u32 v16, s50, v12
	v_add_co_u32 v18, s2, v10, 2
	s_wait_alu 0xf1ff
	v_add_co_ci_u32_e64 v20, null, 0, v12, s2
	s_delay_alu instid0(VALU_DEP_4) | instskip(NEXT) | instid1(VALU_DEP_4)
	v_sub_co_u32 v5, vcc_lo, v5, v22
	v_add3_u32 v14, v23, v16, v14
	s_delay_alu instid0(VALU_DEP_2) | instskip(NEXT) | instid1(VALU_DEP_2)
	v_sub_co_u32 v22, s2, v5, s50
	v_sub_nc_u32_e32 v16, v8, v14
	s_wait_alu 0xfffd
	v_sub_co_ci_u32_e64 v8, null, v8, v14, vcc_lo
	s_delay_alu instid0(VALU_DEP_2) | instskip(SKIP_2) | instid1(VALU_DEP_2)
	v_subrev_co_ci_u32_e64 v16, null, s51, v16, vcc_lo
	v_cmp_le_u32_e32 vcc_lo, s50, v22
	s_wait_alu 0xf1ff
	v_subrev_co_ci_u32_e64 v16, null, 0, v16, s2
	s_wait_alu 0xfffd
	v_cndmask_b32_e64 v14, 0, -1, vcc_lo
	s_delay_alu instid0(VALU_DEP_2)
	v_cmp_le_u32_e32 vcc_lo, s51, v16
	s_wait_alu 0xfffd
	v_cndmask_b32_e64 v22, 0, -1, vcc_lo
	v_cmp_le_u32_e32 vcc_lo, s50, v5
	s_wait_alu 0xfffd
	v_cndmask_b32_e64 v5, 0, -1, vcc_lo
	;; [unrolled: 3-line block ×3, first 2 shown]
	v_cmp_eq_u32_e32 vcc_lo, s51, v16
	s_wait_alu 0xfffd
	v_cndmask_b32_e32 v14, v22, v14, vcc_lo
	v_add_co_u32 v16, vcc_lo, v10, 1
	s_wait_alu 0xfffd
	v_add_co_ci_u32_e64 v22, null, 0, v12, vcc_lo
	v_cmp_eq_u32_e32 vcc_lo, s51, v8
	s_wait_alu 0xfffd
	v_cndmask_b32_e32 v5, v23, v5, vcc_lo
	v_cmp_ne_u32_e32 vcc_lo, 0, v14
	s_delay_alu instid0(VALU_DEP_2) | instskip(SKIP_3) | instid1(VALU_DEP_1)
	v_cmp_ne_u32_e64 s2, 0, v5
	s_wait_alu 0xfffd
	v_dual_cndmask_b32 v8, v22, v20 :: v_dual_cndmask_b32 v5, v16, v18
	s_wait_alu 0xf1ff
	v_cndmask_b32_e64 v8, v12, v8, s2
	s_delay_alu instid0(VALU_DEP_2) | instskip(NEXT) | instid1(VALU_DEP_2)
	v_cndmask_b32_e64 v5, v10, v5, s2
	v_xor_b32_e32 v8, v8, v3
	s_delay_alu instid0(VALU_DEP_2) | instskip(NEXT) | instid1(VALU_DEP_1)
	v_xor_b32_e32 v5, v5, v3
	v_sub_co_u32 v23, vcc_lo, v5, v3
	s_wait_alu 0xfffd
	s_delay_alu instid0(VALU_DEP_3)
	v_sub_co_ci_u32_e64 v24, null, v8, v3, vcc_lo
.LBB20_52:                              ;   in Loop: Header=BB20_22 Depth=2
	s_wait_alu 0xfffe
	s_and_not1_saveexec_b32 s2, s41
	s_cbranch_execz .LBB20_54
; %bb.53:                               ;   in Loop: Header=BB20_22 Depth=2
	v_cvt_f32_u32_e32 v3, s44
	s_sub_co_i32 s18, 0, s44
	v_mov_b32_e32 v24, v2
	s_delay_alu instid0(VALU_DEP_2) | instskip(NEXT) | instid1(TRANS32_DEP_1)
	v_rcp_iflag_f32_e32 v3, v3
	v_mul_f32_e32 v3, 0x4f7ffffe, v3
	s_delay_alu instid0(VALU_DEP_1) | instskip(SKIP_1) | instid1(VALU_DEP_1)
	v_cvt_u32_f32_e32 v3, v3
	s_wait_alu 0xfffe
	v_mul_lo_u32 v5, s18, v3
	s_delay_alu instid0(VALU_DEP_1) | instskip(NEXT) | instid1(VALU_DEP_1)
	v_mul_hi_u32 v5, v3, v5
	v_add_nc_u32_e32 v3, v3, v5
	s_delay_alu instid0(VALU_DEP_1) | instskip(NEXT) | instid1(VALU_DEP_1)
	v_mul_hi_u32 v3, v21, v3
	v_mul_lo_u32 v5, v3, s44
	s_delay_alu instid0(VALU_DEP_1) | instskip(NEXT) | instid1(VALU_DEP_1)
	v_sub_nc_u32_e32 v5, v21, v5
	v_subrev_nc_u32_e32 v10, s44, v5
	v_cmp_le_u32_e32 vcc_lo, s44, v5
	s_wait_alu 0xfffd
	s_delay_alu instid0(VALU_DEP_2) | instskip(NEXT) | instid1(VALU_DEP_1)
	v_dual_cndmask_b32 v5, v5, v10 :: v_dual_add_nc_u32 v8, 1, v3
	v_cndmask_b32_e32 v3, v3, v8, vcc_lo
	s_delay_alu instid0(VALU_DEP_2) | instskip(NEXT) | instid1(VALU_DEP_2)
	v_cmp_le_u32_e32 vcc_lo, s44, v5
	v_add_nc_u32_e32 v8, 1, v3
	s_wait_alu 0xfffd
	s_delay_alu instid0(VALU_DEP_1)
	v_cndmask_b32_e32 v23, v3, v8, vcc_lo
.LBB20_54:                              ;   in Loop: Header=BB20_22 Depth=2
	s_wait_alu 0xfffe
	s_or_b32 exec_lo, exec_lo, s2
	v_mul_lo_u32 v3, v9, s28
	v_mul_lo_u32 v5, v11, s30
	;; [unrolled: 1-line block ×5, first 2 shown]
	s_add_nc_u64 s[40:41], s[0:1], s[46:47]
	v_mul_lo_u32 v12, v17, s38
	s_load_b32 s2, s[40:41], 0x6c
	v_sub_nc_u32_e32 v3, v7, v3
	v_sub_nc_u32_e32 v5, v9, v5
	v_sub_nc_u32_e32 v7, v11, v8
	v_sub_nc_u32_e32 v8, v13, v10
	v_mul_lo_u32 v9, v21, s42
	v_mul_lo_u32 v3, s25, v3
	v_mul_lo_u32 v5, s29, v5
	v_mul_lo_u32 v10, v23, s44
	v_sub_nc_u32_e32 v11, v15, v12
	v_sub_nc_u32_e32 v12, v17, v14
	v_mul_lo_u32 v7, s31, v7
	v_mul_lo_u32 v8, s35, v8
	s_add_co_i32 s26, s26, -8
	v_mul_lo_u32 v11, s37, v11
	v_add3_u32 v3, v3, v4, v5
	v_sub_nc_u32_e32 v4, v19, v9
	v_sub_nc_u32_e32 v5, v21, v10
	v_mul_lo_u32 v9, s39, v12
	s_wait_alu 0xfffe
	s_cmp_eq_u32 s26, -8
	v_add3_u32 v3, v7, v3, v8
	v_mul_lo_u32 v4, s27, v4
	s_wait_kmcnt 0x0
	v_mul_lo_u32 v5, s2, v5
	s_delay_alu instid0(VALU_DEP_3) | instskip(NEXT) | instid1(VALU_DEP_1)
	v_add3_u32 v3, v11, v3, v9
	v_add3_u32 v4, v4, v3, v5
	s_cbranch_scc1 .LBB20_56
; %bb.55:                               ;   in Loop: Header=BB20_22 Depth=2
	v_dual_mov_b32 v7, v23 :: v_dual_mov_b32 v8, v24
	s_branch .LBB20_22
.LBB20_56:                              ;   in Loop: Header=BB20_3 Depth=1
	s_load_b32 s2, s[12:13], 0x4
	s_wait_kmcnt 0x0
	v_cmp_gt_i32_e32 vcc_lo, s2, v28
	s_and_b32 exec_lo, exec_lo, vcc_lo
	s_cbranch_execz .LBB20_2
; %bb.57:                               ;   in Loop: Header=BB20_3 Depth=1
	v_ashrrev_i32_e32 v7, 31, v6
	s_mov_b32 s18, exec_lo
	s_delay_alu instid0(VALU_DEP_1)
	v_cmpx_lt_i64_e64 s[4:5], v[6:7]
	s_cbranch_execz .LBB20_59
; %bb.58:                               ;   in Loop: Header=BB20_3 Depth=1
	v_ashrrev_i32_e32 v5, 31, v4
	v_mov_b32_e32 v3, v2
	s_delay_alu instid0(VALU_DEP_2) | instskip(NEXT) | instid1(VALU_DEP_1)
	v_lshlrev_b64_e32 v[5:6], 3, v[4:5]
	v_add_co_u32 v5, vcc_lo, s16, v5
	s_wait_alu 0xfffd
	s_delay_alu instid0(VALU_DEP_2)
	v_add_co_ci_u32_e64 v6, null, s17, v6, vcc_lo
	global_store_b64 v[5:6], v[2:3], off
.LBB20_59:                              ;   in Loop: Header=BB20_3 Depth=1
	s_wait_alu 0xfffe
	s_or_b32 exec_lo, exec_lo, s18
	v_add_nc_u32_e32 v3, 1, v28
	s_delay_alu instid0(VALU_DEP_1)
	v_cmp_gt_i32_e32 vcc_lo, s2, v3
	s_and_b32 exec_lo, exec_lo, vcc_lo
	s_cbranch_execz .LBB20_2
; %bb.60:                               ;   in Loop: Header=BB20_3 Depth=1
	v_sub_nc_u32_e32 v5, v3, v27
	s_delay_alu instid0(VALU_DEP_1) | instskip(NEXT) | instid1(VALU_DEP_1)
	v_ashrrev_i32_e32 v6, 31, v5
	v_cmp_lt_i64_e32 vcc_lo, s[4:5], v[5:6]
	s_and_b32 exec_lo, exec_lo, vcc_lo
	s_cbranch_execz .LBB20_2
; %bb.61:                               ;   in Loop: Header=BB20_3 Depth=1
	v_add_nc_u32_e32 v3, s3, v4
	s_delay_alu instid0(VALU_DEP_1) | instskip(NEXT) | instid1(VALU_DEP_1)
	v_ashrrev_i32_e32 v4, 31, v3
	v_lshlrev_b64_e32 v[3:4], 3, v[3:4]
	s_delay_alu instid0(VALU_DEP_1) | instskip(SKIP_1) | instid1(VALU_DEP_2)
	v_add_co_u32 v5, vcc_lo, s16, v3
	s_wait_alu 0xfffd
	v_add_co_ci_u32_e64 v6, null, s17, v4, vcc_lo
	v_mov_b32_e32 v3, v2
	global_store_b64 v[5:6], v[2:3], off
	s_branch .LBB20_2
.LBB20_62:
	s_endpgm
	.section	.rodata,"a",@progbits
	.p2align	6, 0x0
	.amdhsa_kernel _ZN2at6native16triu_tril_kernelIdiLb0ELi2ELb1EEEvNS_4cuda6detail10TensorInfoIT_T0_EENS4_IKS5_S6_EEllS6_
		.amdhsa_group_segment_fixed_size 0
		.amdhsa_private_segment_fixed_size 0
		.amdhsa_kernarg_size 712
		.amdhsa_user_sgpr_count 2
		.amdhsa_user_sgpr_dispatch_ptr 0
		.amdhsa_user_sgpr_queue_ptr 0
		.amdhsa_user_sgpr_kernarg_segment_ptr 1
		.amdhsa_user_sgpr_dispatch_id 0
		.amdhsa_user_sgpr_private_segment_size 0
		.amdhsa_wavefront_size32 1
		.amdhsa_uses_dynamic_stack 0
		.amdhsa_enable_private_segment 0
		.amdhsa_system_sgpr_workgroup_id_x 1
		.amdhsa_system_sgpr_workgroup_id_y 0
		.amdhsa_system_sgpr_workgroup_id_z 0
		.amdhsa_system_sgpr_workgroup_info 0
		.amdhsa_system_vgpr_workitem_id 0
		.amdhsa_next_free_vgpr 33
		.amdhsa_next_free_sgpr 66
		.amdhsa_reserve_vcc 1
		.amdhsa_float_round_mode_32 0
		.amdhsa_float_round_mode_16_64 0
		.amdhsa_float_denorm_mode_32 3
		.amdhsa_float_denorm_mode_16_64 3
		.amdhsa_fp16_overflow 0
		.amdhsa_workgroup_processor_mode 1
		.amdhsa_memory_ordered 1
		.amdhsa_forward_progress 1
		.amdhsa_inst_pref_size 96
		.amdhsa_round_robin_scheduling 0
		.amdhsa_exception_fp_ieee_invalid_op 0
		.amdhsa_exception_fp_denorm_src 0
		.amdhsa_exception_fp_ieee_div_zero 0
		.amdhsa_exception_fp_ieee_overflow 0
		.amdhsa_exception_fp_ieee_underflow 0
		.amdhsa_exception_fp_ieee_inexact 0
		.amdhsa_exception_int_div_zero 0
	.end_amdhsa_kernel
	.section	.text._ZN2at6native16triu_tril_kernelIdiLb0ELi2ELb1EEEvNS_4cuda6detail10TensorInfoIT_T0_EENS4_IKS5_S6_EEllS6_,"axG",@progbits,_ZN2at6native16triu_tril_kernelIdiLb0ELi2ELb1EEEvNS_4cuda6detail10TensorInfoIT_T0_EENS4_IKS5_S6_EEllS6_,comdat
.Lfunc_end20:
	.size	_ZN2at6native16triu_tril_kernelIdiLb0ELi2ELb1EEEvNS_4cuda6detail10TensorInfoIT_T0_EENS4_IKS5_S6_EEllS6_, .Lfunc_end20-_ZN2at6native16triu_tril_kernelIdiLb0ELi2ELb1EEEvNS_4cuda6detail10TensorInfoIT_T0_EENS4_IKS5_S6_EEllS6_
                                        ; -- End function
	.set _ZN2at6native16triu_tril_kernelIdiLb0ELi2ELb1EEEvNS_4cuda6detail10TensorInfoIT_T0_EENS4_IKS5_S6_EEllS6_.num_vgpr, 33
	.set _ZN2at6native16triu_tril_kernelIdiLb0ELi2ELb1EEEvNS_4cuda6detail10TensorInfoIT_T0_EENS4_IKS5_S6_EEllS6_.num_agpr, 0
	.set _ZN2at6native16triu_tril_kernelIdiLb0ELi2ELb1EEEvNS_4cuda6detail10TensorInfoIT_T0_EENS4_IKS5_S6_EEllS6_.numbered_sgpr, 66
	.set _ZN2at6native16triu_tril_kernelIdiLb0ELi2ELb1EEEvNS_4cuda6detail10TensorInfoIT_T0_EENS4_IKS5_S6_EEllS6_.num_named_barrier, 0
	.set _ZN2at6native16triu_tril_kernelIdiLb0ELi2ELb1EEEvNS_4cuda6detail10TensorInfoIT_T0_EENS4_IKS5_S6_EEllS6_.private_seg_size, 0
	.set _ZN2at6native16triu_tril_kernelIdiLb0ELi2ELb1EEEvNS_4cuda6detail10TensorInfoIT_T0_EENS4_IKS5_S6_EEllS6_.uses_vcc, 1
	.set _ZN2at6native16triu_tril_kernelIdiLb0ELi2ELb1EEEvNS_4cuda6detail10TensorInfoIT_T0_EENS4_IKS5_S6_EEllS6_.uses_flat_scratch, 0
	.set _ZN2at6native16triu_tril_kernelIdiLb0ELi2ELb1EEEvNS_4cuda6detail10TensorInfoIT_T0_EENS4_IKS5_S6_EEllS6_.has_dyn_sized_stack, 0
	.set _ZN2at6native16triu_tril_kernelIdiLb0ELi2ELb1EEEvNS_4cuda6detail10TensorInfoIT_T0_EENS4_IKS5_S6_EEllS6_.has_recursion, 0
	.set _ZN2at6native16triu_tril_kernelIdiLb0ELi2ELb1EEEvNS_4cuda6detail10TensorInfoIT_T0_EENS4_IKS5_S6_EEllS6_.has_indirect_call, 0
	.section	.AMDGPU.csdata,"",@progbits
; Kernel info:
; codeLenInByte = 12236
; TotalNumSgprs: 68
; NumVgprs: 33
; ScratchSize: 0
; MemoryBound: 0
; FloatMode: 240
; IeeeMode: 1
; LDSByteSize: 0 bytes/workgroup (compile time only)
; SGPRBlocks: 0
; VGPRBlocks: 4
; NumSGPRsForWavesPerEU: 68
; NumVGPRsForWavesPerEU: 33
; Occupancy: 16
; WaveLimiterHint : 0
; COMPUTE_PGM_RSRC2:SCRATCH_EN: 0
; COMPUTE_PGM_RSRC2:USER_SGPR: 2
; COMPUTE_PGM_RSRC2:TRAP_HANDLER: 0
; COMPUTE_PGM_RSRC2:TGID_X_EN: 1
; COMPUTE_PGM_RSRC2:TGID_Y_EN: 0
; COMPUTE_PGM_RSRC2:TGID_Z_EN: 0
; COMPUTE_PGM_RSRC2:TIDIG_COMP_CNT: 0
	.section	.text._ZN2at6native16triu_tril_kernelIdiLb0ELi2ELb0EEEvNS_4cuda6detail10TensorInfoIT_T0_EENS4_IKS5_S6_EEllS6_,"axG",@progbits,_ZN2at6native16triu_tril_kernelIdiLb0ELi2ELb0EEEvNS_4cuda6detail10TensorInfoIT_T0_EENS4_IKS5_S6_EEllS6_,comdat
	.protected	_ZN2at6native16triu_tril_kernelIdiLb0ELi2ELb0EEEvNS_4cuda6detail10TensorInfoIT_T0_EENS4_IKS5_S6_EEllS6_ ; -- Begin function _ZN2at6native16triu_tril_kernelIdiLb0ELi2ELb0EEEvNS_4cuda6detail10TensorInfoIT_T0_EENS4_IKS5_S6_EEllS6_
	.globl	_ZN2at6native16triu_tril_kernelIdiLb0ELi2ELb0EEEvNS_4cuda6detail10TensorInfoIT_T0_EENS4_IKS5_S6_EEllS6_
	.p2align	8
	.type	_ZN2at6native16triu_tril_kernelIdiLb0ELi2ELb0EEEvNS_4cuda6detail10TensorInfoIT_T0_EENS4_IKS5_S6_EEllS6_,@function
_ZN2at6native16triu_tril_kernelIdiLb0ELi2ELb0EEEvNS_4cuda6detail10TensorInfoIT_T0_EENS4_IKS5_S6_EEllS6_: ; @_ZN2at6native16triu_tril_kernelIdiLb0ELi2ELb0EEEvNS_4cuda6detail10TensorInfoIT_T0_EENS4_IKS5_S6_EEllS6_
; %bb.0:
	s_clause 0x1
	s_load_b32 s2, s[0:1], 0x1d4
	s_load_b128 s[4:7], s[0:1], 0x1b0
	v_mov_b32_e32 v2, 0
	s_delay_alu instid0(VALU_DEP_1) | instskip(SKIP_3) | instid1(VALU_DEP_1)
	v_mov_b32_e32 v1, v2
	s_wait_kmcnt 0x0
	s_and_b32 s21, s2, 0xffff
	s_mov_b32 s2, exec_lo
	v_mad_co_u64_u32 v[0:1], null, s21, ttmp9, v[0:1]
	s_delay_alu instid0(VALU_DEP_1) | instskip(NEXT) | instid1(VALU_DEP_1)
	v_lshlrev_b64_e32 v[0:1], 1, v[0:1]
	v_cmpx_gt_i64_e64 s[6:7], v[0:1]
	s_cbranch_execz .LBB21_47
; %bb.1:
	s_clause 0x2
	s_load_b32 s24, s[0:1], 0x1a8
	s_load_b32 s8, s[0:1], 0x1c0
	s_load_b64 s[10:11], s[0:1], 0xd8
	s_add_nc_u64 s[12:13], s[0:1], 0xd8
	s_add_nc_u64 s[14:15], s[0:1], 0x1c8
	s_load_b32 s26, s[14:15], 0x0
	s_load_b64 s[14:15], s[0:1], 0x0
	s_wait_kmcnt 0x0
	s_ashr_i32 s25, s24, 31
	v_cvt_f32_u32_e32 v3, s8
	s_lshl_b64 s[16:17], s[24:25], 2
	s_and_b32 s48, s24, 3
	s_add_nc_u64 s[18:19], s[12:13], s[16:17]
	s_add_nc_u64 s[22:23], s[0:1], s[16:17]
	s_load_b64 s[2:3], s[18:19], 0x0
	v_rcp_iflag_f32_e32 v3, v3
	s_clause 0x1
	s_load_b64 s[16:17], s[18:19], 0x64
	s_load_b64 s[18:19], s[22:23], 0x64
	s_mul_i32 s26, s26, s21
	s_ashr_i32 s9, s8, 31
	s_add_co_i32 s33, s24, -3
	s_lshl_b32 s50, s26, 1
	v_cmp_gt_i64_e64 s49, s[24:25], 2
	s_mov_b32 s23, 0
	v_mul_f32_e32 v3, 0x4f7ffffe, v3
	s_delay_alu instid0(VALU_DEP_1)
	v_cvt_u32_f32_e32 v18, v3
	s_wait_kmcnt 0x0
	s_mov_b32 s20, s2
	s_ashr_i32 s21, s2, 31
	s_wait_alu 0xfffe
	v_cvt_f32_u32_e32 v4, s20
	s_cmp_lg_u32 s48, 2
	s_mov_b32 s24, s17
	s_cselect_b32 s51, -1, 0
	s_cmp_gt_u32 s33, 2
	v_rcp_iflag_f32_e32 v4, v4
	s_cselect_b32 s52, -1, 0
	s_ashr_i32 s25, s17, 31
	s_ashr_i32 s27, s19, 31
	s_mov_b32 s26, s19
	s_ashr_i32 s28, s9, 31
	s_mov_b32 s17, 0
	s_delay_alu instid0(TRANS32_DEP_1) | instskip(NEXT) | instid1(VALU_DEP_1)
	v_mul_f32_e32 v3, 0x4f7ffffe, v4
	v_cvt_u32_f32_e32 v19, v3
	s_branch .LBB21_3
.LBB21_2:                               ;   in Loop: Header=BB21_3 Depth=1
	s_wait_alu 0xfffe
	s_or_b32 exec_lo, exec_lo, s2
	v_add_co_u32 v0, vcc_lo, v0, s50
	s_wait_alu 0xfffd
	v_add_co_ci_u32_e64 v1, null, 0, v1, vcc_lo
	s_delay_alu instid0(VALU_DEP_1)
	v_cmp_le_i64_e32 vcc_lo, s[6:7], v[0:1]
	s_or_b32 s17, vcc_lo, s17
	s_wait_alu 0xfffe
	s_and_not1_b32 exec_lo, exec_lo, s17
	s_cbranch_execz .LBB21_47
.LBB21_3:                               ; =>This Loop Header: Depth=1
                                        ;     Child Loop BB21_15 Depth 2
                                        ;     Child Loop BB21_20 Depth 2
	v_or_b32_e32 v3, s9, v1
                                        ; implicit-def: $vgpr4_vgpr5
	s_mov_b32 s2, exec_lo
	s_delay_alu instid0(VALU_DEP_1)
	v_cmpx_ne_u64_e32 0, v[2:3]
	s_wait_alu 0xfffe
	s_xor_b32 s19, exec_lo, s2
	s_cbranch_execz .LBB21_5
; %bb.4:                                ;   in Loop: Header=BB21_3 Depth=1
	s_mov_b32 s29, s28
	v_ashrrev_i32_e32 v9, 31, v1
	s_wait_alu 0xfffe
	s_add_nc_u64 s[30:31], s[8:9], s[28:29]
	s_wait_alu 0xfffe
	s_xor_b64 s[30:31], s[30:31], s[28:29]
	v_add_co_u32 v3, vcc_lo, v0, v9
	s_wait_alu 0xfffe
	s_cvt_f32_u32 s2, s30
	s_cvt_f32_u32 s22, s31
	s_sub_nc_u64 s[36:37], 0, s[30:31]
	s_wait_alu 0xfffd
	v_add_co_ci_u32_e64 v4, null, v1, v9, vcc_lo
	s_wait_alu 0xfffe
	s_fmamk_f32 s2, s22, 0x4f800000, s2
	v_xor_b32_e32 v10, v3, v9
	s_delay_alu instid0(VALU_DEP_2) | instskip(SKIP_2) | instid1(TRANS32_DEP_1)
	v_xor_b32_e32 v11, v4, v9
	s_wait_alu 0xfffe
	v_s_rcp_f32 s2, s2
	s_mul_f32 s2, s2, 0x5f7ffffc
	s_wait_alu 0xfffe
	s_delay_alu instid0(SALU_CYCLE_2) | instskip(SKIP_1) | instid1(SALU_CYCLE_2)
	s_mul_f32 s22, s2, 0x2f800000
	s_wait_alu 0xfffe
	s_trunc_f32 s22, s22
	s_wait_alu 0xfffe
	s_delay_alu instid0(SALU_CYCLE_2) | instskip(SKIP_2) | instid1(SALU_CYCLE_1)
	s_fmamk_f32 s2, s22, 0xcf800000, s2
	s_cvt_u32_f32 s35, s22
	s_wait_alu 0xfffe
	s_cvt_u32_f32 s34, s2
	s_wait_alu 0xfffe
	s_delay_alu instid0(SALU_CYCLE_2)
	s_mul_u64 s[38:39], s[36:37], s[34:35]
	s_wait_alu 0xfffe
	s_mul_hi_u32 s41, s34, s39
	s_mul_i32 s40, s34, s39
	s_mul_hi_u32 s22, s34, s38
	s_mul_i32 s29, s35, s38
	s_wait_alu 0xfffe
	s_add_nc_u64 s[40:41], s[22:23], s[40:41]
	s_mul_hi_u32 s2, s35, s38
	s_mul_hi_u32 s42, s35, s39
	s_wait_alu 0xfffe
	s_add_co_u32 s22, s40, s29
	s_add_co_ci_u32 s22, s41, s2
	s_mul_i32 s38, s35, s39
	s_add_co_ci_u32 s39, s42, 0
	s_wait_alu 0xfffe
	s_add_nc_u64 s[38:39], s[22:23], s[38:39]
	s_wait_alu 0xfffe
	s_add_co_u32 s34, s34, s38
	s_cselect_b32 s2, -1, 0
	s_wait_alu 0xfffe
	s_cmp_lg_u32 s2, 0
	s_add_co_ci_u32 s35, s35, s39
	s_wait_alu 0xfffe
	s_mul_u64 s[36:37], s[36:37], s[34:35]
	s_wait_alu 0xfffe
	s_mul_hi_u32 s39, s34, s37
	s_mul_i32 s38, s34, s37
	s_mul_hi_u32 s22, s34, s36
	s_mul_i32 s29, s35, s36
	s_wait_alu 0xfffe
	s_add_nc_u64 s[38:39], s[22:23], s[38:39]
	s_mul_hi_u32 s2, s35, s36
	s_mul_hi_u32 s40, s35, s37
	s_wait_alu 0xfffe
	s_add_co_u32 s22, s38, s29
	s_add_co_ci_u32 s22, s39, s2
	s_mul_i32 s36, s35, s37
	s_add_co_ci_u32 s37, s40, 0
	s_wait_alu 0xfffe
	s_add_nc_u64 s[36:37], s[22:23], s[36:37]
	s_wait_alu 0xfffe
	s_add_co_u32 s2, s34, s36
	s_cselect_b32 s22, -1, 0
	s_wait_alu 0xfffe
	v_mul_hi_u32 v12, v10, s2
	s_cmp_lg_u32 s22, 0
	v_mad_co_u64_u32 v[5:6], null, v11, s2, 0
	s_add_co_ci_u32 s22, s35, s37
	s_wait_alu 0xfffe
	v_mad_co_u64_u32 v[3:4], null, v10, s22, 0
	v_mad_co_u64_u32 v[7:8], null, v11, s22, 0
	s_delay_alu instid0(VALU_DEP_2) | instskip(SKIP_1) | instid1(VALU_DEP_3)
	v_add_co_u32 v3, vcc_lo, v12, v3
	s_wait_alu 0xfffd
	v_add_co_ci_u32_e64 v4, null, 0, v4, vcc_lo
	s_delay_alu instid0(VALU_DEP_2) | instskip(SKIP_1) | instid1(VALU_DEP_2)
	v_add_co_u32 v3, vcc_lo, v3, v5
	s_wait_alu 0xfffd
	v_add_co_ci_u32_e32 v3, vcc_lo, v4, v6, vcc_lo
	s_wait_alu 0xfffd
	v_add_co_ci_u32_e32 v4, vcc_lo, 0, v8, vcc_lo
	s_delay_alu instid0(VALU_DEP_2) | instskip(SKIP_1) | instid1(VALU_DEP_2)
	v_add_co_u32 v5, vcc_lo, v3, v7
	s_wait_alu 0xfffd
	v_add_co_ci_u32_e64 v6, null, 0, v4, vcc_lo
	s_delay_alu instid0(VALU_DEP_2) | instskip(SKIP_1) | instid1(VALU_DEP_3)
	v_mul_lo_u32 v7, s31, v5
	v_mad_co_u64_u32 v[3:4], null, s30, v5, 0
	v_mul_lo_u32 v8, s30, v6
	s_delay_alu instid0(VALU_DEP_2) | instskip(NEXT) | instid1(VALU_DEP_2)
	v_sub_co_u32 v3, vcc_lo, v10, v3
	v_add3_u32 v4, v4, v8, v7
	v_add_co_u32 v8, s2, v5, 2
	s_wait_alu 0xf1ff
	v_add_co_ci_u32_e64 v10, null, 0, v6, s2
	s_delay_alu instid0(VALU_DEP_3) | instskip(SKIP_3) | instid1(VALU_DEP_3)
	v_sub_nc_u32_e32 v7, v11, v4
	v_sub_co_u32 v12, s2, v3, s30
	s_wait_alu 0xfffd
	v_sub_co_ci_u32_e64 v4, null, v11, v4, vcc_lo
	v_subrev_co_ci_u32_e64 v7, null, s31, v7, vcc_lo
	s_delay_alu instid0(VALU_DEP_3) | instskip(SKIP_1) | instid1(VALU_DEP_2)
	v_cmp_le_u32_e32 vcc_lo, s30, v12
	s_wait_alu 0xf1ff
	v_subrev_co_ci_u32_e64 v7, null, 0, v7, s2
	s_wait_alu 0xfffd
	v_cndmask_b32_e64 v11, 0, -1, vcc_lo
	s_delay_alu instid0(VALU_DEP_2)
	v_cmp_le_u32_e32 vcc_lo, s31, v7
	s_wait_alu 0xfffd
	v_cndmask_b32_e64 v12, 0, -1, vcc_lo
	v_cmp_le_u32_e32 vcc_lo, s30, v3
	s_wait_alu 0xfffd
	v_cndmask_b32_e64 v3, 0, -1, vcc_lo
	v_cmp_le_u32_e32 vcc_lo, s31, v4
	s_wait_alu 0xfffd
	v_cndmask_b32_e64 v13, 0, -1, vcc_lo
	v_cmp_eq_u32_e32 vcc_lo, s31, v7
	s_wait_alu 0xfffd
	v_cndmask_b32_e32 v7, v12, v11, vcc_lo
	v_add_co_u32 v11, vcc_lo, v5, 1
	s_wait_alu 0xfffd
	v_add_co_ci_u32_e64 v12, null, 0, v6, vcc_lo
	v_cmp_eq_u32_e32 vcc_lo, s31, v4
	s_wait_alu 0xfffd
	v_cndmask_b32_e32 v3, v13, v3, vcc_lo
	v_cmp_ne_u32_e32 vcc_lo, 0, v7
	v_xor_b32_e32 v7, s28, v9
	s_wait_alu 0xfffd
	v_cndmask_b32_e32 v4, v12, v10, vcc_lo
	v_cmp_ne_u32_e64 s2, 0, v3
	v_cndmask_b32_e32 v3, v11, v8, vcc_lo
	s_wait_alu 0xf1ff
	s_delay_alu instid0(VALU_DEP_2) | instskip(NEXT) | instid1(VALU_DEP_2)
	v_cndmask_b32_e64 v4, v6, v4, s2
	v_cndmask_b32_e64 v3, v5, v3, s2
	s_delay_alu instid0(VALU_DEP_2) | instskip(NEXT) | instid1(VALU_DEP_2)
	v_xor_b32_e32 v5, v4, v7
	v_xor_b32_e32 v3, v3, v7
	s_delay_alu instid0(VALU_DEP_1) | instskip(SKIP_1) | instid1(VALU_DEP_3)
	v_sub_co_u32 v4, vcc_lo, v3, v7
	s_wait_alu 0xfffd
	v_sub_co_ci_u32_e64 v5, null, v5, v7, vcc_lo
.LBB21_5:                               ;   in Loop: Header=BB21_3 Depth=1
	s_wait_alu 0xfffe
	s_and_not1_saveexec_b32 s2, s19
	s_cbranch_execz .LBB21_7
; %bb.6:                                ;   in Loop: Header=BB21_3 Depth=1
	s_sub_co_i32 s19, 0, s8
	s_wait_alu 0xfffe
	v_mul_lo_u32 v3, s19, v18
	s_delay_alu instid0(VALU_DEP_1) | instskip(NEXT) | instid1(VALU_DEP_1)
	v_mul_hi_u32 v3, v18, v3
	v_add_nc_u32_e32 v3, v18, v3
	s_delay_alu instid0(VALU_DEP_1) | instskip(NEXT) | instid1(VALU_DEP_1)
	v_mul_hi_u32 v3, v0, v3
	v_mul_lo_u32 v4, v3, s8
	v_add_nc_u32_e32 v5, 1, v3
	s_delay_alu instid0(VALU_DEP_2) | instskip(NEXT) | instid1(VALU_DEP_1)
	v_sub_nc_u32_e32 v4, v0, v4
	v_subrev_nc_u32_e32 v6, s8, v4
	v_cmp_le_u32_e32 vcc_lo, s8, v4
	s_wait_alu 0xfffd
	s_delay_alu instid0(VALU_DEP_2) | instskip(NEXT) | instid1(VALU_DEP_1)
	v_dual_cndmask_b32 v4, v4, v6 :: v_dual_cndmask_b32 v3, v3, v5
	v_cmp_le_u32_e32 vcc_lo, s8, v4
	s_delay_alu instid0(VALU_DEP_2) | instskip(SKIP_1) | instid1(VALU_DEP_1)
	v_add_nc_u32_e32 v5, 1, v3
	s_wait_alu 0xfffd
	v_dual_cndmask_b32 v4, v3, v5 :: v_dual_mov_b32 v5, v2
.LBB21_7:                               ;   in Loop: Header=BB21_3 Depth=1
	s_wait_alu 0xfffe
	s_or_b32 exec_lo, exec_lo, s2
	s_delay_alu instid0(VALU_DEP_1) | instskip(SKIP_1) | instid1(VALU_DEP_1)
	v_or_b32_e32 v3, s21, v5
                                        ; implicit-def: $vgpr8_vgpr9
	s_mov_b32 s2, exec_lo
	v_cmpx_ne_u64_e32 0, v[2:3]
	s_wait_alu 0xfffe
	s_xor_b32 s19, exec_lo, s2
	s_cbranch_execz .LBB21_9
; %bb.8:                                ;   in Loop: Header=BB21_3 Depth=1
	s_ashr_i32 s30, s21, 31
	v_ashrrev_i32_e32 v3, 31, v5
	s_wait_alu 0xfffe
	s_mov_b32 s31, s30
	s_wait_alu 0xfffe
	s_add_nc_u64 s[34:35], s[20:21], s[30:31]
	v_add_co_u32 v6, vcc_lo, v4, v3
	s_wait_alu 0xfffe
	s_xor_b64 s[34:35], s[34:35], s[30:31]
	s_wait_alu 0xfffd
	v_add_co_ci_u32_e64 v5, null, v5, v3, vcc_lo
	s_wait_alu 0xfffe
	s_cvt_f32_u32 s2, s34
	s_cvt_f32_u32 s22, s35
	s_sub_nc_u64 s[38:39], 0, s[34:35]
	v_xor_b32_e32 v11, v6, v3
	v_xor_b32_e32 v12, v5, v3
	s_wait_alu 0xfffe
	s_fmamk_f32 s2, s22, 0x4f800000, s2
	v_xor_b32_e32 v3, s30, v3
	s_wait_alu 0xfffe
	s_delay_alu instid0(SALU_CYCLE_1) | instskip(NEXT) | instid1(TRANS32_DEP_1)
	v_s_rcp_f32 s2, s2
	s_mul_f32 s2, s2, 0x5f7ffffc
	s_wait_alu 0xfffe
	s_delay_alu instid0(SALU_CYCLE_2) | instskip(SKIP_1) | instid1(SALU_CYCLE_2)
	s_mul_f32 s22, s2, 0x2f800000
	s_wait_alu 0xfffe
	s_trunc_f32 s22, s22
	s_wait_alu 0xfffe
	s_delay_alu instid0(SALU_CYCLE_2) | instskip(SKIP_2) | instid1(SALU_CYCLE_1)
	s_fmamk_f32 s2, s22, 0xcf800000, s2
	s_cvt_u32_f32 s37, s22
	s_wait_alu 0xfffe
	s_cvt_u32_f32 s36, s2
	s_wait_alu 0xfffe
	s_delay_alu instid0(SALU_CYCLE_2)
	s_mul_u64 s[40:41], s[38:39], s[36:37]
	s_wait_alu 0xfffe
	s_mul_hi_u32 s43, s36, s41
	s_mul_i32 s42, s36, s41
	s_mul_hi_u32 s22, s36, s40
	s_mul_i32 s29, s37, s40
	s_wait_alu 0xfffe
	s_add_nc_u64 s[42:43], s[22:23], s[42:43]
	s_mul_hi_u32 s2, s37, s40
	s_mul_hi_u32 s31, s37, s41
	s_wait_alu 0xfffe
	s_add_co_u32 s22, s42, s29
	s_add_co_ci_u32 s22, s43, s2
	s_mul_i32 s40, s37, s41
	s_add_co_ci_u32 s41, s31, 0
	s_wait_alu 0xfffe
	s_add_nc_u64 s[40:41], s[22:23], s[40:41]
	s_wait_alu 0xfffe
	s_add_co_u32 s36, s36, s40
	s_cselect_b32 s2, -1, 0
	s_wait_alu 0xfffe
	s_cmp_lg_u32 s2, 0
	s_add_co_ci_u32 s37, s37, s41
	s_wait_alu 0xfffe
	s_mul_u64 s[38:39], s[38:39], s[36:37]
	s_wait_alu 0xfffe
	s_mul_hi_u32 s41, s36, s39
	s_mul_i32 s40, s36, s39
	s_mul_hi_u32 s22, s36, s38
	s_mul_i32 s29, s37, s38
	s_wait_alu 0xfffe
	s_add_nc_u64 s[40:41], s[22:23], s[40:41]
	s_mul_hi_u32 s2, s37, s38
	s_mul_hi_u32 s31, s37, s39
	s_wait_alu 0xfffe
	s_add_co_u32 s22, s40, s29
	s_add_co_ci_u32 s22, s41, s2
	s_mul_i32 s38, s37, s39
	s_add_co_ci_u32 s39, s31, 0
	s_wait_alu 0xfffe
	s_add_nc_u64 s[38:39], s[22:23], s[38:39]
	s_wait_alu 0xfffe
	s_add_co_u32 s2, s36, s38
	s_cselect_b32 s22, -1, 0
	s_wait_alu 0xfffe
	v_mul_hi_u32 v13, v11, s2
	s_cmp_lg_u32 s22, 0
	v_mad_co_u64_u32 v[7:8], null, v12, s2, 0
	s_add_co_ci_u32 s22, s37, s39
	s_wait_alu 0xfffe
	v_mad_co_u64_u32 v[5:6], null, v11, s22, 0
	v_mad_co_u64_u32 v[9:10], null, v12, s22, 0
	s_delay_alu instid0(VALU_DEP_2) | instskip(SKIP_1) | instid1(VALU_DEP_3)
	v_add_co_u32 v5, vcc_lo, v13, v5
	s_wait_alu 0xfffd
	v_add_co_ci_u32_e64 v6, null, 0, v6, vcc_lo
	s_delay_alu instid0(VALU_DEP_2) | instskip(SKIP_1) | instid1(VALU_DEP_2)
	v_add_co_u32 v5, vcc_lo, v5, v7
	s_wait_alu 0xfffd
	v_add_co_ci_u32_e32 v5, vcc_lo, v6, v8, vcc_lo
	s_wait_alu 0xfffd
	v_add_co_ci_u32_e32 v6, vcc_lo, 0, v10, vcc_lo
	s_delay_alu instid0(VALU_DEP_2) | instskip(SKIP_1) | instid1(VALU_DEP_2)
	v_add_co_u32 v7, vcc_lo, v5, v9
	s_wait_alu 0xfffd
	v_add_co_ci_u32_e64 v8, null, 0, v6, vcc_lo
	s_delay_alu instid0(VALU_DEP_2) | instskip(SKIP_1) | instid1(VALU_DEP_3)
	v_mul_lo_u32 v9, s35, v7
	v_mad_co_u64_u32 v[5:6], null, s34, v7, 0
	v_mul_lo_u32 v10, s34, v8
	s_delay_alu instid0(VALU_DEP_2) | instskip(NEXT) | instid1(VALU_DEP_2)
	v_sub_co_u32 v5, vcc_lo, v11, v5
	v_add3_u32 v6, v6, v10, v9
	v_add_co_u32 v10, s2, v7, 2
	s_wait_alu 0xf1ff
	v_add_co_ci_u32_e64 v11, null, 0, v8, s2
	s_delay_alu instid0(VALU_DEP_3) | instskip(SKIP_3) | instid1(VALU_DEP_3)
	v_sub_nc_u32_e32 v9, v12, v6
	v_sub_co_u32 v13, s2, v5, s34
	s_wait_alu 0xfffd
	v_sub_co_ci_u32_e64 v6, null, v12, v6, vcc_lo
	v_subrev_co_ci_u32_e64 v9, null, s35, v9, vcc_lo
	s_delay_alu instid0(VALU_DEP_3) | instskip(SKIP_1) | instid1(VALU_DEP_2)
	v_cmp_le_u32_e32 vcc_lo, s34, v13
	s_wait_alu 0xf1ff
	v_subrev_co_ci_u32_e64 v9, null, 0, v9, s2
	s_wait_alu 0xfffd
	v_cndmask_b32_e64 v12, 0, -1, vcc_lo
	s_delay_alu instid0(VALU_DEP_2)
	v_cmp_le_u32_e32 vcc_lo, s35, v9
	s_wait_alu 0xfffd
	v_cndmask_b32_e64 v13, 0, -1, vcc_lo
	v_cmp_le_u32_e32 vcc_lo, s34, v5
	s_wait_alu 0xfffd
	v_cndmask_b32_e64 v5, 0, -1, vcc_lo
	;; [unrolled: 3-line block ×3, first 2 shown]
	v_cmp_eq_u32_e32 vcc_lo, s35, v9
	s_wait_alu 0xfffd
	v_cndmask_b32_e32 v9, v13, v12, vcc_lo
	v_add_co_u32 v12, vcc_lo, v7, 1
	s_wait_alu 0xfffd
	v_add_co_ci_u32_e64 v13, null, 0, v8, vcc_lo
	v_cmp_eq_u32_e32 vcc_lo, s35, v6
	s_wait_alu 0xfffd
	v_cndmask_b32_e32 v5, v14, v5, vcc_lo
	v_cmp_ne_u32_e32 vcc_lo, 0, v9
	s_wait_alu 0xfffd
	v_cndmask_b32_e32 v6, v13, v11, vcc_lo
	s_delay_alu instid0(VALU_DEP_3) | instskip(SKIP_2) | instid1(VALU_DEP_2)
	v_cmp_ne_u32_e64 s2, 0, v5
	v_cndmask_b32_e32 v5, v12, v10, vcc_lo
	s_wait_alu 0xf1ff
	v_cndmask_b32_e64 v6, v8, v6, s2
	s_delay_alu instid0(VALU_DEP_2) | instskip(NEXT) | instid1(VALU_DEP_2)
	v_cndmask_b32_e64 v5, v7, v5, s2
	v_xor_b32_e32 v6, v6, v3
	s_delay_alu instid0(VALU_DEP_2) | instskip(NEXT) | instid1(VALU_DEP_1)
	v_xor_b32_e32 v5, v5, v3
	v_sub_co_u32 v8, vcc_lo, v5, v3
	s_wait_alu 0xfffd
	s_delay_alu instid0(VALU_DEP_3)
	v_sub_co_ci_u32_e64 v9, null, v6, v3, vcc_lo
.LBB21_9:                               ;   in Loop: Header=BB21_3 Depth=1
	s_wait_alu 0xfffe
	s_and_not1_saveexec_b32 s2, s19
	s_cbranch_execz .LBB21_11
; %bb.10:                               ;   in Loop: Header=BB21_3 Depth=1
	s_sub_co_i32 s19, 0, s20
	v_mov_b32_e32 v9, v2
	s_wait_alu 0xfffe
	v_mul_lo_u32 v3, s19, v19
	s_delay_alu instid0(VALU_DEP_1) | instskip(NEXT) | instid1(VALU_DEP_1)
	v_mul_hi_u32 v3, v19, v3
	v_add_nc_u32_e32 v3, v19, v3
	s_delay_alu instid0(VALU_DEP_1) | instskip(NEXT) | instid1(VALU_DEP_1)
	v_mul_hi_u32 v3, v4, v3
	v_mul_lo_u32 v5, v3, s20
	v_add_nc_u32_e32 v6, 1, v3
	s_delay_alu instid0(VALU_DEP_2) | instskip(NEXT) | instid1(VALU_DEP_1)
	v_sub_nc_u32_e32 v5, v4, v5
	v_cmp_le_u32_e32 vcc_lo, s20, v5
	v_subrev_nc_u32_e32 v7, s20, v5
	s_wait_alu 0xfffd
	v_cndmask_b32_e32 v3, v3, v6, vcc_lo
	s_delay_alu instid0(VALU_DEP_1) | instskip(NEXT) | instid1(VALU_DEP_3)
	v_add_nc_u32_e32 v6, 1, v3
	v_cndmask_b32_e32 v5, v5, v7, vcc_lo
	s_delay_alu instid0(VALU_DEP_1) | instskip(SKIP_1) | instid1(VALU_DEP_3)
	v_cmp_le_u32_e32 vcc_lo, s20, v5
	s_wait_alu 0xfffd
	v_cndmask_b32_e32 v8, v3, v6, vcc_lo
.LBB21_11:                              ;   in Loop: Header=BB21_3 Depth=1
	s_wait_alu 0xfffe
	s_or_b32 exec_lo, exec_lo, s2
	v_mad_co_u64_u32 v[5:6], null, v4, s8, 0
	s_delay_alu instid0(VALU_DEP_2) | instskip(SKIP_3) | instid1(VALU_DEP_2)
	v_mad_co_u64_u32 v[6:7], null, v8, s20, 0
	s_and_not1_b32 vcc_lo, exec_lo, s49
	v_sub_co_u32 v20, null, v0, v5
	v_sub_co_u32 v21, null, v4, v6
	v_mul_lo_u32 v3, s24, v20
	v_mul_lo_u32 v5, s26, v20
	s_delay_alu instid0(VALU_DEP_2) | instskip(NEXT) | instid1(VALU_DEP_1)
	v_mad_co_u64_u32 v[6:7], null, s16, v21, v[3:4]
	v_mad_co_u64_u32 v[4:5], null, s18, v21, v[5:6]
	s_wait_alu 0xfffe
	s_cbranch_vccnz .LBB21_38
; %bb.12:                               ;   in Loop: Header=BB21_3 Depth=1
	s_mov_b32 s19, 1
	s_and_not1_b32 vcc_lo, exec_lo, s51
	s_mov_b32 s22, s33
	s_mov_b32 s2, s33
	s_wait_alu 0xfffe
	s_cbranch_vccz .LBB21_15
; %bb.13:                               ;   in Loop: Header=BB21_3 Depth=1
	s_and_b32 vcc_lo, exec_lo, s52
	s_mov_b32 s22, s2
	s_wait_alu 0xfffe
	s_cbranch_vccnz .LBB21_20
	s_branch .LBB21_38
.LBB21_14:                              ;   in Loop: Header=BB21_15 Depth=2
	s_wait_alu 0xfffe
	s_or_b32 exec_lo, exec_lo, s2
	s_add_nc_u64 s[36:37], s[0:1], s[36:37]
	s_clause 0x1
	s_load_b32 s2, s[34:35], 0x6c
	s_load_b32 s29, s[36:37], 0x6c
	v_mul_lo_u32 v3, v10, s30
	s_add_co_i32 s22, s22, -1
	s_delay_alu instid0(VALU_DEP_1) | instskip(SKIP_2) | instid1(VALU_DEP_2)
	v_sub_nc_u32_e32 v3, v8, v3
	v_dual_mov_b32 v8, v10 :: v_dual_mov_b32 v9, v11
	s_wait_kmcnt 0x0
	v_mad_co_u64_u32 v[6:7], null, s2, v3, v[6:7]
	v_mad_co_u64_u32 v[4:5], null, s29, v3, v[4:5]
	s_xor_b32 s2, s48, s19
	s_add_co_i32 s19, s19, 1
	s_wait_alu 0xfffe
	s_cmp_lg_u32 s2, 2
	s_cbranch_scc0 .LBB21_19
.LBB21_15:                              ;   Parent Loop BB21_3 Depth=1
                                        ; =>  This Inner Loop Header: Depth=2
	s_lshl_b64 s[36:37], s[22:23], 2
                                        ; implicit-def: $vgpr10_vgpr11
	s_mov_b32 s2, exec_lo
	s_wait_alu 0xfffe
	s_add_nc_u64 s[34:35], s[12:13], s[36:37]
	s_load_b32 s30, s[34:35], 0x8
	s_wait_kmcnt 0x0
	s_ashr_i32 s31, s30, 31
	s_wait_alu 0xfffe
	v_or_b32_e32 v3, s31, v9
	s_delay_alu instid0(VALU_DEP_1)
	v_cmpx_ne_u64_e32 0, v[2:3]
	s_xor_b32 s29, exec_lo, s2
	s_cbranch_execz .LBB21_17
; %bb.16:                               ;   in Loop: Header=BB21_15 Depth=2
	s_ashr_i32 s38, s31, 31
	s_mov_b32 s47, s23
	s_wait_alu 0xfffe
	s_mov_b32 s39, s38
	s_mov_b32 s57, s23
	s_wait_alu 0xfffe
	s_add_nc_u64 s[40:41], s[30:31], s[38:39]
	v_ashrrev_i32_e32 v3, 31, v9
	s_wait_alu 0xfffe
	s_xor_b64 s[40:41], s[40:41], s[38:39]
	s_wait_alu 0xfffe
	s_cvt_f32_u32 s2, s40
	s_cvt_f32_u32 s31, s41
	s_sub_nc_u64 s[44:45], 0, s[40:41]
	v_add_co_u32 v5, vcc_lo, v8, v3
	s_wait_alu 0xfffe
	s_fmamk_f32 s2, s31, 0x4f800000, s2
	s_wait_alu 0xfffd
	v_add_co_ci_u32_e64 v7, null, v9, v3, vcc_lo
	v_xor_b32_e32 v5, v5, v3
	s_wait_alu 0xfffe
	v_s_rcp_f32 s2, s2
	s_delay_alu instid0(VALU_DEP_2) | instskip(SKIP_1) | instid1(TRANS32_DEP_1)
	v_xor_b32_e32 v7, v7, v3
	v_xor_b32_e32 v3, s38, v3
	s_mul_f32 s2, s2, 0x5f7ffffc
	s_wait_alu 0xfffe
	s_delay_alu instid0(SALU_CYCLE_2) | instskip(SKIP_1) | instid1(SALU_CYCLE_2)
	s_mul_f32 s31, s2, 0x2f800000
	s_wait_alu 0xfffe
	s_trunc_f32 s31, s31
	s_wait_alu 0xfffe
	s_delay_alu instid0(SALU_CYCLE_2) | instskip(SKIP_2) | instid1(SALU_CYCLE_1)
	s_fmamk_f32 s2, s31, 0xcf800000, s2
	s_cvt_u32_f32 s43, s31
	s_wait_alu 0xfffe
	s_cvt_u32_f32 s42, s2
	s_wait_alu 0xfffe
	s_delay_alu instid0(SALU_CYCLE_2) | instskip(NEXT) | instid1(SALU_CYCLE_1)
	s_mul_u64 s[54:55], s[44:45], s[42:43]
	s_mul_hi_u32 s59, s42, s55
	s_mul_i32 s58, s42, s55
	s_mul_hi_u32 s46, s42, s54
	s_mul_i32 s31, s43, s54
	s_wait_alu 0xfffe
	s_add_nc_u64 s[46:47], s[46:47], s[58:59]
	s_mul_hi_u32 s2, s43, s54
	s_mul_hi_u32 s39, s43, s55
	s_wait_alu 0xfffe
	s_add_co_u32 s31, s46, s31
	s_add_co_ci_u32 s56, s47, s2
	s_mul_i32 s54, s43, s55
	s_add_co_ci_u32 s55, s39, 0
	s_delay_alu instid0(SALU_CYCLE_1)
	s_add_nc_u64 s[46:47], s[56:57], s[54:55]
	s_mov_b32 s55, s23
	s_wait_alu 0xfffe
	s_add_co_u32 s42, s42, s46
	s_cselect_b32 s2, -1, 0
	s_wait_alu 0xfffe
	s_cmp_lg_u32 s2, 0
	s_add_co_ci_u32 s43, s43, s47
	s_mov_b32 s47, s23
	s_wait_alu 0xfffe
	s_mul_u64 s[44:45], s[44:45], s[42:43]
	s_wait_alu 0xfffe
	s_mul_hi_u32 s57, s42, s45
	s_mul_i32 s56, s42, s45
	s_mul_hi_u32 s54, s42, s44
	s_mul_i32 s31, s43, s44
	s_add_nc_u64 s[54:55], s[54:55], s[56:57]
	s_mul_hi_u32 s2, s43, s44
	s_mul_hi_u32 s39, s43, s45
	s_wait_alu 0xfffe
	s_add_co_u32 s31, s54, s31
	s_add_co_ci_u32 s46, s55, s2
	s_mul_i32 s44, s43, s45
	s_add_co_ci_u32 s45, s39, 0
	s_wait_alu 0xfffe
	s_add_nc_u64 s[44:45], s[46:47], s[44:45]
	s_wait_alu 0xfffe
	s_add_co_u32 s2, s42, s44
	s_cselect_b32 s31, -1, 0
	s_wait_alu 0xfffe
	v_mul_hi_u32 v15, v5, s2
	s_cmp_lg_u32 s31, 0
	v_mad_co_u64_u32 v[11:12], null, v7, s2, 0
	s_add_co_ci_u32 s31, s43, s45
	s_wait_alu 0xfffe
	v_mad_co_u64_u32 v[9:10], null, v5, s31, 0
	v_mad_co_u64_u32 v[13:14], null, v7, s31, 0
	s_delay_alu instid0(VALU_DEP_2) | instskip(SKIP_1) | instid1(VALU_DEP_3)
	v_add_co_u32 v9, vcc_lo, v15, v9
	s_wait_alu 0xfffd
	v_add_co_ci_u32_e64 v10, null, 0, v10, vcc_lo
	s_delay_alu instid0(VALU_DEP_2) | instskip(SKIP_1) | instid1(VALU_DEP_2)
	v_add_co_u32 v9, vcc_lo, v9, v11
	s_wait_alu 0xfffd
	v_add_co_ci_u32_e32 v9, vcc_lo, v10, v12, vcc_lo
	s_wait_alu 0xfffd
	v_add_co_ci_u32_e32 v10, vcc_lo, 0, v14, vcc_lo
	s_delay_alu instid0(VALU_DEP_2) | instskip(SKIP_1) | instid1(VALU_DEP_2)
	v_add_co_u32 v11, vcc_lo, v9, v13
	s_wait_alu 0xfffd
	v_add_co_ci_u32_e64 v12, null, 0, v10, vcc_lo
	s_delay_alu instid0(VALU_DEP_2) | instskip(SKIP_1) | instid1(VALU_DEP_3)
	v_mul_lo_u32 v13, s41, v11
	v_mad_co_u64_u32 v[9:10], null, s40, v11, 0
	v_mul_lo_u32 v14, s40, v12
	s_delay_alu instid0(VALU_DEP_2) | instskip(NEXT) | instid1(VALU_DEP_2)
	v_sub_co_u32 v5, vcc_lo, v5, v9
	v_add3_u32 v10, v10, v14, v13
	s_delay_alu instid0(VALU_DEP_1) | instskip(SKIP_2) | instid1(VALU_DEP_2)
	v_sub_nc_u32_e32 v13, v7, v10
	s_wait_alu 0xfffd
	v_sub_co_ci_u32_e64 v7, null, v7, v10, vcc_lo
	v_subrev_co_ci_u32_e64 v9, null, s41, v13, vcc_lo
	v_add_co_u32 v13, s2, v11, 2
	s_wait_alu 0xf1ff
	v_add_co_ci_u32_e64 v14, null, 0, v12, s2
	v_sub_co_u32 v15, s2, v5, s40
	s_wait_alu 0xf1ff
	v_subrev_co_ci_u32_e64 v9, null, 0, v9, s2
	s_delay_alu instid0(VALU_DEP_2) | instskip(SKIP_2) | instid1(VALU_DEP_3)
	v_cmp_le_u32_e32 vcc_lo, s40, v15
	s_wait_alu 0xfffd
	v_cndmask_b32_e64 v10, 0, -1, vcc_lo
	v_cmp_le_u32_e32 vcc_lo, s41, v9
	s_wait_alu 0xfffd
	v_cndmask_b32_e64 v15, 0, -1, vcc_lo
	;; [unrolled: 3-line block ×4, first 2 shown]
	v_cmp_eq_u32_e32 vcc_lo, s41, v9
	s_wait_alu 0xfffd
	v_cndmask_b32_e32 v9, v15, v10, vcc_lo
	v_add_co_u32 v10, vcc_lo, v11, 1
	s_wait_alu 0xfffd
	v_add_co_ci_u32_e64 v15, null, 0, v12, vcc_lo
	v_cmp_eq_u32_e32 vcc_lo, s41, v7
	s_wait_alu 0xfffd
	v_cndmask_b32_e32 v5, v16, v5, vcc_lo
	v_cmp_ne_u32_e32 vcc_lo, 0, v9
	s_delay_alu instid0(VALU_DEP_2) | instskip(SKIP_4) | instid1(VALU_DEP_2)
	v_cmp_ne_u32_e64 s2, 0, v5
	s_wait_alu 0xfffd
	v_cndmask_b32_e32 v5, v10, v13, vcc_lo
	v_cndmask_b32_e32 v7, v15, v14, vcc_lo
	s_wait_alu 0xf1ff
	v_cndmask_b32_e64 v5, v11, v5, s2
	s_delay_alu instid0(VALU_DEP_2) | instskip(NEXT) | instid1(VALU_DEP_2)
	v_cndmask_b32_e64 v7, v12, v7, s2
	v_xor_b32_e32 v5, v5, v3
	s_delay_alu instid0(VALU_DEP_2) | instskip(NEXT) | instid1(VALU_DEP_2)
	v_xor_b32_e32 v7, v7, v3
	v_sub_co_u32 v10, vcc_lo, v5, v3
	s_wait_alu 0xfffd
	s_delay_alu instid0(VALU_DEP_2)
	v_sub_co_ci_u32_e64 v11, null, v7, v3, vcc_lo
.LBB21_17:                              ;   in Loop: Header=BB21_15 Depth=2
	s_wait_alu 0xfffe
	s_and_not1_saveexec_b32 s2, s29
	s_cbranch_execz .LBB21_14
; %bb.18:                               ;   in Loop: Header=BB21_15 Depth=2
	v_cvt_f32_u32_e32 v3, s30
	s_sub_co_i32 s29, 0, s30
	v_mov_b32_e32 v11, v2
	s_delay_alu instid0(VALU_DEP_2) | instskip(NEXT) | instid1(TRANS32_DEP_1)
	v_rcp_iflag_f32_e32 v3, v3
	v_mul_f32_e32 v3, 0x4f7ffffe, v3
	s_delay_alu instid0(VALU_DEP_1) | instskip(SKIP_1) | instid1(VALU_DEP_1)
	v_cvt_u32_f32_e32 v3, v3
	s_wait_alu 0xfffe
	v_mul_lo_u32 v5, s29, v3
	s_delay_alu instid0(VALU_DEP_1) | instskip(NEXT) | instid1(VALU_DEP_1)
	v_mul_hi_u32 v5, v3, v5
	v_add_nc_u32_e32 v3, v3, v5
	s_delay_alu instid0(VALU_DEP_1) | instskip(NEXT) | instid1(VALU_DEP_1)
	v_mul_hi_u32 v3, v8, v3
	v_mul_lo_u32 v5, v3, s30
	v_add_nc_u32_e32 v7, 1, v3
	s_delay_alu instid0(VALU_DEP_2) | instskip(NEXT) | instid1(VALU_DEP_1)
	v_sub_nc_u32_e32 v5, v8, v5
	v_cmp_le_u32_e32 vcc_lo, s30, v5
	v_subrev_nc_u32_e32 v9, s30, v5
	s_wait_alu 0xfffd
	v_cndmask_b32_e32 v3, v3, v7, vcc_lo
	s_delay_alu instid0(VALU_DEP_1) | instskip(NEXT) | instid1(VALU_DEP_3)
	v_add_nc_u32_e32 v7, 1, v3
	v_cndmask_b32_e32 v5, v5, v9, vcc_lo
	s_delay_alu instid0(VALU_DEP_1) | instskip(SKIP_1) | instid1(VALU_DEP_3)
	v_cmp_le_u32_e32 vcc_lo, s30, v5
	s_wait_alu 0xfffd
	v_cndmask_b32_e32 v10, v3, v7, vcc_lo
	s_branch .LBB21_14
.LBB21_19:                              ;   in Loop: Header=BB21_3 Depth=1
	s_mov_b32 s2, s22
	s_and_b32 vcc_lo, exec_lo, s52
	s_wait_alu 0xfffe
	s_mov_b32 s22, s2
	s_cbranch_vccz .LBB21_38
.LBB21_20:                              ;   Parent Loop BB21_3 Depth=1
                                        ; =>  This Inner Loop Header: Depth=2
	s_wait_alu 0xfffe
	s_lshl_b64 s[42:43], s[22:23], 2
                                        ; implicit-def: $vgpr10_vgpr11
	s_mov_b32 s2, exec_lo
	s_wait_alu 0xfffe
	s_add_nc_u64 s[36:37], s[12:13], s[42:43]
	s_load_b32 s30, s[36:37], 0x8
	s_wait_kmcnt 0x0
	s_ashr_i32 s31, s30, 31
	s_wait_alu 0xfffe
	v_or_b32_e32 v3, s31, v9
	s_delay_alu instid0(VALU_DEP_1)
	v_cmpx_ne_u64_e32 0, v[2:3]
	s_xor_b32 s19, exec_lo, s2
	s_cbranch_execz .LBB21_22
; %bb.21:                               ;   in Loop: Header=BB21_20 Depth=2
	s_ashr_i32 s34, s31, 31
	s_mov_b32 s47, s23
	s_wait_alu 0xfffe
	s_mov_b32 s35, s34
	s_mov_b32 s57, s23
	s_wait_alu 0xfffe
	s_add_nc_u64 s[38:39], s[30:31], s[34:35]
	v_ashrrev_i32_e32 v3, 31, v9
	s_wait_alu 0xfffe
	s_xor_b64 s[38:39], s[38:39], s[34:35]
	s_wait_alu 0xfffe
	s_cvt_f32_u32 s2, s38
	s_cvt_f32_u32 s29, s39
	s_sub_nc_u64 s[44:45], 0, s[38:39]
	v_add_co_u32 v5, vcc_lo, v8, v3
	s_wait_alu 0xfffe
	s_fmamk_f32 s2, s29, 0x4f800000, s2
	s_wait_alu 0xfffd
	v_add_co_ci_u32_e64 v7, null, v9, v3, vcc_lo
	v_xor_b32_e32 v5, v5, v3
	s_wait_alu 0xfffe
	v_s_rcp_f32 s2, s2
	s_delay_alu instid0(VALU_DEP_2) | instskip(SKIP_1) | instid1(TRANS32_DEP_1)
	v_xor_b32_e32 v7, v7, v3
	v_xor_b32_e32 v3, s34, v3
	s_mul_f32 s2, s2, 0x5f7ffffc
	s_wait_alu 0xfffe
	s_delay_alu instid0(SALU_CYCLE_2) | instskip(SKIP_1) | instid1(SALU_CYCLE_2)
	s_mul_f32 s29, s2, 0x2f800000
	s_wait_alu 0xfffe
	s_trunc_f32 s29, s29
	s_wait_alu 0xfffe
	s_delay_alu instid0(SALU_CYCLE_2) | instskip(SKIP_2) | instid1(SALU_CYCLE_1)
	s_fmamk_f32 s2, s29, 0xcf800000, s2
	s_cvt_u32_f32 s41, s29
	s_wait_alu 0xfffe
	s_cvt_u32_f32 s40, s2
	s_wait_alu 0xfffe
	s_delay_alu instid0(SALU_CYCLE_2) | instskip(NEXT) | instid1(SALU_CYCLE_1)
	s_mul_u64 s[54:55], s[44:45], s[40:41]
	s_mul_hi_u32 s59, s40, s55
	s_mul_i32 s58, s40, s55
	s_mul_hi_u32 s46, s40, s54
	s_mul_i32 s29, s41, s54
	s_wait_alu 0xfffe
	s_add_nc_u64 s[46:47], s[46:47], s[58:59]
	s_mul_hi_u32 s2, s41, s54
	s_mul_hi_u32 s31, s41, s55
	s_wait_alu 0xfffe
	s_add_co_u32 s29, s46, s29
	s_add_co_ci_u32 s56, s47, s2
	s_mul_i32 s54, s41, s55
	s_add_co_ci_u32 s55, s31, 0
	s_delay_alu instid0(SALU_CYCLE_1)
	s_add_nc_u64 s[46:47], s[56:57], s[54:55]
	s_mov_b32 s55, s23
	s_wait_alu 0xfffe
	s_add_co_u32 s40, s40, s46
	s_cselect_b32 s2, -1, 0
	s_wait_alu 0xfffe
	s_cmp_lg_u32 s2, 0
	s_add_co_ci_u32 s41, s41, s47
	s_mov_b32 s47, s23
	s_wait_alu 0xfffe
	s_mul_u64 s[44:45], s[44:45], s[40:41]
	s_wait_alu 0xfffe
	s_mul_hi_u32 s57, s40, s45
	s_mul_i32 s56, s40, s45
	s_mul_hi_u32 s54, s40, s44
	s_mul_i32 s29, s41, s44
	s_add_nc_u64 s[54:55], s[54:55], s[56:57]
	s_mul_hi_u32 s2, s41, s44
	s_mul_hi_u32 s31, s41, s45
	s_wait_alu 0xfffe
	s_add_co_u32 s29, s54, s29
	s_add_co_ci_u32 s46, s55, s2
	s_mul_i32 s44, s41, s45
	s_add_co_ci_u32 s45, s31, 0
	s_wait_alu 0xfffe
	s_add_nc_u64 s[44:45], s[46:47], s[44:45]
	s_wait_alu 0xfffe
	s_add_co_u32 s2, s40, s44
	s_cselect_b32 s29, -1, 0
	s_wait_alu 0xfffe
	v_mul_hi_u32 v15, v5, s2
	s_cmp_lg_u32 s29, 0
	v_mad_co_u64_u32 v[11:12], null, v7, s2, 0
	s_add_co_ci_u32 s29, s41, s45
	s_wait_alu 0xfffe
	v_mad_co_u64_u32 v[9:10], null, v5, s29, 0
	v_mad_co_u64_u32 v[13:14], null, v7, s29, 0
	s_delay_alu instid0(VALU_DEP_2) | instskip(SKIP_1) | instid1(VALU_DEP_3)
	v_add_co_u32 v9, vcc_lo, v15, v9
	s_wait_alu 0xfffd
	v_add_co_ci_u32_e64 v10, null, 0, v10, vcc_lo
	s_delay_alu instid0(VALU_DEP_2) | instskip(SKIP_1) | instid1(VALU_DEP_2)
	v_add_co_u32 v9, vcc_lo, v9, v11
	s_wait_alu 0xfffd
	v_add_co_ci_u32_e32 v9, vcc_lo, v10, v12, vcc_lo
	s_wait_alu 0xfffd
	v_add_co_ci_u32_e32 v10, vcc_lo, 0, v14, vcc_lo
	s_delay_alu instid0(VALU_DEP_2) | instskip(SKIP_1) | instid1(VALU_DEP_2)
	v_add_co_u32 v11, vcc_lo, v9, v13
	s_wait_alu 0xfffd
	v_add_co_ci_u32_e64 v12, null, 0, v10, vcc_lo
	s_delay_alu instid0(VALU_DEP_2) | instskip(SKIP_1) | instid1(VALU_DEP_3)
	v_mul_lo_u32 v13, s39, v11
	v_mad_co_u64_u32 v[9:10], null, s38, v11, 0
	v_mul_lo_u32 v14, s38, v12
	s_delay_alu instid0(VALU_DEP_2) | instskip(NEXT) | instid1(VALU_DEP_2)
	v_sub_co_u32 v5, vcc_lo, v5, v9
	v_add3_u32 v10, v10, v14, v13
	s_delay_alu instid0(VALU_DEP_1) | instskip(SKIP_2) | instid1(VALU_DEP_2)
	v_sub_nc_u32_e32 v13, v7, v10
	s_wait_alu 0xfffd
	v_sub_co_ci_u32_e64 v7, null, v7, v10, vcc_lo
	v_subrev_co_ci_u32_e64 v9, null, s39, v13, vcc_lo
	v_add_co_u32 v13, s2, v11, 2
	s_wait_alu 0xf1ff
	v_add_co_ci_u32_e64 v14, null, 0, v12, s2
	v_sub_co_u32 v15, s2, v5, s38
	s_wait_alu 0xf1ff
	v_subrev_co_ci_u32_e64 v9, null, 0, v9, s2
	s_delay_alu instid0(VALU_DEP_2) | instskip(SKIP_2) | instid1(VALU_DEP_3)
	v_cmp_le_u32_e32 vcc_lo, s38, v15
	s_wait_alu 0xfffd
	v_cndmask_b32_e64 v10, 0, -1, vcc_lo
	v_cmp_le_u32_e32 vcc_lo, s39, v9
	s_wait_alu 0xfffd
	v_cndmask_b32_e64 v15, 0, -1, vcc_lo
	;; [unrolled: 3-line block ×4, first 2 shown]
	v_cmp_eq_u32_e32 vcc_lo, s39, v9
	s_wait_alu 0xfffd
	v_cndmask_b32_e32 v9, v15, v10, vcc_lo
	v_add_co_u32 v10, vcc_lo, v11, 1
	s_wait_alu 0xfffd
	v_add_co_ci_u32_e64 v15, null, 0, v12, vcc_lo
	v_cmp_eq_u32_e32 vcc_lo, s39, v7
	s_wait_alu 0xfffd
	v_cndmask_b32_e32 v5, v16, v5, vcc_lo
	v_cmp_ne_u32_e32 vcc_lo, 0, v9
	s_delay_alu instid0(VALU_DEP_2) | instskip(SKIP_4) | instid1(VALU_DEP_2)
	v_cmp_ne_u32_e64 s2, 0, v5
	s_wait_alu 0xfffd
	v_cndmask_b32_e32 v5, v10, v13, vcc_lo
	v_cndmask_b32_e32 v7, v15, v14, vcc_lo
	s_wait_alu 0xf1ff
	v_cndmask_b32_e64 v5, v11, v5, s2
	s_delay_alu instid0(VALU_DEP_2) | instskip(NEXT) | instid1(VALU_DEP_2)
	v_cndmask_b32_e64 v7, v12, v7, s2
	v_xor_b32_e32 v5, v5, v3
	s_delay_alu instid0(VALU_DEP_2) | instskip(NEXT) | instid1(VALU_DEP_2)
	v_xor_b32_e32 v7, v7, v3
	v_sub_co_u32 v10, vcc_lo, v5, v3
	s_wait_alu 0xfffd
	s_delay_alu instid0(VALU_DEP_2)
	v_sub_co_ci_u32_e64 v11, null, v7, v3, vcc_lo
.LBB21_22:                              ;   in Loop: Header=BB21_20 Depth=2
	s_wait_alu 0xfffe
	s_and_not1_saveexec_b32 s2, s19
	s_cbranch_execz .LBB21_24
; %bb.23:                               ;   in Loop: Header=BB21_20 Depth=2
	v_cvt_f32_u32_e32 v3, s30
	s_sub_co_i32 s19, 0, s30
	v_mov_b32_e32 v11, v2
	s_delay_alu instid0(VALU_DEP_2) | instskip(NEXT) | instid1(TRANS32_DEP_1)
	v_rcp_iflag_f32_e32 v3, v3
	v_mul_f32_e32 v3, 0x4f7ffffe, v3
	s_delay_alu instid0(VALU_DEP_1) | instskip(SKIP_1) | instid1(VALU_DEP_1)
	v_cvt_u32_f32_e32 v3, v3
	s_wait_alu 0xfffe
	v_mul_lo_u32 v5, s19, v3
	s_delay_alu instid0(VALU_DEP_1) | instskip(NEXT) | instid1(VALU_DEP_1)
	v_mul_hi_u32 v5, v3, v5
	v_add_nc_u32_e32 v3, v3, v5
	s_delay_alu instid0(VALU_DEP_1) | instskip(NEXT) | instid1(VALU_DEP_1)
	v_mul_hi_u32 v3, v8, v3
	v_mul_lo_u32 v5, v3, s30
	v_add_nc_u32_e32 v7, 1, v3
	s_delay_alu instid0(VALU_DEP_2) | instskip(NEXT) | instid1(VALU_DEP_1)
	v_sub_nc_u32_e32 v5, v8, v5
	v_cmp_le_u32_e32 vcc_lo, s30, v5
	v_subrev_nc_u32_e32 v9, s30, v5
	s_wait_alu 0xfffd
	v_cndmask_b32_e32 v3, v3, v7, vcc_lo
	s_delay_alu instid0(VALU_DEP_1) | instskip(NEXT) | instid1(VALU_DEP_3)
	v_add_nc_u32_e32 v7, 1, v3
	v_cndmask_b32_e32 v5, v5, v9, vcc_lo
	s_delay_alu instid0(VALU_DEP_1) | instskip(SKIP_1) | instid1(VALU_DEP_3)
	v_cmp_le_u32_e32 vcc_lo, s30, v5
	s_wait_alu 0xfffd
	v_cndmask_b32_e32 v10, v3, v7, vcc_lo
.LBB21_24:                              ;   in Loop: Header=BB21_20 Depth=2
	s_wait_alu 0xfffe
	s_or_b32 exec_lo, exec_lo, s2
	s_add_co_i32 s34, s22, -1
	s_mov_b32 s35, s23
	s_add_nc_u64 s[42:43], s[0:1], s[42:43]
	s_wait_alu 0xfffe
	s_lshl_b64 s[40:41], s[34:35], 2
                                        ; implicit-def: $vgpr12_vgpr13
	s_mov_b32 s2, exec_lo
	s_wait_alu 0xfffe
	s_add_nc_u64 s[38:39], s[12:13], s[40:41]
	s_clause 0x2
	s_load_b32 s34, s[38:39], 0x8
	s_load_b32 s19, s[36:37], 0x6c
	s_load_b32 s29, s[42:43], 0x6c
	s_wait_kmcnt 0x0
	s_ashr_i32 s35, s34, 31
	s_wait_alu 0xfffe
	v_or_b32_e32 v3, s35, v11
	s_delay_alu instid0(VALU_DEP_1)
	v_cmpx_ne_u64_e32 0, v[2:3]
	s_xor_b32 s31, exec_lo, s2
	s_cbranch_execz .LBB21_26
; %bb.25:                               ;   in Loop: Header=BB21_20 Depth=2
	s_ashr_i32 s36, s35, 31
	s_mov_b32 s55, s23
	s_wait_alu 0xfffe
	s_mov_b32 s37, s36
	s_mov_b32 s59, s23
	s_wait_alu 0xfffe
	s_add_nc_u64 s[42:43], s[34:35], s[36:37]
	v_ashrrev_i32_e32 v3, 31, v11
	s_wait_alu 0xfffe
	s_xor_b64 s[42:43], s[42:43], s[36:37]
	s_wait_alu 0xfffe
	s_cvt_f32_u32 s2, s42
	s_cvt_f32_u32 s35, s43
	s_sub_nc_u64 s[46:47], 0, s[42:43]
	v_add_co_u32 v5, vcc_lo, v10, v3
	s_wait_alu 0xfffe
	s_fmamk_f32 s2, s35, 0x4f800000, s2
	s_wait_alu 0xfffd
	v_add_co_ci_u32_e64 v7, null, v11, v3, vcc_lo
	v_xor_b32_e32 v5, v5, v3
	s_wait_alu 0xfffe
	v_s_rcp_f32 s2, s2
	s_delay_alu instid0(VALU_DEP_2) | instskip(SKIP_1) | instid1(TRANS32_DEP_1)
	v_xor_b32_e32 v7, v7, v3
	v_xor_b32_e32 v3, s36, v3
	s_mul_f32 s2, s2, 0x5f7ffffc
	s_wait_alu 0xfffe
	s_delay_alu instid0(SALU_CYCLE_2) | instskip(SKIP_1) | instid1(SALU_CYCLE_2)
	s_mul_f32 s35, s2, 0x2f800000
	s_wait_alu 0xfffe
	s_trunc_f32 s35, s35
	s_wait_alu 0xfffe
	s_delay_alu instid0(SALU_CYCLE_2) | instskip(SKIP_2) | instid1(SALU_CYCLE_1)
	s_fmamk_f32 s2, s35, 0xcf800000, s2
	s_cvt_u32_f32 s45, s35
	s_wait_alu 0xfffe
	s_cvt_u32_f32 s44, s2
	s_wait_alu 0xfffe
	s_delay_alu instid0(SALU_CYCLE_2) | instskip(NEXT) | instid1(SALU_CYCLE_1)
	s_mul_u64 s[56:57], s[46:47], s[44:45]
	s_mul_hi_u32 s61, s44, s57
	s_mul_i32 s60, s44, s57
	s_mul_hi_u32 s54, s44, s56
	s_mul_i32 s35, s45, s56
	s_add_nc_u64 s[54:55], s[54:55], s[60:61]
	s_mul_hi_u32 s2, s45, s56
	s_mul_hi_u32 s37, s45, s57
	s_wait_alu 0xfffe
	s_add_co_u32 s35, s54, s35
	s_add_co_ci_u32 s58, s55, s2
	s_mul_i32 s56, s45, s57
	s_add_co_ci_u32 s57, s37, 0
	s_delay_alu instid0(SALU_CYCLE_1)
	s_add_nc_u64 s[54:55], s[58:59], s[56:57]
	s_mov_b32 s57, s23
	s_add_co_u32 s44, s44, s54
	s_cselect_b32 s2, -1, 0
	s_wait_alu 0xfffe
	s_cmp_lg_u32 s2, 0
	s_add_co_ci_u32 s45, s45, s55
	s_mov_b32 s55, s23
	s_wait_alu 0xfffe
	s_mul_u64 s[46:47], s[46:47], s[44:45]
	s_wait_alu 0xfffe
	s_mul_hi_u32 s59, s44, s47
	s_mul_i32 s58, s44, s47
	s_mul_hi_u32 s56, s44, s46
	s_mul_i32 s35, s45, s46
	s_add_nc_u64 s[56:57], s[56:57], s[58:59]
	s_mul_hi_u32 s2, s45, s46
	s_mul_hi_u32 s37, s45, s47
	s_wait_alu 0xfffe
	s_add_co_u32 s35, s56, s35
	s_add_co_ci_u32 s54, s57, s2
	s_mul_i32 s46, s45, s47
	s_add_co_ci_u32 s47, s37, 0
	s_wait_alu 0xfffe
	s_add_nc_u64 s[46:47], s[54:55], s[46:47]
	s_wait_alu 0xfffe
	s_add_co_u32 s2, s44, s46
	s_cselect_b32 s35, -1, 0
	s_wait_alu 0xfffe
	v_mul_hi_u32 v9, v5, s2
	s_cmp_lg_u32 s35, 0
	v_mad_co_u64_u32 v[13:14], null, v7, s2, 0
	s_add_co_ci_u32 s35, s45, s47
	s_wait_alu 0xfffe
	v_mad_co_u64_u32 v[11:12], null, v5, s35, 0
	v_mad_co_u64_u32 v[15:16], null, v7, s35, 0
	s_delay_alu instid0(VALU_DEP_2) | instskip(SKIP_1) | instid1(VALU_DEP_3)
	v_add_co_u32 v9, vcc_lo, v9, v11
	s_wait_alu 0xfffd
	v_add_co_ci_u32_e64 v11, null, 0, v12, vcc_lo
	s_delay_alu instid0(VALU_DEP_2) | instskip(SKIP_1) | instid1(VALU_DEP_2)
	v_add_co_u32 v9, vcc_lo, v9, v13
	s_wait_alu 0xfffd
	v_add_co_ci_u32_e32 v9, vcc_lo, v11, v14, vcc_lo
	s_wait_alu 0xfffd
	v_add_co_ci_u32_e32 v11, vcc_lo, 0, v16, vcc_lo
	s_delay_alu instid0(VALU_DEP_2) | instskip(SKIP_1) | instid1(VALU_DEP_2)
	v_add_co_u32 v9, vcc_lo, v9, v15
	s_wait_alu 0xfffd
	v_add_co_ci_u32_e64 v13, null, 0, v11, vcc_lo
	s_delay_alu instid0(VALU_DEP_2) | instskip(SKIP_1) | instid1(VALU_DEP_3)
	v_mul_lo_u32 v14, s43, v9
	v_mad_co_u64_u32 v[11:12], null, s42, v9, 0
	v_mul_lo_u32 v15, s42, v13
	s_delay_alu instid0(VALU_DEP_2) | instskip(NEXT) | instid1(VALU_DEP_2)
	v_sub_co_u32 v5, vcc_lo, v5, v11
	v_add3_u32 v12, v12, v15, v14
	s_delay_alu instid0(VALU_DEP_1) | instskip(SKIP_2) | instid1(VALU_DEP_2)
	v_sub_nc_u32_e32 v14, v7, v12
	s_wait_alu 0xfffd
	v_sub_co_ci_u32_e64 v7, null, v7, v12, vcc_lo
	v_subrev_co_ci_u32_e64 v11, null, s43, v14, vcc_lo
	v_add_co_u32 v14, s2, v9, 2
	s_wait_alu 0xf1ff
	v_add_co_ci_u32_e64 v15, null, 0, v13, s2
	v_sub_co_u32 v16, s2, v5, s42
	s_wait_alu 0xf1ff
	v_subrev_co_ci_u32_e64 v11, null, 0, v11, s2
	s_delay_alu instid0(VALU_DEP_2) | instskip(SKIP_2) | instid1(VALU_DEP_3)
	v_cmp_le_u32_e32 vcc_lo, s42, v16
	s_wait_alu 0xfffd
	v_cndmask_b32_e64 v12, 0, -1, vcc_lo
	v_cmp_le_u32_e32 vcc_lo, s43, v11
	s_wait_alu 0xfffd
	v_cndmask_b32_e64 v16, 0, -1, vcc_lo
	;; [unrolled: 3-line block ×4, first 2 shown]
	v_cmp_eq_u32_e32 vcc_lo, s43, v11
	s_wait_alu 0xfffd
	v_cndmask_b32_e32 v11, v16, v12, vcc_lo
	v_add_co_u32 v12, vcc_lo, v9, 1
	s_wait_alu 0xfffd
	v_add_co_ci_u32_e64 v16, null, 0, v13, vcc_lo
	v_cmp_eq_u32_e32 vcc_lo, s43, v7
	s_wait_alu 0xfffd
	v_cndmask_b32_e32 v5, v17, v5, vcc_lo
	v_cmp_ne_u32_e32 vcc_lo, 0, v11
	s_delay_alu instid0(VALU_DEP_2) | instskip(SKIP_4) | instid1(VALU_DEP_2)
	v_cmp_ne_u32_e64 s2, 0, v5
	s_wait_alu 0xfffd
	v_cndmask_b32_e32 v5, v12, v14, vcc_lo
	v_cndmask_b32_e32 v7, v16, v15, vcc_lo
	s_wait_alu 0xf1ff
	v_cndmask_b32_e64 v5, v9, v5, s2
	s_delay_alu instid0(VALU_DEP_2) | instskip(NEXT) | instid1(VALU_DEP_2)
	v_cndmask_b32_e64 v7, v13, v7, s2
	v_xor_b32_e32 v5, v5, v3
	s_delay_alu instid0(VALU_DEP_2) | instskip(NEXT) | instid1(VALU_DEP_2)
	v_xor_b32_e32 v7, v7, v3
	v_sub_co_u32 v12, vcc_lo, v5, v3
	s_wait_alu 0xfffd
	s_delay_alu instid0(VALU_DEP_2)
	v_sub_co_ci_u32_e64 v13, null, v7, v3, vcc_lo
.LBB21_26:                              ;   in Loop: Header=BB21_20 Depth=2
	s_wait_alu 0xfffe
	s_and_not1_saveexec_b32 s2, s31
	s_cbranch_execz .LBB21_28
; %bb.27:                               ;   in Loop: Header=BB21_20 Depth=2
	v_cvt_f32_u32_e32 v3, s34
	s_sub_co_i32 s31, 0, s34
	v_mov_b32_e32 v13, v2
	s_delay_alu instid0(VALU_DEP_2) | instskip(NEXT) | instid1(TRANS32_DEP_1)
	v_rcp_iflag_f32_e32 v3, v3
	v_mul_f32_e32 v3, 0x4f7ffffe, v3
	s_delay_alu instid0(VALU_DEP_1) | instskip(SKIP_1) | instid1(VALU_DEP_1)
	v_cvt_u32_f32_e32 v3, v3
	s_wait_alu 0xfffe
	v_mul_lo_u32 v5, s31, v3
	s_delay_alu instid0(VALU_DEP_1) | instskip(NEXT) | instid1(VALU_DEP_1)
	v_mul_hi_u32 v5, v3, v5
	v_add_nc_u32_e32 v3, v3, v5
	s_delay_alu instid0(VALU_DEP_1) | instskip(NEXT) | instid1(VALU_DEP_1)
	v_mul_hi_u32 v3, v10, v3
	v_mul_lo_u32 v5, v3, s34
	v_add_nc_u32_e32 v7, 1, v3
	s_delay_alu instid0(VALU_DEP_2) | instskip(NEXT) | instid1(VALU_DEP_1)
	v_sub_nc_u32_e32 v5, v10, v5
	v_cmp_le_u32_e32 vcc_lo, s34, v5
	v_subrev_nc_u32_e32 v9, s34, v5
	s_wait_alu 0xfffd
	v_cndmask_b32_e32 v3, v3, v7, vcc_lo
	s_delay_alu instid0(VALU_DEP_1) | instskip(NEXT) | instid1(VALU_DEP_3)
	v_add_nc_u32_e32 v7, 1, v3
	v_cndmask_b32_e32 v5, v5, v9, vcc_lo
	s_delay_alu instid0(VALU_DEP_1) | instskip(SKIP_1) | instid1(VALU_DEP_3)
	v_cmp_le_u32_e32 vcc_lo, s34, v5
	s_wait_alu 0xfffd
	v_cndmask_b32_e32 v12, v3, v7, vcc_lo
.LBB21_28:                              ;   in Loop: Header=BB21_20 Depth=2
	s_wait_alu 0xfffe
	s_or_b32 exec_lo, exec_lo, s2
	s_add_co_i32 s36, s22, -2
	s_mov_b32 s37, s23
	s_add_nc_u64 s[40:41], s[0:1], s[40:41]
	s_wait_alu 0xfffe
	s_lshl_b64 s[46:47], s[36:37], 2
                                        ; implicit-def: $vgpr14_vgpr15
	s_mov_b32 s2, exec_lo
	s_wait_alu 0xfffe
	s_add_nc_u64 s[44:45], s[12:13], s[46:47]
	s_clause 0x2
	s_load_b32 s36, s[44:45], 0x8
	s_load_b32 s31, s[38:39], 0x6c
	;; [unrolled: 1-line block ×3, first 2 shown]
	s_wait_kmcnt 0x0
	s_ashr_i32 s37, s36, 31
	s_wait_alu 0xfffe
	v_or_b32_e32 v3, s37, v13
	s_delay_alu instid0(VALU_DEP_1)
	v_cmpx_ne_u64_e32 0, v[2:3]
	s_xor_b32 s42, exec_lo, s2
	s_cbranch_execz .LBB21_30
; %bb.29:                               ;   in Loop: Header=BB21_20 Depth=2
	s_ashr_i32 s38, s37, 31
	s_mov_b32 s59, s23
	s_wait_alu 0xfffe
	s_mov_b32 s39, s38
	s_mov_b32 s63, s23
	s_wait_alu 0xfffe
	s_add_nc_u64 s[40:41], s[36:37], s[38:39]
	v_ashrrev_i32_e32 v3, 31, v13
	s_wait_alu 0xfffe
	s_xor_b64 s[40:41], s[40:41], s[38:39]
	s_wait_alu 0xfffe
	s_cvt_f32_u32 s2, s40
	s_cvt_f32_u32 s37, s41
	s_sub_nc_u64 s[56:57], 0, s[40:41]
	v_add_co_u32 v5, vcc_lo, v12, v3
	s_wait_alu 0xfffe
	s_fmamk_f32 s2, s37, 0x4f800000, s2
	s_wait_alu 0xfffd
	v_add_co_ci_u32_e64 v7, null, v13, v3, vcc_lo
	v_xor_b32_e32 v5, v5, v3
	s_wait_alu 0xfffe
	v_s_rcp_f32 s2, s2
	s_delay_alu instid0(VALU_DEP_2) | instskip(SKIP_1) | instid1(TRANS32_DEP_1)
	v_xor_b32_e32 v7, v7, v3
	v_xor_b32_e32 v3, s38, v3
	s_mul_f32 s2, s2, 0x5f7ffffc
	s_wait_alu 0xfffe
	s_delay_alu instid0(SALU_CYCLE_2) | instskip(SKIP_1) | instid1(SALU_CYCLE_2)
	s_mul_f32 s37, s2, 0x2f800000
	s_wait_alu 0xfffe
	s_trunc_f32 s37, s37
	s_wait_alu 0xfffe
	s_delay_alu instid0(SALU_CYCLE_2) | instskip(SKIP_2) | instid1(SALU_CYCLE_1)
	s_fmamk_f32 s2, s37, 0xcf800000, s2
	s_cvt_u32_f32 s55, s37
	s_wait_alu 0xfffe
	s_cvt_u32_f32 s54, s2
	s_delay_alu instid0(SALU_CYCLE_3) | instskip(NEXT) | instid1(SALU_CYCLE_1)
	s_mul_u64 s[60:61], s[56:57], s[54:55]
	s_mul_hi_u32 s65, s54, s61
	s_mul_i32 s64, s54, s61
	s_mul_hi_u32 s58, s54, s60
	s_mul_i32 s37, s55, s60
	s_add_nc_u64 s[58:59], s[58:59], s[64:65]
	s_mul_hi_u32 s2, s55, s60
	s_mul_hi_u32 s39, s55, s61
	s_wait_alu 0xfffe
	s_add_co_u32 s37, s58, s37
	s_add_co_ci_u32 s62, s59, s2
	s_mul_i32 s60, s55, s61
	s_add_co_ci_u32 s61, s39, 0
	s_delay_alu instid0(SALU_CYCLE_1)
	s_add_nc_u64 s[58:59], s[62:63], s[60:61]
	s_mov_b32 s61, s23
	s_add_co_u32 s54, s54, s58
	s_cselect_b32 s2, -1, 0
	s_wait_alu 0xfffe
	s_cmp_lg_u32 s2, 0
	s_add_co_ci_u32 s55, s55, s59
	s_mov_b32 s59, s23
	s_mul_u64 s[56:57], s[56:57], s[54:55]
	s_delay_alu instid0(SALU_CYCLE_1)
	s_mul_hi_u32 s63, s54, s57
	s_mul_i32 s62, s54, s57
	s_mul_hi_u32 s60, s54, s56
	s_mul_i32 s37, s55, s56
	s_add_nc_u64 s[60:61], s[60:61], s[62:63]
	s_mul_hi_u32 s2, s55, s56
	s_mul_hi_u32 s39, s55, s57
	s_wait_alu 0xfffe
	s_add_co_u32 s37, s60, s37
	s_add_co_ci_u32 s58, s61, s2
	s_mul_i32 s56, s55, s57
	s_add_co_ci_u32 s57, s39, 0
	s_delay_alu instid0(SALU_CYCLE_1) | instskip(NEXT) | instid1(SALU_CYCLE_1)
	s_add_nc_u64 s[56:57], s[58:59], s[56:57]
	s_add_co_u32 s2, s54, s56
	s_cselect_b32 s37, -1, 0
	s_wait_alu 0xfffe
	v_mul_hi_u32 v9, v5, s2
	s_cmp_lg_u32 s37, 0
	v_mad_co_u64_u32 v[15:16], null, v7, s2, 0
	s_add_co_ci_u32 s37, s55, s57
	s_wait_alu 0xfffe
	v_mad_co_u64_u32 v[13:14], null, v5, s37, 0
	v_mad_co_u64_u32 v[22:23], null, v7, s37, 0
	s_delay_alu instid0(VALU_DEP_2) | instskip(SKIP_1) | instid1(VALU_DEP_3)
	v_add_co_u32 v9, vcc_lo, v9, v13
	s_wait_alu 0xfffd
	v_add_co_ci_u32_e64 v11, null, 0, v14, vcc_lo
	s_delay_alu instid0(VALU_DEP_2) | instskip(SKIP_1) | instid1(VALU_DEP_2)
	v_add_co_u32 v9, vcc_lo, v9, v15
	s_wait_alu 0xfffd
	v_add_co_ci_u32_e32 v9, vcc_lo, v11, v16, vcc_lo
	s_wait_alu 0xfffd
	v_add_co_ci_u32_e32 v11, vcc_lo, 0, v23, vcc_lo
	s_delay_alu instid0(VALU_DEP_2) | instskip(SKIP_1) | instid1(VALU_DEP_2)
	v_add_co_u32 v9, vcc_lo, v9, v22
	s_wait_alu 0xfffd
	v_add_co_ci_u32_e64 v11, null, 0, v11, vcc_lo
	s_delay_alu instid0(VALU_DEP_2) | instskip(SKIP_1) | instid1(VALU_DEP_3)
	v_mul_lo_u32 v15, s41, v9
	v_mad_co_u64_u32 v[13:14], null, s40, v9, 0
	v_mul_lo_u32 v16, s40, v11
	s_delay_alu instid0(VALU_DEP_2) | instskip(NEXT) | instid1(VALU_DEP_2)
	v_sub_co_u32 v5, vcc_lo, v5, v13
	v_add3_u32 v14, v14, v16, v15
	s_delay_alu instid0(VALU_DEP_1) | instskip(SKIP_2) | instid1(VALU_DEP_2)
	v_sub_nc_u32_e32 v15, v7, v14
	s_wait_alu 0xfffd
	v_sub_co_ci_u32_e64 v7, null, v7, v14, vcc_lo
	v_subrev_co_ci_u32_e64 v13, null, s41, v15, vcc_lo
	v_add_co_u32 v15, s2, v9, 2
	s_wait_alu 0xf1ff
	v_add_co_ci_u32_e64 v16, null, 0, v11, s2
	v_sub_co_u32 v17, s2, v5, s40
	s_wait_alu 0xf1ff
	v_subrev_co_ci_u32_e64 v13, null, 0, v13, s2
	s_delay_alu instid0(VALU_DEP_2) | instskip(SKIP_2) | instid1(VALU_DEP_3)
	v_cmp_le_u32_e32 vcc_lo, s40, v17
	s_wait_alu 0xfffd
	v_cndmask_b32_e64 v14, 0, -1, vcc_lo
	v_cmp_le_u32_e32 vcc_lo, s41, v13
	s_wait_alu 0xfffd
	v_cndmask_b32_e64 v17, 0, -1, vcc_lo
	;; [unrolled: 3-line block ×4, first 2 shown]
	v_cmp_eq_u32_e32 vcc_lo, s41, v13
	s_wait_alu 0xfffd
	v_cndmask_b32_e32 v13, v17, v14, vcc_lo
	v_add_co_u32 v14, vcc_lo, v9, 1
	s_wait_alu 0xfffd
	v_add_co_ci_u32_e64 v17, null, 0, v11, vcc_lo
	v_cmp_eq_u32_e32 vcc_lo, s41, v7
	s_wait_alu 0xfffd
	v_cndmask_b32_e32 v5, v22, v5, vcc_lo
	v_cmp_ne_u32_e32 vcc_lo, 0, v13
	s_delay_alu instid0(VALU_DEP_2) | instskip(SKIP_4) | instid1(VALU_DEP_2)
	v_cmp_ne_u32_e64 s2, 0, v5
	s_wait_alu 0xfffd
	v_cndmask_b32_e32 v5, v14, v15, vcc_lo
	v_cndmask_b32_e32 v7, v17, v16, vcc_lo
	s_wait_alu 0xf1ff
	v_cndmask_b32_e64 v5, v9, v5, s2
	s_delay_alu instid0(VALU_DEP_2) | instskip(NEXT) | instid1(VALU_DEP_2)
	v_cndmask_b32_e64 v7, v11, v7, s2
	v_xor_b32_e32 v5, v5, v3
	s_delay_alu instid0(VALU_DEP_2) | instskip(NEXT) | instid1(VALU_DEP_2)
	v_xor_b32_e32 v7, v7, v3
	v_sub_co_u32 v14, vcc_lo, v5, v3
	s_wait_alu 0xfffd
	s_delay_alu instid0(VALU_DEP_2)
	v_sub_co_ci_u32_e64 v15, null, v7, v3, vcc_lo
.LBB21_30:                              ;   in Loop: Header=BB21_20 Depth=2
	s_wait_alu 0xfffe
	s_and_not1_saveexec_b32 s2, s42
	s_cbranch_execz .LBB21_32
; %bb.31:                               ;   in Loop: Header=BB21_20 Depth=2
	v_cvt_f32_u32_e32 v3, s36
	s_sub_co_i32 s37, 0, s36
	v_mov_b32_e32 v15, v2
	s_delay_alu instid0(VALU_DEP_2) | instskip(NEXT) | instid1(TRANS32_DEP_1)
	v_rcp_iflag_f32_e32 v3, v3
	v_mul_f32_e32 v3, 0x4f7ffffe, v3
	s_delay_alu instid0(VALU_DEP_1) | instskip(SKIP_1) | instid1(VALU_DEP_1)
	v_cvt_u32_f32_e32 v3, v3
	s_wait_alu 0xfffe
	v_mul_lo_u32 v5, s37, v3
	s_delay_alu instid0(VALU_DEP_1) | instskip(NEXT) | instid1(VALU_DEP_1)
	v_mul_hi_u32 v5, v3, v5
	v_add_nc_u32_e32 v3, v3, v5
	s_delay_alu instid0(VALU_DEP_1) | instskip(NEXT) | instid1(VALU_DEP_1)
	v_mul_hi_u32 v3, v12, v3
	v_mul_lo_u32 v5, v3, s36
	v_add_nc_u32_e32 v7, 1, v3
	s_delay_alu instid0(VALU_DEP_2) | instskip(NEXT) | instid1(VALU_DEP_1)
	v_sub_nc_u32_e32 v5, v12, v5
	v_cmp_le_u32_e32 vcc_lo, s36, v5
	v_subrev_nc_u32_e32 v9, s36, v5
	s_wait_alu 0xfffd
	v_cndmask_b32_e32 v3, v3, v7, vcc_lo
	s_delay_alu instid0(VALU_DEP_1) | instskip(NEXT) | instid1(VALU_DEP_3)
	v_add_nc_u32_e32 v7, 1, v3
	v_cndmask_b32_e32 v5, v5, v9, vcc_lo
	s_delay_alu instid0(VALU_DEP_1) | instskip(SKIP_1) | instid1(VALU_DEP_3)
	v_cmp_le_u32_e32 vcc_lo, s36, v5
	s_wait_alu 0xfffd
	v_cndmask_b32_e32 v14, v3, v7, vcc_lo
.LBB21_32:                              ;   in Loop: Header=BB21_20 Depth=2
	s_wait_alu 0xfffe
	s_or_b32 exec_lo, exec_lo, s2
	s_add_co_i32 s38, s22, -3
	s_mov_b32 s39, s23
	s_add_nc_u64 s[46:47], s[0:1], s[46:47]
	s_wait_alu 0xfffe
	s_lshl_b64 s[42:43], s[38:39], 2
                                        ; implicit-def: $vgpr16_vgpr17
	s_mov_b32 s2, exec_lo
	s_wait_alu 0xfffe
	s_add_nc_u64 s[40:41], s[12:13], s[42:43]
	s_clause 0x2
	s_load_b32 s38, s[40:41], 0x8
	s_load_b32 s37, s[44:45], 0x6c
	;; [unrolled: 1-line block ×3, first 2 shown]
	s_wait_kmcnt 0x0
	s_ashr_i32 s39, s38, 31
	s_wait_alu 0xfffe
	v_or_b32_e32 v3, s39, v15
	s_delay_alu instid0(VALU_DEP_1)
	v_cmpx_ne_u64_e32 0, v[2:3]
	s_xor_b32 s54, exec_lo, s2
	s_cbranch_execz .LBB21_34
; %bb.33:                               ;   in Loop: Header=BB21_20 Depth=2
	s_ashr_i32 s44, s39, 31
	s_mov_b32 s61, s23
	s_wait_alu 0xfffe
	s_mov_b32 s45, s44
	s_mov_b32 s65, s23
	s_wait_alu 0xfffe
	s_add_nc_u64 s[46:47], s[38:39], s[44:45]
	v_ashrrev_i32_e32 v3, 31, v15
	s_wait_alu 0xfffe
	s_xor_b64 s[46:47], s[46:47], s[44:45]
	s_wait_alu 0xfffe
	s_cvt_f32_u32 s2, s46
	s_cvt_f32_u32 s39, s47
	s_sub_nc_u64 s[58:59], 0, s[46:47]
	v_add_co_u32 v5, vcc_lo, v14, v3
	s_wait_alu 0xfffe
	s_fmamk_f32 s2, s39, 0x4f800000, s2
	s_wait_alu 0xfffd
	v_add_co_ci_u32_e64 v7, null, v15, v3, vcc_lo
	v_xor_b32_e32 v5, v5, v3
	s_wait_alu 0xfffe
	v_s_rcp_f32 s2, s2
	s_delay_alu instid0(VALU_DEP_2) | instskip(SKIP_1) | instid1(TRANS32_DEP_1)
	v_xor_b32_e32 v7, v7, v3
	v_xor_b32_e32 v3, s44, v3
	s_mul_f32 s2, s2, 0x5f7ffffc
	s_wait_alu 0xfffe
	s_delay_alu instid0(SALU_CYCLE_2) | instskip(SKIP_1) | instid1(SALU_CYCLE_2)
	s_mul_f32 s39, s2, 0x2f800000
	s_wait_alu 0xfffe
	s_trunc_f32 s39, s39
	s_wait_alu 0xfffe
	s_delay_alu instid0(SALU_CYCLE_2) | instskip(SKIP_2) | instid1(SALU_CYCLE_1)
	s_fmamk_f32 s2, s39, 0xcf800000, s2
	s_cvt_u32_f32 s57, s39
	s_wait_alu 0xfffe
	s_cvt_u32_f32 s56, s2
	s_delay_alu instid0(SALU_CYCLE_3) | instskip(NEXT) | instid1(SALU_CYCLE_1)
	s_mul_u64 s[62:63], s[58:59], s[56:57]
	s_mul_hi_u32 s67, s56, s63
	s_mul_i32 s66, s56, s63
	s_mul_hi_u32 s60, s56, s62
	s_mul_i32 s39, s57, s62
	s_add_nc_u64 s[60:61], s[60:61], s[66:67]
	s_mul_hi_u32 s2, s57, s62
	s_mul_hi_u32 s45, s57, s63
	s_wait_alu 0xfffe
	s_add_co_u32 s39, s60, s39
	s_add_co_ci_u32 s64, s61, s2
	s_mul_i32 s62, s57, s63
	s_add_co_ci_u32 s63, s45, 0
	s_delay_alu instid0(SALU_CYCLE_1)
	s_add_nc_u64 s[60:61], s[64:65], s[62:63]
	s_mov_b32 s63, s23
	s_add_co_u32 s56, s56, s60
	s_cselect_b32 s2, -1, 0
	s_wait_alu 0xfffe
	s_cmp_lg_u32 s2, 0
	s_add_co_ci_u32 s57, s57, s61
	s_mov_b32 s61, s23
	s_mul_u64 s[58:59], s[58:59], s[56:57]
	s_delay_alu instid0(SALU_CYCLE_1)
	s_mul_hi_u32 s65, s56, s59
	s_mul_i32 s64, s56, s59
	s_mul_hi_u32 s62, s56, s58
	s_mul_i32 s39, s57, s58
	s_add_nc_u64 s[62:63], s[62:63], s[64:65]
	s_mul_hi_u32 s2, s57, s58
	s_mul_hi_u32 s45, s57, s59
	s_wait_alu 0xfffe
	s_add_co_u32 s39, s62, s39
	s_add_co_ci_u32 s60, s63, s2
	s_mul_i32 s58, s57, s59
	s_add_co_ci_u32 s59, s45, 0
	s_delay_alu instid0(SALU_CYCLE_1) | instskip(NEXT) | instid1(SALU_CYCLE_1)
	s_add_nc_u64 s[58:59], s[60:61], s[58:59]
	s_add_co_u32 s2, s56, s58
	s_cselect_b32 s39, -1, 0
	s_wait_alu 0xfffe
	v_mul_hi_u32 v9, v5, s2
	s_cmp_lg_u32 s39, 0
	v_mad_co_u64_u32 v[22:23], null, v7, s2, 0
	s_add_co_ci_u32 s39, s57, s59
	s_wait_alu 0xfffe
	v_mad_co_u64_u32 v[15:16], null, v5, s39, 0
	v_mad_co_u64_u32 v[24:25], null, v7, s39, 0
	s_delay_alu instid0(VALU_DEP_2) | instskip(SKIP_1) | instid1(VALU_DEP_3)
	v_add_co_u32 v9, vcc_lo, v9, v15
	s_wait_alu 0xfffd
	v_add_co_ci_u32_e64 v11, null, 0, v16, vcc_lo
	s_delay_alu instid0(VALU_DEP_2) | instskip(SKIP_1) | instid1(VALU_DEP_2)
	v_add_co_u32 v9, vcc_lo, v9, v22
	s_wait_alu 0xfffd
	v_add_co_ci_u32_e32 v9, vcc_lo, v11, v23, vcc_lo
	s_wait_alu 0xfffd
	v_add_co_ci_u32_e32 v11, vcc_lo, 0, v25, vcc_lo
	s_delay_alu instid0(VALU_DEP_2) | instskip(SKIP_1) | instid1(VALU_DEP_2)
	v_add_co_u32 v9, vcc_lo, v9, v24
	s_wait_alu 0xfffd
	v_add_co_ci_u32_e64 v11, null, 0, v11, vcc_lo
	s_delay_alu instid0(VALU_DEP_2) | instskip(SKIP_1) | instid1(VALU_DEP_3)
	v_mul_lo_u32 v13, s47, v9
	v_mad_co_u64_u32 v[15:16], null, s46, v9, 0
	v_mul_lo_u32 v17, s46, v11
	s_delay_alu instid0(VALU_DEP_2) | instskip(NEXT) | instid1(VALU_DEP_2)
	v_sub_co_u32 v5, vcc_lo, v5, v15
	v_add3_u32 v13, v16, v17, v13
	s_delay_alu instid0(VALU_DEP_1) | instskip(SKIP_2) | instid1(VALU_DEP_2)
	v_sub_nc_u32_e32 v16, v7, v13
	s_wait_alu 0xfffd
	v_sub_co_ci_u32_e64 v7, null, v7, v13, vcc_lo
	v_subrev_co_ci_u32_e64 v15, null, s47, v16, vcc_lo
	v_add_co_u32 v16, s2, v9, 2
	s_wait_alu 0xf1ff
	v_add_co_ci_u32_e64 v17, null, 0, v11, s2
	v_sub_co_u32 v22, s2, v5, s46
	s_wait_alu 0xf1ff
	v_subrev_co_ci_u32_e64 v15, null, 0, v15, s2
	s_delay_alu instid0(VALU_DEP_2) | instskip(SKIP_2) | instid1(VALU_DEP_3)
	v_cmp_le_u32_e32 vcc_lo, s46, v22
	s_wait_alu 0xfffd
	v_cndmask_b32_e64 v13, 0, -1, vcc_lo
	v_cmp_le_u32_e32 vcc_lo, s47, v15
	s_wait_alu 0xfffd
	v_cndmask_b32_e64 v22, 0, -1, vcc_lo
	v_cmp_le_u32_e32 vcc_lo, s46, v5
	s_wait_alu 0xfffd
	v_cndmask_b32_e64 v5, 0, -1, vcc_lo
	v_cmp_le_u32_e32 vcc_lo, s47, v7
	s_wait_alu 0xfffd
	v_cndmask_b32_e64 v23, 0, -1, vcc_lo
	v_cmp_eq_u32_e32 vcc_lo, s47, v15
	s_wait_alu 0xfffd
	v_cndmask_b32_e32 v13, v22, v13, vcc_lo
	v_add_co_u32 v15, vcc_lo, v9, 1
	s_wait_alu 0xfffd
	v_add_co_ci_u32_e64 v22, null, 0, v11, vcc_lo
	v_cmp_eq_u32_e32 vcc_lo, s47, v7
	s_wait_alu 0xfffd
	v_cndmask_b32_e32 v5, v23, v5, vcc_lo
	v_cmp_ne_u32_e32 vcc_lo, 0, v13
	s_delay_alu instid0(VALU_DEP_2) | instskip(SKIP_4) | instid1(VALU_DEP_2)
	v_cmp_ne_u32_e64 s2, 0, v5
	s_wait_alu 0xfffd
	v_cndmask_b32_e32 v5, v15, v16, vcc_lo
	v_cndmask_b32_e32 v7, v22, v17, vcc_lo
	s_wait_alu 0xf1ff
	v_cndmask_b32_e64 v5, v9, v5, s2
	s_delay_alu instid0(VALU_DEP_2) | instskip(NEXT) | instid1(VALU_DEP_2)
	v_cndmask_b32_e64 v7, v11, v7, s2
	v_xor_b32_e32 v5, v5, v3
	s_delay_alu instid0(VALU_DEP_2) | instskip(NEXT) | instid1(VALU_DEP_2)
	v_xor_b32_e32 v7, v7, v3
	v_sub_co_u32 v16, vcc_lo, v5, v3
	s_wait_alu 0xfffd
	s_delay_alu instid0(VALU_DEP_2)
	v_sub_co_ci_u32_e64 v17, null, v7, v3, vcc_lo
.LBB21_34:                              ;   in Loop: Header=BB21_20 Depth=2
	s_and_not1_saveexec_b32 s2, s54
	s_cbranch_execz .LBB21_36
; %bb.35:                               ;   in Loop: Header=BB21_20 Depth=2
	v_cvt_f32_u32_e32 v3, s38
	s_sub_co_i32 s39, 0, s38
	v_mov_b32_e32 v17, v2
	s_delay_alu instid0(VALU_DEP_2) | instskip(NEXT) | instid1(TRANS32_DEP_1)
	v_rcp_iflag_f32_e32 v3, v3
	v_mul_f32_e32 v3, 0x4f7ffffe, v3
	s_delay_alu instid0(VALU_DEP_1) | instskip(SKIP_1) | instid1(VALU_DEP_1)
	v_cvt_u32_f32_e32 v3, v3
	s_wait_alu 0xfffe
	v_mul_lo_u32 v5, s39, v3
	s_delay_alu instid0(VALU_DEP_1) | instskip(NEXT) | instid1(VALU_DEP_1)
	v_mul_hi_u32 v5, v3, v5
	v_add_nc_u32_e32 v3, v3, v5
	s_delay_alu instid0(VALU_DEP_1) | instskip(NEXT) | instid1(VALU_DEP_1)
	v_mul_hi_u32 v3, v14, v3
	v_mul_lo_u32 v5, v3, s38
	v_add_nc_u32_e32 v7, 1, v3
	s_delay_alu instid0(VALU_DEP_2) | instskip(NEXT) | instid1(VALU_DEP_1)
	v_sub_nc_u32_e32 v5, v14, v5
	v_cmp_le_u32_e32 vcc_lo, s38, v5
	v_subrev_nc_u32_e32 v9, s38, v5
	s_wait_alu 0xfffd
	v_cndmask_b32_e32 v3, v3, v7, vcc_lo
	s_delay_alu instid0(VALU_DEP_1) | instskip(NEXT) | instid1(VALU_DEP_3)
	v_add_nc_u32_e32 v7, 1, v3
	v_cndmask_b32_e32 v5, v5, v9, vcc_lo
	s_delay_alu instid0(VALU_DEP_1) | instskip(SKIP_1) | instid1(VALU_DEP_3)
	v_cmp_le_u32_e32 vcc_lo, s38, v5
	s_wait_alu 0xfffd
	v_cndmask_b32_e32 v16, v3, v7, vcc_lo
.LBB21_36:                              ;   in Loop: Header=BB21_20 Depth=2
	s_wait_alu 0xfffe
	s_or_b32 exec_lo, exec_lo, s2
	s_add_nc_u64 s[42:43], s[0:1], s[42:43]
	v_mul_lo_u32 v3, v10, s30
	s_clause 0x1
	s_load_b32 s2, s[40:41], 0x6c
	s_load_b32 s30, s[42:43], 0x6c
	v_mul_lo_u32 v5, v12, s34
	v_mul_lo_u32 v7, v14, s36
	;; [unrolled: 1-line block ×3, first 2 shown]
	s_add_co_i32 s22, s22, -4
	s_wait_alu 0xfffe
	s_cmp_eq_u32 s22, -1
	v_sub_nc_u32_e32 v3, v8, v3
	s_delay_alu instid0(VALU_DEP_4) | instskip(NEXT) | instid1(VALU_DEP_4)
	v_sub_nc_u32_e32 v5, v10, v5
	v_sub_nc_u32_e32 v7, v12, v7
	s_delay_alu instid0(VALU_DEP_4) | instskip(NEXT) | instid1(VALU_DEP_4)
	v_sub_nc_u32_e32 v8, v14, v9
	v_mul_lo_u32 v9, s19, v3
	v_mul_lo_u32 v3, s29, v3
	;; [unrolled: 1-line block ×6, first 2 shown]
	s_wait_kmcnt 0x0
	v_mul_lo_u32 v12, s2, v8
	v_mul_lo_u32 v8, s30, v8
	v_add3_u32 v6, v9, v6, v10
	v_add3_u32 v3, v3, v4, v5
	s_delay_alu instid0(VALU_DEP_2) | instskip(NEXT) | instid1(VALU_DEP_2)
	v_add3_u32 v6, v11, v6, v12
	v_add3_u32 v4, v7, v3, v8
	s_cbranch_scc1 .LBB21_38
; %bb.37:                               ;   in Loop: Header=BB21_20 Depth=2
	v_dual_mov_b32 v8, v16 :: v_dual_mov_b32 v9, v17
	s_branch .LBB21_20
.LBB21_38:                              ;   in Loop: Header=BB21_3 Depth=1
	v_sub_nc_u32_e32 v8, v20, v21
	v_mov_b32_e32 v10, 0
	v_dual_mov_b32 v11, 0 :: v_dual_mov_b32 v14, 0
	v_mov_b32_e32 v15, 0
	s_delay_alu instid0(VALU_DEP_4) | instskip(SKIP_1) | instid1(VALU_DEP_1)
	v_ashrrev_i32_e32 v9, 31, v8
	s_mov_b32 s19, exec_lo
	v_cmpx_ge_i64_e64 s[4:5], v[8:9]
	s_cbranch_execz .LBB21_44
; %bb.39:                               ;   in Loop: Header=BB21_3 Depth=1
	v_mov_b32_e32 v10, 0
	v_dual_mov_b32 v11, 0 :: v_dual_mov_b32 v12, 0
	v_mov_b32_e32 v13, 0
	s_mov_b32 s2, exec_lo
	v_cmpx_gt_i32_e64 s3, v20
	s_cbranch_execz .LBB21_43
; %bb.40:                               ;   in Loop: Header=BB21_3 Depth=1
	v_ashrrev_i32_e32 v7, 31, v6
	v_dual_mov_b32 v12, 0 :: v_dual_add_nc_u32 v3, 1, v20
	v_mov_b32_e32 v13, 0
	s_mov_b32 s22, exec_lo
	s_delay_alu instid0(VALU_DEP_3) | instskip(NEXT) | instid1(VALU_DEP_1)
	v_lshlrev_b64_e32 v[5:6], 3, v[6:7]
	v_add_co_u32 v5, vcc_lo, s10, v5
	s_wait_alu 0xfffd
	s_delay_alu instid0(VALU_DEP_2)
	v_add_co_ci_u32_e64 v6, null, s11, v6, vcc_lo
	global_load_b64 v[10:11], v[5:6], off
	v_cmpx_gt_i32_e64 s3, v3
	s_wait_alu 0xfffe
	s_xor_b32 s22, exec_lo, s22
	s_cbranch_execz .LBB21_42
; %bb.41:                               ;   in Loop: Header=BB21_3 Depth=1
	s_lshl_b64 s[30:31], s[24:25], 3
	s_wait_alu 0xfffe
	v_add_co_u32 v5, vcc_lo, v5, s30
	s_wait_alu 0xfffd
	v_add_co_ci_u32_e64 v6, null, s31, v6, vcc_lo
	global_load_b64 v[12:13], v[5:6], off
.LBB21_42:                              ;   in Loop: Header=BB21_3 Depth=1
	s_wait_alu 0xfffe
	s_or_b32 exec_lo, exec_lo, s22
.LBB21_43:                              ;   in Loop: Header=BB21_3 Depth=1
	s_wait_alu 0xfffe
	s_or_b32 exec_lo, exec_lo, s2
	v_cmp_ge_i64_e32 vcc_lo, s[4:5], v[8:9]
	s_wait_loadcnt 0x0
	s_wait_alu 0xfffd
	v_dual_cndmask_b32 v14, 0, v10 :: v_dual_add_nc_u32 v5, 1, v8
	s_delay_alu instid0(VALU_DEP_1) | instskip(SKIP_1) | instid1(VALU_DEP_2)
	v_ashrrev_i32_e32 v6, 31, v5
	v_cndmask_b32_e32 v15, 0, v11, vcc_lo
	v_cmp_ge_i64_e64 s2, s[4:5], v[5:6]
	s_wait_alu 0xf1ff
	s_delay_alu instid0(VALU_DEP_1)
	v_cndmask_b32_e64 v11, 0, v13, s2
	v_cndmask_b32_e64 v10, 0, v12, s2
.LBB21_44:                              ;   in Loop: Header=BB21_3 Depth=1
	s_wait_alu 0xfffe
	s_or_b32 exec_lo, exec_lo, s19
	s_delay_alu instid0(SALU_CYCLE_1)
	s_mov_b32 s2, exec_lo
	v_cmpx_gt_i32_e64 s3, v20
	s_cbranch_execz .LBB21_2
; %bb.45:                               ;   in Loop: Header=BB21_3 Depth=1
	v_ashrrev_i32_e32 v5, 31, v4
	s_mov_b32 s19, exec_lo
	s_delay_alu instid0(VALU_DEP_1) | instskip(SKIP_1) | instid1(VALU_DEP_2)
	v_lshlrev_b64_e32 v[3:4], 3, v[4:5]
	v_add_nc_u32_e32 v5, 1, v20
	v_add_co_u32 v3, vcc_lo, s14, v3
	s_wait_alu 0xfffd
	s_delay_alu instid0(VALU_DEP_3)
	v_add_co_ci_u32_e64 v4, null, s15, v4, vcc_lo
	global_store_b64 v[3:4], v[14:15], off
	v_cmpx_gt_i32_e64 s3, v5
	s_wait_alu 0xfffe
	s_xor_b32 s19, exec_lo, s19
	s_cbranch_execz .LBB21_2
; %bb.46:                               ;   in Loop: Header=BB21_3 Depth=1
	s_lshl_b64 s[30:31], s[26:27], 3
	s_wait_alu 0xfffe
	v_add_co_u32 v3, vcc_lo, v3, s30
	s_wait_alu 0xfffd
	v_add_co_ci_u32_e64 v4, null, s31, v4, vcc_lo
	global_store_b64 v[3:4], v[10:11], off
	s_branch .LBB21_2
.LBB21_47:
	s_endpgm
	.section	.rodata,"a",@progbits
	.p2align	6, 0x0
	.amdhsa_kernel _ZN2at6native16triu_tril_kernelIdiLb0ELi2ELb0EEEvNS_4cuda6detail10TensorInfoIT_T0_EENS4_IKS5_S6_EEllS6_
		.amdhsa_group_segment_fixed_size 0
		.amdhsa_private_segment_fixed_size 0
		.amdhsa_kernarg_size 712
		.amdhsa_user_sgpr_count 2
		.amdhsa_user_sgpr_dispatch_ptr 0
		.amdhsa_user_sgpr_queue_ptr 0
		.amdhsa_user_sgpr_kernarg_segment_ptr 1
		.amdhsa_user_sgpr_dispatch_id 0
		.amdhsa_user_sgpr_private_segment_size 0
		.amdhsa_wavefront_size32 1
		.amdhsa_uses_dynamic_stack 0
		.amdhsa_enable_private_segment 0
		.amdhsa_system_sgpr_workgroup_id_x 1
		.amdhsa_system_sgpr_workgroup_id_y 0
		.amdhsa_system_sgpr_workgroup_id_z 0
		.amdhsa_system_sgpr_workgroup_info 0
		.amdhsa_system_vgpr_workitem_id 0
		.amdhsa_next_free_vgpr 26
		.amdhsa_next_free_sgpr 68
		.amdhsa_reserve_vcc 1
		.amdhsa_float_round_mode_32 0
		.amdhsa_float_round_mode_16_64 0
		.amdhsa_float_denorm_mode_32 3
		.amdhsa_float_denorm_mode_16_64 3
		.amdhsa_fp16_overflow 0
		.amdhsa_workgroup_processor_mode 1
		.amdhsa_memory_ordered 1
		.amdhsa_forward_progress 1
		.amdhsa_inst_pref_size 65
		.amdhsa_round_robin_scheduling 0
		.amdhsa_exception_fp_ieee_invalid_op 0
		.amdhsa_exception_fp_denorm_src 0
		.amdhsa_exception_fp_ieee_div_zero 0
		.amdhsa_exception_fp_ieee_overflow 0
		.amdhsa_exception_fp_ieee_underflow 0
		.amdhsa_exception_fp_ieee_inexact 0
		.amdhsa_exception_int_div_zero 0
	.end_amdhsa_kernel
	.section	.text._ZN2at6native16triu_tril_kernelIdiLb0ELi2ELb0EEEvNS_4cuda6detail10TensorInfoIT_T0_EENS4_IKS5_S6_EEllS6_,"axG",@progbits,_ZN2at6native16triu_tril_kernelIdiLb0ELi2ELb0EEEvNS_4cuda6detail10TensorInfoIT_T0_EENS4_IKS5_S6_EEllS6_,comdat
.Lfunc_end21:
	.size	_ZN2at6native16triu_tril_kernelIdiLb0ELi2ELb0EEEvNS_4cuda6detail10TensorInfoIT_T0_EENS4_IKS5_S6_EEllS6_, .Lfunc_end21-_ZN2at6native16triu_tril_kernelIdiLb0ELi2ELb0EEEvNS_4cuda6detail10TensorInfoIT_T0_EENS4_IKS5_S6_EEllS6_
                                        ; -- End function
	.set _ZN2at6native16triu_tril_kernelIdiLb0ELi2ELb0EEEvNS_4cuda6detail10TensorInfoIT_T0_EENS4_IKS5_S6_EEllS6_.num_vgpr, 26
	.set _ZN2at6native16triu_tril_kernelIdiLb0ELi2ELb0EEEvNS_4cuda6detail10TensorInfoIT_T0_EENS4_IKS5_S6_EEllS6_.num_agpr, 0
	.set _ZN2at6native16triu_tril_kernelIdiLb0ELi2ELb0EEEvNS_4cuda6detail10TensorInfoIT_T0_EENS4_IKS5_S6_EEllS6_.numbered_sgpr, 68
	.set _ZN2at6native16triu_tril_kernelIdiLb0ELi2ELb0EEEvNS_4cuda6detail10TensorInfoIT_T0_EENS4_IKS5_S6_EEllS6_.num_named_barrier, 0
	.set _ZN2at6native16triu_tril_kernelIdiLb0ELi2ELb0EEEvNS_4cuda6detail10TensorInfoIT_T0_EENS4_IKS5_S6_EEllS6_.private_seg_size, 0
	.set _ZN2at6native16triu_tril_kernelIdiLb0ELi2ELb0EEEvNS_4cuda6detail10TensorInfoIT_T0_EENS4_IKS5_S6_EEllS6_.uses_vcc, 1
	.set _ZN2at6native16triu_tril_kernelIdiLb0ELi2ELb0EEEvNS_4cuda6detail10TensorInfoIT_T0_EENS4_IKS5_S6_EEllS6_.uses_flat_scratch, 0
	.set _ZN2at6native16triu_tril_kernelIdiLb0ELi2ELb0EEEvNS_4cuda6detail10TensorInfoIT_T0_EENS4_IKS5_S6_EEllS6_.has_dyn_sized_stack, 0
	.set _ZN2at6native16triu_tril_kernelIdiLb0ELi2ELb0EEEvNS_4cuda6detail10TensorInfoIT_T0_EENS4_IKS5_S6_EEllS6_.has_recursion, 0
	.set _ZN2at6native16triu_tril_kernelIdiLb0ELi2ELb0EEEvNS_4cuda6detail10TensorInfoIT_T0_EENS4_IKS5_S6_EEllS6_.has_indirect_call, 0
	.section	.AMDGPU.csdata,"",@progbits
; Kernel info:
; codeLenInByte = 8304
; TotalNumSgprs: 70
; NumVgprs: 26
; ScratchSize: 0
; MemoryBound: 0
; FloatMode: 240
; IeeeMode: 1
; LDSByteSize: 0 bytes/workgroup (compile time only)
; SGPRBlocks: 0
; VGPRBlocks: 3
; NumSGPRsForWavesPerEU: 70
; NumVGPRsForWavesPerEU: 26
; Occupancy: 16
; WaveLimiterHint : 1
; COMPUTE_PGM_RSRC2:SCRATCH_EN: 0
; COMPUTE_PGM_RSRC2:USER_SGPR: 2
; COMPUTE_PGM_RSRC2:TRAP_HANDLER: 0
; COMPUTE_PGM_RSRC2:TGID_X_EN: 1
; COMPUTE_PGM_RSRC2:TGID_Y_EN: 0
; COMPUTE_PGM_RSRC2:TGID_Z_EN: 0
; COMPUTE_PGM_RSRC2:TIDIG_COMP_CNT: 0
	.section	.text._ZN2at6native16triu_tril_kernelIdlLb0ELi2ELb1EEEvNS_4cuda6detail10TensorInfoIT_T0_EENS4_IKS5_S6_EEllS6_,"axG",@progbits,_ZN2at6native16triu_tril_kernelIdlLb0ELi2ELb1EEEvNS_4cuda6detail10TensorInfoIT_T0_EENS4_IKS5_S6_EEllS6_,comdat
	.protected	_ZN2at6native16triu_tril_kernelIdlLb0ELi2ELb1EEEvNS_4cuda6detail10TensorInfoIT_T0_EENS4_IKS5_S6_EEllS6_ ; -- Begin function _ZN2at6native16triu_tril_kernelIdlLb0ELi2ELb1EEEvNS_4cuda6detail10TensorInfoIT_T0_EENS4_IKS5_S6_EEllS6_
	.globl	_ZN2at6native16triu_tril_kernelIdlLb0ELi2ELb1EEEvNS_4cuda6detail10TensorInfoIT_T0_EENS4_IKS5_S6_EEllS6_
	.p2align	8
	.type	_ZN2at6native16triu_tril_kernelIdlLb0ELi2ELb1EEEvNS_4cuda6detail10TensorInfoIT_T0_EENS4_IKS5_S6_EEllS6_,@function
_ZN2at6native16triu_tril_kernelIdlLb0ELi2ELb1EEEvNS_4cuda6detail10TensorInfoIT_T0_EENS4_IKS5_S6_EEllS6_: ; @_ZN2at6native16triu_tril_kernelIdlLb0ELi2ELb1EEEvNS_4cuda6detail10TensorInfoIT_T0_EENS4_IKS5_S6_EEllS6_
; %bb.0:
	s_clause 0x1
	s_load_b32 s2, s[0:1], 0x364
	s_load_b128 s[4:7], s[0:1], 0x340
	v_mov_b32_e32 v2, 0
	s_mov_b32 s3, exec_lo
	s_delay_alu instid0(VALU_DEP_1)
	v_mov_b32_e32 v1, v2
	s_wait_kmcnt 0x0
	s_and_b32 s2, s2, 0xffff
	s_delay_alu instid0(VALU_DEP_1) | instid1(SALU_CYCLE_1)
	v_mad_co_u64_u32 v[0:1], null, s2, ttmp9, v[0:1]
	s_delay_alu instid0(VALU_DEP_1) | instskip(NEXT) | instid1(VALU_DEP_1)
	v_lshlrev_b64_e32 v[0:1], 1, v[0:1]
	v_cmpx_gt_i64_e64 s[6:7], v[0:1]
	s_cbranch_execz .LBB22_43
; %bb.1:
	s_load_b32 s22, s[0:1], 0x338
	s_add_nc_u64 s[12:13], s[0:1], 0x358
	s_clause 0x1
	s_load_b64 s[8:9], s[0:1], 0x350
	s_load_b64 s[10:11], s[0:1], 0x0
	s_add_nc_u64 s[28:29], s[0:1], 0x1a0
	s_load_b32 s3, s[12:13], 0x0
	s_movk_i32 s18, 0xffe0
	s_add_nc_u64 s[16:17], s[0:1], 0xb8
	s_mov_b32 s19, -1
	s_add_nc_u64 s[34:35], s[0:1], 0x190
	s_mov_b32 s65, 0
	s_wait_kmcnt 0x0
	s_add_co_i32 s14, s22, -2
	v_cvt_f32_u32_e32 v3, s8
	s_ashr_i32 s15, s14, 31
	s_add_co_i32 s20, s22, -3
	s_lshl_b64 s[12:13], s[14:15], 3
	s_ashr_i32 s23, s22, 31
	s_add_nc_u64 s[12:13], s[28:29], s[12:13]
	v_rcp_iflag_f32_e32 v3, v3
	s_load_b64 s[12:13], s[12:13], 0x8
	s_mul_i32 s24, s3, s2
	s_and_b32 s25, s20, 3
	s_lshl_b64 s[2:3], s[22:23], 3
	s_ashr_i32 s21, s20, 31
	s_and_b32 s14, s14, 3
	s_lshl_b32 s62, s24, 1
	s_cmp_lg_u32 s25, 3
	v_cmp_gt_i64_e64 s33, s[22:23], 2
	s_cselect_b32 s63, -1, 0
	s_cmp_gt_u32 s20, 2
	s_wait_alu 0xfffe
	s_add_nc_u64 s[22:23], s[0:1], s[2:3]
	s_add_nc_u64 s[24:25], s[28:29], s[2:3]
	s_cselect_b32 s64, -1, 0
	s_lshl_b64 s[2:3], s[20:21], 3
	s_mov_b32 s15, 0
	s_wait_alu 0xfffe
	s_add_nc_u64 s[30:31], s[0:1], s[2:3]
	s_add_nc_u64 s[2:3], s[28:29], s[2:3]
	s_mov_b64 s[26:27], s[14:15]
	s_add_nc_u64 s[28:29], s[30:31], 0xd0
	s_wait_kmcnt 0x0
	v_cvt_f32_u32_e32 v4, s12
	s_wait_alu 0xfffe
	s_add_nc_u64 s[30:31], s[2:3], 8
	s_ashr_i32 s36, s9, 31
	s_delay_alu instid0(VALU_DEP_1) | instskip(NEXT) | instid1(TRANS32_DEP_1)
	v_rcp_iflag_f32_e32 v4, v4
	v_dual_mul_f32 v3, 0x4f7ffffe, v3 :: v_dual_mul_f32 v4, 0x4f7ffffe, v4
	s_delay_alu instid0(VALU_DEP_1) | instskip(NEXT) | instid1(VALU_DEP_2)
	v_cvt_u32_f32_e32 v20, v3
	v_cvt_u32_f32_e32 v21, v4
	s_branch .LBB22_3
.LBB22_2:                               ;   in Loop: Header=BB22_3 Depth=1
	s_wait_alu 0xfffe
	s_or_b32 exec_lo, exec_lo, s37
	v_add_co_u32 v0, vcc_lo, v0, s62
	s_wait_alu 0xfffd
	v_add_co_ci_u32_e64 v1, null, 0, v1, vcc_lo
	s_delay_alu instid0(VALU_DEP_1) | instskip(SKIP_1) | instid1(SALU_CYCLE_1)
	v_cmp_le_i64_e32 vcc_lo, s[6:7], v[0:1]
	s_or_b32 s65, vcc_lo, s65
	s_and_not1_b32 exec_lo, exec_lo, s65
	s_cbranch_execz .LBB22_43
.LBB22_3:                               ; =>This Loop Header: Depth=1
                                        ;     Child Loop BB22_17 Depth 2
                                        ;     Child Loop BB22_22 Depth 2
	v_or_b32_e32 v3, s9, v1
                                        ; implicit-def: $vgpr6_vgpr7
	s_mov_b32 s0, exec_lo
	s_delay_alu instid0(VALU_DEP_1)
	v_cmpx_ne_u64_e32 0, v[2:3]
	s_wait_alu 0xfffe
	s_xor_b32 s1, exec_lo, s0
	s_cbranch_execz .LBB22_5
; %bb.4:                                ;   in Loop: Header=BB22_3 Depth=1
	s_mov_b32 s37, s36
	v_ashrrev_i32_e32 v9, 31, v1
	s_wait_alu 0xfffe
	s_add_nc_u64 s[2:3], s[8:9], s[36:37]
	s_wait_alu 0xfffe
	s_xor_b64 s[2:3], s[2:3], s[36:37]
	v_add_co_u32 v3, vcc_lo, v0, v9
	s_wait_alu 0xfffe
	s_cvt_f32_u32 s0, s2
	s_cvt_f32_u32 s14, s3
	s_sub_nc_u64 s[40:41], 0, s[2:3]
	s_wait_alu 0xfffd
	v_add_co_ci_u32_e64 v4, null, v1, v9, vcc_lo
	s_wait_alu 0xfffe
	s_fmamk_f32 s0, s14, 0x4f800000, s0
	v_xor_b32_e32 v10, v3, v9
	s_delay_alu instid0(VALU_DEP_2) | instskip(SKIP_2) | instid1(TRANS32_DEP_1)
	v_xor_b32_e32 v11, v4, v9
	s_wait_alu 0xfffe
	v_s_rcp_f32 s0, s0
	s_mul_f32 s0, s0, 0x5f7ffffc
	s_wait_alu 0xfffe
	s_delay_alu instid0(SALU_CYCLE_2) | instskip(SKIP_1) | instid1(SALU_CYCLE_2)
	s_mul_f32 s14, s0, 0x2f800000
	s_wait_alu 0xfffe
	s_trunc_f32 s14, s14
	s_wait_alu 0xfffe
	s_delay_alu instid0(SALU_CYCLE_2) | instskip(SKIP_2) | instid1(SALU_CYCLE_1)
	s_fmamk_f32 s0, s14, 0xcf800000, s0
	s_cvt_u32_f32 s39, s14
	s_wait_alu 0xfffe
	s_cvt_u32_f32 s38, s0
	s_wait_alu 0xfffe
	s_delay_alu instid0(SALU_CYCLE_2) | instskip(NEXT) | instid1(SALU_CYCLE_1)
	s_mul_u64 s[42:43], s[40:41], s[38:39]
	s_mul_hi_u32 s45, s38, s43
	s_mul_i32 s44, s38, s43
	s_mul_hi_u32 s14, s38, s42
	s_mul_i32 s37, s39, s42
	s_wait_alu 0xfffe
	s_add_nc_u64 s[44:45], s[14:15], s[44:45]
	s_mul_hi_u32 s0, s39, s42
	s_mul_hi_u32 s46, s39, s43
	s_wait_alu 0xfffe
	s_add_co_u32 s14, s44, s37
	s_add_co_ci_u32 s14, s45, s0
	s_mul_i32 s42, s39, s43
	s_add_co_ci_u32 s43, s46, 0
	s_wait_alu 0xfffe
	s_add_nc_u64 s[42:43], s[14:15], s[42:43]
	s_delay_alu instid0(SALU_CYCLE_1)
	s_add_co_u32 s38, s38, s42
	s_cselect_b32 s0, -1, 0
	s_wait_alu 0xfffe
	s_cmp_lg_u32 s0, 0
	s_add_co_ci_u32 s39, s39, s43
	s_wait_alu 0xfffe
	s_mul_u64 s[40:41], s[40:41], s[38:39]
	s_delay_alu instid0(SALU_CYCLE_1)
	s_mul_hi_u32 s43, s38, s41
	s_mul_i32 s42, s38, s41
	s_mul_hi_u32 s14, s38, s40
	s_mul_i32 s37, s39, s40
	s_wait_alu 0xfffe
	s_add_nc_u64 s[42:43], s[14:15], s[42:43]
	s_mul_hi_u32 s0, s39, s40
	s_mul_hi_u32 s44, s39, s41
	s_add_co_u32 s14, s42, s37
	s_wait_alu 0xfffe
	s_add_co_ci_u32 s14, s43, s0
	s_mul_i32 s40, s39, s41
	s_add_co_ci_u32 s41, s44, 0
	s_wait_alu 0xfffe
	s_add_nc_u64 s[40:41], s[14:15], s[40:41]
	s_delay_alu instid0(SALU_CYCLE_1)
	s_add_co_u32 s0, s38, s40
	s_cselect_b32 s14, -1, 0
	s_wait_alu 0xfffe
	v_mul_hi_u32 v12, v10, s0
	s_cmp_lg_u32 s14, 0
	v_mad_co_u64_u32 v[5:6], null, v11, s0, 0
	s_add_co_ci_u32 s14, s39, s41
	s_wait_alu 0xfffe
	v_mad_co_u64_u32 v[3:4], null, v10, s14, 0
	v_mad_co_u64_u32 v[7:8], null, v11, s14, 0
	s_delay_alu instid0(VALU_DEP_2) | instskip(SKIP_1) | instid1(VALU_DEP_3)
	v_add_co_u32 v3, vcc_lo, v12, v3
	s_wait_alu 0xfffd
	v_add_co_ci_u32_e64 v4, null, 0, v4, vcc_lo
	s_delay_alu instid0(VALU_DEP_2) | instskip(SKIP_1) | instid1(VALU_DEP_2)
	v_add_co_u32 v3, vcc_lo, v3, v5
	s_wait_alu 0xfffd
	v_add_co_ci_u32_e32 v3, vcc_lo, v4, v6, vcc_lo
	s_wait_alu 0xfffd
	v_add_co_ci_u32_e32 v4, vcc_lo, 0, v8, vcc_lo
	s_delay_alu instid0(VALU_DEP_2) | instskip(SKIP_1) | instid1(VALU_DEP_2)
	v_add_co_u32 v5, vcc_lo, v3, v7
	s_wait_alu 0xfffd
	v_add_co_ci_u32_e64 v6, null, 0, v4, vcc_lo
	s_delay_alu instid0(VALU_DEP_2) | instskip(SKIP_1) | instid1(VALU_DEP_3)
	v_mul_lo_u32 v7, s3, v5
	v_mad_co_u64_u32 v[3:4], null, s2, v5, 0
	v_mul_lo_u32 v8, s2, v6
	s_delay_alu instid0(VALU_DEP_2) | instskip(NEXT) | instid1(VALU_DEP_2)
	v_sub_co_u32 v3, vcc_lo, v10, v3
	v_add3_u32 v4, v4, v8, v7
	v_add_co_u32 v8, s0, v5, 2
	s_wait_alu 0xf1ff
	v_add_co_ci_u32_e64 v10, null, 0, v6, s0
	s_delay_alu instid0(VALU_DEP_3) | instskip(SKIP_3) | instid1(VALU_DEP_3)
	v_sub_nc_u32_e32 v7, v11, v4
	v_sub_co_u32 v12, s0, v3, s2
	s_wait_alu 0xfffd
	v_sub_co_ci_u32_e64 v4, null, v11, v4, vcc_lo
	v_subrev_co_ci_u32_e64 v7, null, s3, v7, vcc_lo
	s_delay_alu instid0(VALU_DEP_3) | instskip(SKIP_1) | instid1(VALU_DEP_2)
	v_cmp_le_u32_e32 vcc_lo, s2, v12
	s_wait_alu 0xf1ff
	v_subrev_co_ci_u32_e64 v7, null, 0, v7, s0
	s_wait_alu 0xfffd
	v_cndmask_b32_e64 v11, 0, -1, vcc_lo
	s_delay_alu instid0(VALU_DEP_2)
	v_cmp_le_u32_e32 vcc_lo, s3, v7
	s_wait_alu 0xfffd
	v_cndmask_b32_e64 v12, 0, -1, vcc_lo
	v_cmp_le_u32_e32 vcc_lo, s2, v3
	s_wait_alu 0xfffd
	v_cndmask_b32_e64 v3, 0, -1, vcc_lo
	;; [unrolled: 3-line block ×3, first 2 shown]
	v_cmp_eq_u32_e32 vcc_lo, s3, v7
	s_wait_alu 0xfffd
	v_cndmask_b32_e32 v7, v12, v11, vcc_lo
	v_add_co_u32 v11, vcc_lo, v5, 1
	s_wait_alu 0xfffd
	v_add_co_ci_u32_e64 v12, null, 0, v6, vcc_lo
	v_cmp_eq_u32_e32 vcc_lo, s3, v4
	s_wait_alu 0xfffd
	v_cndmask_b32_e32 v3, v13, v3, vcc_lo
	v_cmp_ne_u32_e32 vcc_lo, 0, v7
	v_xor_b32_e32 v7, s36, v9
	s_wait_alu 0xfffd
	v_cndmask_b32_e32 v4, v12, v10, vcc_lo
	v_cmp_ne_u32_e64 s0, 0, v3
	v_cndmask_b32_e32 v3, v11, v8, vcc_lo
	s_wait_alu 0xf1ff
	s_delay_alu instid0(VALU_DEP_2) | instskip(NEXT) | instid1(VALU_DEP_2)
	v_cndmask_b32_e64 v4, v6, v4, s0
	v_cndmask_b32_e64 v3, v5, v3, s0
	s_delay_alu instid0(VALU_DEP_2) | instskip(NEXT) | instid1(VALU_DEP_2)
	v_xor_b32_e32 v4, v4, v7
	v_xor_b32_e32 v3, v3, v7
	s_delay_alu instid0(VALU_DEP_1) | instskip(SKIP_1) | instid1(VALU_DEP_3)
	v_sub_co_u32 v6, vcc_lo, v3, v7
	s_wait_alu 0xfffd
	v_sub_co_ci_u32_e64 v7, null, v4, v7, vcc_lo
.LBB22_5:                               ;   in Loop: Header=BB22_3 Depth=1
	s_wait_alu 0xfffe
	s_and_not1_saveexec_b32 s0, s1
	s_cbranch_execz .LBB22_7
; %bb.6:                                ;   in Loop: Header=BB22_3 Depth=1
	s_sub_co_i32 s1, 0, s8
	v_mov_b32_e32 v7, v2
	s_wait_alu 0xfffe
	v_mul_lo_u32 v3, s1, v20
	s_delay_alu instid0(VALU_DEP_1) | instskip(NEXT) | instid1(VALU_DEP_1)
	v_mul_hi_u32 v3, v20, v3
	v_add_nc_u32_e32 v3, v20, v3
	s_delay_alu instid0(VALU_DEP_1) | instskip(NEXT) | instid1(VALU_DEP_1)
	v_mul_hi_u32 v3, v0, v3
	v_mul_lo_u32 v4, v3, s8
	s_delay_alu instid0(VALU_DEP_1) | instskip(NEXT) | instid1(VALU_DEP_1)
	v_sub_nc_u32_e32 v4, v0, v4
	v_subrev_nc_u32_e32 v6, s8, v4
	v_cmp_le_u32_e32 vcc_lo, s8, v4
	s_wait_alu 0xfffd
	s_delay_alu instid0(VALU_DEP_2) | instskip(NEXT) | instid1(VALU_DEP_1)
	v_dual_cndmask_b32 v4, v4, v6 :: v_dual_add_nc_u32 v5, 1, v3
	v_cndmask_b32_e32 v3, v3, v5, vcc_lo
	s_delay_alu instid0(VALU_DEP_2) | instskip(NEXT) | instid1(VALU_DEP_2)
	v_cmp_le_u32_e32 vcc_lo, s8, v4
	v_add_nc_u32_e32 v5, 1, v3
	s_wait_alu 0xfffd
	s_delay_alu instid0(VALU_DEP_1)
	v_cndmask_b32_e32 v6, v3, v5, vcc_lo
.LBB22_7:                               ;   in Loop: Header=BB22_3 Depth=1
	s_wait_alu 0xfffe
	s_or_b32 exec_lo, exec_lo, s0
	v_or_b32_e32 v3, s13, v7
                                        ; implicit-def: $vgpr8_vgpr9
	s_mov_b32 s0, exec_lo
	s_delay_alu instid0(VALU_DEP_1)
	v_cmpx_ne_u64_e32 0, v[2:3]
	s_wait_alu 0xfffe
	s_xor_b32 s1, exec_lo, s0
	s_cbranch_execz .LBB22_9
; %bb.8:                                ;   in Loop: Header=BB22_3 Depth=1
	s_ashr_i32 s2, s13, 31
	v_ashrrev_i32_e32 v5, 31, v7
	s_wait_alu 0xfffe
	s_mov_b32 s3, s2
	s_wait_alu 0xfffe
	s_add_nc_u64 s[38:39], s[12:13], s[2:3]
	v_add_co_u32 v3, vcc_lo, v6, v5
	s_wait_alu 0xfffe
	s_xor_b64 s[38:39], s[38:39], s[2:3]
	s_wait_alu 0xfffd
	v_add_co_ci_u32_e64 v4, null, v7, v5, vcc_lo
	s_wait_alu 0xfffe
	s_cvt_f32_u32 s0, s38
	s_cvt_f32_u32 s3, s39
	s_sub_nc_u64 s[42:43], 0, s[38:39]
	v_xor_b32_e32 v12, v3, v5
	v_xor_b32_e32 v13, v4, v5
	s_wait_alu 0xfffe
	s_fmamk_f32 s0, s3, 0x4f800000, s0
	v_xor_b32_e32 v5, s2, v5
	s_wait_alu 0xfffe
	s_delay_alu instid0(SALU_CYCLE_1) | instskip(NEXT) | instid1(TRANS32_DEP_1)
	v_s_rcp_f32 s0, s0
	s_mul_f32 s0, s0, 0x5f7ffffc
	s_wait_alu 0xfffe
	s_delay_alu instid0(SALU_CYCLE_2) | instskip(SKIP_1) | instid1(SALU_CYCLE_2)
	s_mul_f32 s3, s0, 0x2f800000
	s_wait_alu 0xfffe
	s_trunc_f32 s3, s3
	s_wait_alu 0xfffe
	s_delay_alu instid0(SALU_CYCLE_2) | instskip(SKIP_2) | instid1(SALU_CYCLE_1)
	s_fmamk_f32 s0, s3, 0xcf800000, s0
	s_cvt_u32_f32 s41, s3
	s_wait_alu 0xfffe
	s_cvt_u32_f32 s40, s0
	s_delay_alu instid0(SALU_CYCLE_3)
	s_mul_u64 s[44:45], s[42:43], s[40:41]
	s_wait_alu 0xfffe
	s_mul_hi_u32 s47, s40, s45
	s_mul_i32 s46, s40, s45
	s_mul_hi_u32 s14, s40, s44
	s_mul_i32 s3, s41, s44
	s_wait_alu 0xfffe
	s_add_nc_u64 s[46:47], s[14:15], s[46:47]
	s_mul_hi_u32 s0, s41, s44
	s_mul_hi_u32 s37, s41, s45
	s_wait_alu 0xfffe
	s_add_co_u32 s3, s46, s3
	s_add_co_ci_u32 s14, s47, s0
	s_mul_i32 s44, s41, s45
	s_add_co_ci_u32 s45, s37, 0
	s_wait_alu 0xfffe
	s_add_nc_u64 s[44:45], s[14:15], s[44:45]
	s_wait_alu 0xfffe
	s_add_co_u32 s40, s40, s44
	s_cselect_b32 s0, -1, 0
	s_wait_alu 0xfffe
	s_cmp_lg_u32 s0, 0
	s_add_co_ci_u32 s41, s41, s45
	s_delay_alu instid0(SALU_CYCLE_1) | instskip(NEXT) | instid1(SALU_CYCLE_1)
	s_mul_u64 s[42:43], s[42:43], s[40:41]
	s_mul_hi_u32 s45, s40, s43
	s_mul_i32 s44, s40, s43
	s_mul_hi_u32 s14, s40, s42
	s_mul_i32 s3, s41, s42
	s_wait_alu 0xfffe
	s_add_nc_u64 s[44:45], s[14:15], s[44:45]
	s_mul_hi_u32 s0, s41, s42
	s_mul_hi_u32 s37, s41, s43
	s_wait_alu 0xfffe
	s_add_co_u32 s3, s44, s3
	s_add_co_ci_u32 s14, s45, s0
	s_mul_i32 s42, s41, s43
	s_add_co_ci_u32 s43, s37, 0
	s_wait_alu 0xfffe
	s_add_nc_u64 s[42:43], s[14:15], s[42:43]
	s_delay_alu instid0(SALU_CYCLE_1)
	s_add_co_u32 s0, s40, s42
	s_cselect_b32 s3, -1, 0
	s_wait_alu 0xfffe
	v_mul_hi_u32 v14, v12, s0
	s_cmp_lg_u32 s3, 0
	v_mad_co_u64_u32 v[8:9], null, v13, s0, 0
	s_add_co_ci_u32 s3, s41, s43
	s_wait_alu 0xfffe
	v_mad_co_u64_u32 v[3:4], null, v12, s3, 0
	v_mad_co_u64_u32 v[10:11], null, v13, s3, 0
	s_delay_alu instid0(VALU_DEP_2) | instskip(SKIP_1) | instid1(VALU_DEP_3)
	v_add_co_u32 v3, vcc_lo, v14, v3
	s_wait_alu 0xfffd
	v_add_co_ci_u32_e64 v4, null, 0, v4, vcc_lo
	s_delay_alu instid0(VALU_DEP_2) | instskip(SKIP_1) | instid1(VALU_DEP_2)
	v_add_co_u32 v3, vcc_lo, v3, v8
	s_wait_alu 0xfffd
	v_add_co_ci_u32_e32 v3, vcc_lo, v4, v9, vcc_lo
	s_wait_alu 0xfffd
	v_add_co_ci_u32_e32 v4, vcc_lo, 0, v11, vcc_lo
	s_delay_alu instid0(VALU_DEP_2) | instskip(SKIP_1) | instid1(VALU_DEP_2)
	v_add_co_u32 v8, vcc_lo, v3, v10
	s_wait_alu 0xfffd
	v_add_co_ci_u32_e64 v9, null, 0, v4, vcc_lo
	s_delay_alu instid0(VALU_DEP_2) | instskip(SKIP_1) | instid1(VALU_DEP_3)
	v_mul_lo_u32 v10, s39, v8
	v_mad_co_u64_u32 v[3:4], null, s38, v8, 0
	v_mul_lo_u32 v11, s38, v9
	s_delay_alu instid0(VALU_DEP_2) | instskip(NEXT) | instid1(VALU_DEP_2)
	v_sub_co_u32 v3, vcc_lo, v12, v3
	v_add3_u32 v4, v4, v11, v10
	v_add_co_u32 v11, s0, v8, 2
	s_wait_alu 0xf1ff
	v_add_co_ci_u32_e64 v12, null, 0, v9, s0
	s_delay_alu instid0(VALU_DEP_3) | instskip(SKIP_3) | instid1(VALU_DEP_3)
	v_sub_nc_u32_e32 v10, v13, v4
	v_sub_co_u32 v14, s0, v3, s38
	s_wait_alu 0xfffd
	v_sub_co_ci_u32_e64 v4, null, v13, v4, vcc_lo
	v_subrev_co_ci_u32_e64 v10, null, s39, v10, vcc_lo
	s_delay_alu instid0(VALU_DEP_3) | instskip(SKIP_1) | instid1(VALU_DEP_2)
	v_cmp_le_u32_e32 vcc_lo, s38, v14
	s_wait_alu 0xf1ff
	v_subrev_co_ci_u32_e64 v10, null, 0, v10, s0
	s_wait_alu 0xfffd
	v_cndmask_b32_e64 v13, 0, -1, vcc_lo
	s_delay_alu instid0(VALU_DEP_2)
	v_cmp_le_u32_e32 vcc_lo, s39, v10
	s_wait_alu 0xfffd
	v_cndmask_b32_e64 v14, 0, -1, vcc_lo
	v_cmp_le_u32_e32 vcc_lo, s38, v3
	s_wait_alu 0xfffd
	v_cndmask_b32_e64 v3, 0, -1, vcc_lo
	;; [unrolled: 3-line block ×3, first 2 shown]
	v_cmp_eq_u32_e32 vcc_lo, s39, v10
	s_wait_alu 0xfffd
	v_cndmask_b32_e32 v10, v14, v13, vcc_lo
	v_add_co_u32 v13, vcc_lo, v8, 1
	s_wait_alu 0xfffd
	v_add_co_ci_u32_e64 v14, null, 0, v9, vcc_lo
	v_cmp_eq_u32_e32 vcc_lo, s39, v4
	s_wait_alu 0xfffd
	v_cndmask_b32_e32 v3, v15, v3, vcc_lo
	v_cmp_ne_u32_e32 vcc_lo, 0, v10
	s_delay_alu instid0(VALU_DEP_2) | instskip(SKIP_3) | instid1(VALU_DEP_1)
	v_cmp_ne_u32_e64 s0, 0, v3
	s_wait_alu 0xfffd
	v_dual_cndmask_b32 v4, v14, v12 :: v_dual_cndmask_b32 v3, v13, v11
	s_wait_alu 0xf1ff
	v_cndmask_b32_e64 v4, v9, v4, s0
	s_delay_alu instid0(VALU_DEP_2) | instskip(NEXT) | instid1(VALU_DEP_2)
	v_cndmask_b32_e64 v3, v8, v3, s0
	v_xor_b32_e32 v4, v4, v5
	s_delay_alu instid0(VALU_DEP_2) | instskip(NEXT) | instid1(VALU_DEP_1)
	v_xor_b32_e32 v3, v3, v5
	v_sub_co_u32 v8, vcc_lo, v3, v5
	s_wait_alu 0xfffd
	s_delay_alu instid0(VALU_DEP_3)
	v_sub_co_ci_u32_e64 v9, null, v4, v5, vcc_lo
.LBB22_9:                               ;   in Loop: Header=BB22_3 Depth=1
	s_wait_alu 0xfffe
	s_and_not1_saveexec_b32 s0, s1
	s_cbranch_execz .LBB22_11
; %bb.10:                               ;   in Loop: Header=BB22_3 Depth=1
	s_sub_co_i32 s1, 0, s12
	v_mov_b32_e32 v9, v2
	s_wait_alu 0xfffe
	v_mul_lo_u32 v3, s1, v21
	s_delay_alu instid0(VALU_DEP_1) | instskip(NEXT) | instid1(VALU_DEP_1)
	v_mul_hi_u32 v3, v21, v3
	v_add_nc_u32_e32 v3, v21, v3
	s_delay_alu instid0(VALU_DEP_1) | instskip(NEXT) | instid1(VALU_DEP_1)
	v_mul_hi_u32 v3, v6, v3
	v_mul_lo_u32 v4, v3, s12
	v_add_nc_u32_e32 v5, 1, v3
	s_delay_alu instid0(VALU_DEP_2) | instskip(NEXT) | instid1(VALU_DEP_1)
	v_sub_nc_u32_e32 v4, v6, v4
	v_subrev_nc_u32_e32 v8, s12, v4
	v_cmp_le_u32_e32 vcc_lo, s12, v4
	s_wait_alu 0xfffd
	s_delay_alu instid0(VALU_DEP_2) | instskip(NEXT) | instid1(VALU_DEP_1)
	v_dual_cndmask_b32 v4, v4, v8 :: v_dual_cndmask_b32 v3, v3, v5
	v_cmp_le_u32_e32 vcc_lo, s12, v4
	s_delay_alu instid0(VALU_DEP_2) | instskip(SKIP_1) | instid1(VALU_DEP_1)
	v_add_nc_u32_e32 v5, 1, v3
	s_wait_alu 0xfffd
	v_cndmask_b32_e32 v8, v3, v5, vcc_lo
.LBB22_11:                              ;   in Loop: Header=BB22_3 Depth=1
	s_wait_alu 0xfffe
	s_or_b32 exec_lo, exec_lo, s0
	v_mul_lo_u32 v5, v7, s8
	v_mul_lo_u32 v12, v6, s9
	v_mad_co_u64_u32 v[3:4], null, v6, s8, 0
	v_mul_lo_u32 v13, v9, s12
	v_mul_lo_u32 v14, v8, s13
	v_mad_co_u64_u32 v[10:11], null, v8, s12, 0
	s_mov_b32 s37, exec_lo
	v_add3_u32 v5, v4, v12, v5
	v_sub_co_u32 v4, vcc_lo, v0, v3
	v_add3_u32 v11, v11, v14, v13
	s_wait_alu 0xfffd
	s_delay_alu instid0(VALU_DEP_3) | instskip(SKIP_3) | instid1(VALU_DEP_2)
	v_sub_co_ci_u32_e64 v5, null, v1, v5, vcc_lo
	v_sub_co_u32 v22, vcc_lo, v6, v10
	s_wait_alu 0xfffd
	v_sub_co_ci_u32_e64 v23, null, v7, v11, vcc_lo
	v_sub_co_u32 v6, vcc_lo, v4, v22
	s_wait_alu 0xfffd
	s_delay_alu instid0(VALU_DEP_2) | instskip(NEXT) | instid1(VALU_DEP_2)
	v_sub_co_ci_u32_e64 v7, null, v5, v23, vcc_lo
	v_add_co_u32 v10, vcc_lo, v6, 2
	s_wait_alu 0xfffd
	s_delay_alu instid0(VALU_DEP_2) | instskip(NEXT) | instid1(VALU_DEP_1)
	v_add_co_ci_u32_e64 v11, null, 0, v7, vcc_lo
	v_cmpx_lt_i64_e64 s[4:5], v[10:11]
	s_cbranch_execz .LBB22_2
; %bb.12:                               ;   in Loop: Header=BB22_3 Depth=1
	s_load_b128 s[0:3], s[22:23], 0xc0
	s_and_not1_b32 vcc_lo, exec_lo, s33
	s_wait_kmcnt 0x0
	v_mul_lo_u32 v3, s3, v4
	v_mul_lo_u32 v12, s2, v5
	v_mad_co_u64_u32 v[10:11], null, s2, v4, 0
	s_delay_alu instid0(VALU_DEP_1) | instskip(SKIP_2) | instid1(VALU_DEP_3)
	v_add3_u32 v11, v11, v12, v3
	v_mul_lo_u32 v3, s0, v23
	v_mul_lo_u32 v12, s1, v22
	v_mad_co_u64_u32 v[10:11], null, s0, v22, v[10:11]
	s_delay_alu instid0(VALU_DEP_1)
	v_add3_u32 v11, v12, v11, v3
	s_wait_alu 0xfffe
	s_cbranch_vccnz .LBB22_38
; %bb.13:                               ;   in Loop: Header=BB22_3 Depth=1
	s_mov_b64 s[38:39], s[26:27]
	s_mov_b64 s[40:41], s[30:31]
	s_and_not1_b32 vcc_lo, exec_lo, s63
	s_mov_b64 s[44:45], s[28:29]
	s_mov_b64 s[42:43], s[20:21]
	s_wait_alu 0xfffe
	s_cbranch_vccz .LBB22_17
.LBB22_14:                              ;   in Loop: Header=BB22_3 Depth=1
	s_and_not1_b32 vcc_lo, exec_lo, s64
	s_wait_alu 0xfffe
	s_cbranch_vccnz .LBB22_38
; %bb.15:                               ;   in Loop: Header=BB22_3 Depth=1
	s_lshl_b64 s[0:1], s[42:43], 3
	s_add_nc_u64 s[42:43], s[42:43], 1
	s_wait_alu 0xfffe
	s_add_nc_u64 s[38:39], s[16:17], s[0:1]
	s_add_nc_u64 s[40:41], s[34:35], s[0:1]
	s_branch .LBB22_22
.LBB22_16:                              ;   in Loop: Header=BB22_17 Depth=2
	s_wait_alu 0xfffe
	s_or_b32 exec_lo, exec_lo, s0
	s_load_b64 s[0:1], s[44:45], 0x0
	v_mul_lo_u32 v3, v13, s46
	v_mul_lo_u32 v16, v12, s47
	v_mad_co_u64_u32 v[14:15], null, v12, s46, 0
	s_add_nc_u64 s[38:39], s[38:39], -1
	s_add_nc_u64 s[42:43], s[42:43], -1
	;; [unrolled: 1-line block ×3, first 2 shown]
	s_wait_alu 0xfffe
	s_cmp_lg_u64 s[38:39], 0
	s_add_nc_u64 s[40:41], s[40:41], -8
	v_add3_u32 v3, v15, v16, v3
	v_sub_co_u32 v8, vcc_lo, v8, v14
	s_wait_alu 0xfffd
	s_delay_alu instid0(VALU_DEP_2) | instskip(SKIP_1) | instid1(VALU_DEP_2)
	v_sub_co_ci_u32_e64 v3, null, v9, v3, vcc_lo
	s_wait_kmcnt 0x0
	v_mul_lo_u32 v9, s1, v8
	s_delay_alu instid0(VALU_DEP_2) | instskip(SKIP_1) | instid1(VALU_DEP_1)
	v_mul_lo_u32 v3, s0, v3
	v_mad_co_u64_u32 v[10:11], null, s0, v8, v[10:11]
	v_add3_u32 v11, v9, v11, v3
	v_dual_mov_b32 v8, v12 :: v_dual_mov_b32 v9, v13
	s_cbranch_scc0 .LBB22_14
.LBB22_17:                              ;   Parent Loop BB22_3 Depth=1
                                        ; =>  This Inner Loop Header: Depth=2
	s_load_b64 s[46:47], s[40:41], 0x0
                                        ; implicit-def: $vgpr12_vgpr13
	s_mov_b32 s0, exec_lo
	s_wait_kmcnt 0x0
	v_or_b32_e32 v3, s47, v9
	s_delay_alu instid0(VALU_DEP_1)
	v_cmpx_ne_u64_e32 0, v[2:3]
	s_wait_alu 0xfffe
	s_xor_b32 s1, exec_lo, s0
	s_cbranch_execz .LBB22_19
; %bb.18:                               ;   in Loop: Header=BB22_17 Depth=2
	s_ashr_i32 s48, s47, 31
	v_ashrrev_i32_e32 v3, 31, v9
	s_wait_alu 0xfffe
	s_mov_b32 s49, s48
	s_wait_alu 0xfffe
	s_add_nc_u64 s[50:51], s[46:47], s[48:49]
	v_add_co_u32 v12, vcc_lo, v8, v3
	s_wait_alu 0xfffe
	s_xor_b64 s[50:51], s[50:51], s[48:49]
	s_wait_alu 0xfffd
	v_add_co_ci_u32_e64 v13, null, v9, v3, vcc_lo
	s_wait_alu 0xfffe
	s_cvt_f32_u32 s0, s50
	s_cvt_f32_u32 s14, s51
	s_sub_nc_u64 s[54:55], 0, s[50:51]
	v_xor_b32_e32 v18, v12, v3
	v_xor_b32_e32 v19, v13, v3
	s_wait_alu 0xfffe
	s_fmamk_f32 s0, s14, 0x4f800000, s0
	v_xor_b32_e32 v3, s48, v3
	s_wait_alu 0xfffe
	s_delay_alu instid0(SALU_CYCLE_1) | instskip(NEXT) | instid1(TRANS32_DEP_1)
	v_s_rcp_f32 s0, s0
	s_mul_f32 s0, s0, 0x5f7ffffc
	s_wait_alu 0xfffe
	s_delay_alu instid0(SALU_CYCLE_2) | instskip(SKIP_1) | instid1(SALU_CYCLE_2)
	s_mul_f32 s14, s0, 0x2f800000
	s_wait_alu 0xfffe
	s_trunc_f32 s14, s14
	s_wait_alu 0xfffe
	s_delay_alu instid0(SALU_CYCLE_2) | instskip(SKIP_2) | instid1(SALU_CYCLE_1)
	s_fmamk_f32 s0, s14, 0xcf800000, s0
	s_cvt_u32_f32 s53, s14
	s_wait_alu 0xfffe
	s_cvt_u32_f32 s52, s0
	s_wait_alu 0xfffe
	s_delay_alu instid0(SALU_CYCLE_2)
	s_mul_u64 s[56:57], s[54:55], s[52:53]
	s_wait_alu 0xfffe
	s_mul_hi_u32 s59, s52, s57
	s_mul_i32 s58, s52, s57
	s_mul_hi_u32 s14, s52, s56
	s_mul_i32 s49, s53, s56
	s_wait_alu 0xfffe
	s_add_nc_u64 s[58:59], s[14:15], s[58:59]
	s_mul_hi_u32 s0, s53, s56
	s_mul_hi_u32 s60, s53, s57
	s_wait_alu 0xfffe
	s_add_co_u32 s14, s58, s49
	s_add_co_ci_u32 s14, s59, s0
	s_mul_i32 s56, s53, s57
	s_add_co_ci_u32 s57, s60, 0
	s_wait_alu 0xfffe
	s_add_nc_u64 s[56:57], s[14:15], s[56:57]
	s_wait_alu 0xfffe
	s_add_co_u32 s52, s52, s56
	s_cselect_b32 s0, -1, 0
	s_wait_alu 0xfffe
	s_cmp_lg_u32 s0, 0
	s_add_co_ci_u32 s53, s53, s57
	s_wait_alu 0xfffe
	s_mul_u64 s[54:55], s[54:55], s[52:53]
	s_wait_alu 0xfffe
	s_mul_hi_u32 s57, s52, s55
	s_mul_i32 s56, s52, s55
	s_mul_hi_u32 s14, s52, s54
	s_mul_i32 s49, s53, s54
	s_wait_alu 0xfffe
	s_add_nc_u64 s[56:57], s[14:15], s[56:57]
	s_mul_hi_u32 s0, s53, s54
	s_mul_hi_u32 s58, s53, s55
	s_wait_alu 0xfffe
	s_add_co_u32 s14, s56, s49
	s_add_co_ci_u32 s14, s57, s0
	s_mul_i32 s54, s53, s55
	s_add_co_ci_u32 s55, s58, 0
	s_wait_alu 0xfffe
	s_add_nc_u64 s[54:55], s[14:15], s[54:55]
	s_wait_alu 0xfffe
	s_add_co_u32 s0, s52, s54
	s_cselect_b32 s14, -1, 0
	s_wait_alu 0xfffe
	v_mul_hi_u32 v24, v18, s0
	s_cmp_lg_u32 s14, 0
	v_mad_co_u64_u32 v[14:15], null, v19, s0, 0
	s_add_co_ci_u32 s14, s53, s55
	s_wait_alu 0xfffe
	v_mad_co_u64_u32 v[12:13], null, v18, s14, 0
	v_mad_co_u64_u32 v[16:17], null, v19, s14, 0
	s_delay_alu instid0(VALU_DEP_2) | instskip(SKIP_1) | instid1(VALU_DEP_3)
	v_add_co_u32 v12, vcc_lo, v24, v12
	s_wait_alu 0xfffd
	v_add_co_ci_u32_e64 v13, null, 0, v13, vcc_lo
	s_delay_alu instid0(VALU_DEP_2) | instskip(SKIP_1) | instid1(VALU_DEP_2)
	v_add_co_u32 v12, vcc_lo, v12, v14
	s_wait_alu 0xfffd
	v_add_co_ci_u32_e32 v12, vcc_lo, v13, v15, vcc_lo
	s_wait_alu 0xfffd
	v_add_co_ci_u32_e32 v13, vcc_lo, 0, v17, vcc_lo
	s_delay_alu instid0(VALU_DEP_2) | instskip(SKIP_1) | instid1(VALU_DEP_2)
	v_add_co_u32 v14, vcc_lo, v12, v16
	s_wait_alu 0xfffd
	v_add_co_ci_u32_e64 v15, null, 0, v13, vcc_lo
	s_delay_alu instid0(VALU_DEP_2) | instskip(SKIP_1) | instid1(VALU_DEP_3)
	v_mul_lo_u32 v16, s51, v14
	v_mad_co_u64_u32 v[12:13], null, s50, v14, 0
	v_mul_lo_u32 v17, s50, v15
	s_delay_alu instid0(VALU_DEP_2) | instskip(NEXT) | instid1(VALU_DEP_2)
	v_sub_co_u32 v12, vcc_lo, v18, v12
	v_add3_u32 v13, v13, v17, v16
	v_add_co_u32 v17, s0, v14, 2
	s_wait_alu 0xf1ff
	v_add_co_ci_u32_e64 v18, null, 0, v15, s0
	s_delay_alu instid0(VALU_DEP_3) | instskip(SKIP_3) | instid1(VALU_DEP_3)
	v_sub_nc_u32_e32 v16, v19, v13
	v_sub_co_u32 v24, s0, v12, s50
	s_wait_alu 0xfffd
	v_sub_co_ci_u32_e64 v13, null, v19, v13, vcc_lo
	v_subrev_co_ci_u32_e64 v16, null, s51, v16, vcc_lo
	s_delay_alu instid0(VALU_DEP_3) | instskip(SKIP_1) | instid1(VALU_DEP_2)
	v_cmp_le_u32_e32 vcc_lo, s50, v24
	s_wait_alu 0xf1ff
	v_subrev_co_ci_u32_e64 v16, null, 0, v16, s0
	s_wait_alu 0xfffd
	v_cndmask_b32_e64 v19, 0, -1, vcc_lo
	s_delay_alu instid0(VALU_DEP_2)
	v_cmp_le_u32_e32 vcc_lo, s51, v16
	s_wait_alu 0xfffd
	v_cndmask_b32_e64 v24, 0, -1, vcc_lo
	v_cmp_le_u32_e32 vcc_lo, s50, v12
	s_wait_alu 0xfffd
	v_cndmask_b32_e64 v12, 0, -1, vcc_lo
	;; [unrolled: 3-line block ×3, first 2 shown]
	v_cmp_eq_u32_e32 vcc_lo, s51, v16
	s_wait_alu 0xfffd
	v_cndmask_b32_e32 v16, v24, v19, vcc_lo
	v_add_co_u32 v19, vcc_lo, v14, 1
	s_wait_alu 0xfffd
	v_add_co_ci_u32_e64 v24, null, 0, v15, vcc_lo
	v_cmp_eq_u32_e32 vcc_lo, s51, v13
	s_wait_alu 0xfffd
	v_cndmask_b32_e32 v12, v25, v12, vcc_lo
	v_cmp_ne_u32_e32 vcc_lo, 0, v16
	s_wait_alu 0xfffd
	v_cndmask_b32_e32 v13, v24, v18, vcc_lo
	s_delay_alu instid0(VALU_DEP_3) | instskip(SKIP_2) | instid1(VALU_DEP_2)
	v_cmp_ne_u32_e64 s0, 0, v12
	v_cndmask_b32_e32 v12, v19, v17, vcc_lo
	s_wait_alu 0xf1ff
	v_cndmask_b32_e64 v13, v15, v13, s0
	s_delay_alu instid0(VALU_DEP_2) | instskip(NEXT) | instid1(VALU_DEP_2)
	v_cndmask_b32_e64 v12, v14, v12, s0
	v_xor_b32_e32 v13, v13, v3
	s_delay_alu instid0(VALU_DEP_2) | instskip(NEXT) | instid1(VALU_DEP_1)
	v_xor_b32_e32 v12, v12, v3
	v_sub_co_u32 v12, vcc_lo, v12, v3
	s_wait_alu 0xfffd
	s_delay_alu instid0(VALU_DEP_3)
	v_sub_co_ci_u32_e64 v13, null, v13, v3, vcc_lo
.LBB22_19:                              ;   in Loop: Header=BB22_17 Depth=2
	s_wait_alu 0xfffe
	s_and_not1_saveexec_b32 s0, s1
	s_cbranch_execz .LBB22_16
; %bb.20:                               ;   in Loop: Header=BB22_17 Depth=2
	v_cvt_f32_u32_e32 v3, s46
	s_sub_co_i32 s1, 0, s46
	s_delay_alu instid0(VALU_DEP_1) | instskip(NEXT) | instid1(TRANS32_DEP_1)
	v_rcp_iflag_f32_e32 v3, v3
	v_mul_f32_e32 v3, 0x4f7ffffe, v3
	s_delay_alu instid0(VALU_DEP_1) | instskip(SKIP_1) | instid1(VALU_DEP_1)
	v_cvt_u32_f32_e32 v3, v3
	s_wait_alu 0xfffe
	v_mul_lo_u32 v12, s1, v3
	s_delay_alu instid0(VALU_DEP_1) | instskip(NEXT) | instid1(VALU_DEP_1)
	v_mul_hi_u32 v12, v3, v12
	v_add_nc_u32_e32 v3, v3, v12
	s_delay_alu instid0(VALU_DEP_1) | instskip(NEXT) | instid1(VALU_DEP_1)
	v_mul_hi_u32 v3, v8, v3
	v_mul_lo_u32 v12, v3, s46
	v_add_nc_u32_e32 v13, 1, v3
	s_delay_alu instid0(VALU_DEP_2) | instskip(NEXT) | instid1(VALU_DEP_1)
	v_sub_nc_u32_e32 v12, v8, v12
	v_subrev_nc_u32_e32 v14, s46, v12
	v_cmp_le_u32_e32 vcc_lo, s46, v12
	s_wait_alu 0xfffd
	s_delay_alu instid0(VALU_DEP_2) | instskip(NEXT) | instid1(VALU_DEP_1)
	v_dual_cndmask_b32 v12, v12, v14 :: v_dual_cndmask_b32 v3, v3, v13
	v_cmp_le_u32_e32 vcc_lo, s46, v12
	s_delay_alu instid0(VALU_DEP_2) | instskip(SKIP_1) | instid1(VALU_DEP_1)
	v_add_nc_u32_e32 v13, 1, v3
	s_wait_alu 0xfffd
	v_dual_cndmask_b32 v12, v3, v13 :: v_dual_mov_b32 v13, v2
	s_branch .LBB22_16
.LBB22_21:                              ;   in Loop: Header=BB22_22 Depth=2
	s_wait_alu 0xfffe
	s_or_b32 exec_lo, exec_lo, s0
	v_mul_lo_u32 v3, v13, s44
	v_mul_lo_u32 v28, v12, s45
	v_mad_co_u64_u32 v[24:25], null, v12, s44, 0
	v_mul_lo_u32 v29, v15, s48
	v_mul_lo_u32 v30, v14, s49
	v_mad_co_u64_u32 v[26:27], null, v14, s48, 0
	s_load_b64 s[0:1], s[38:39], 0x0
	s_add_nc_u64 s[42:43], s[42:43], -4
	v_add3_u32 v3, v25, v28, v3
	v_sub_co_u32 v8, vcc_lo, v8, v24
	v_mul_lo_u32 v24, v17, s52
	v_add3_u32 v25, v27, v30, v29
	s_wait_alu 0xfffd
	v_sub_co_ci_u32_e64 v3, null, v9, v3, vcc_lo
	v_mul_lo_u32 v27, s47, v8
	v_mad_co_u64_u32 v[8:9], null, s46, v8, v[10:11]
	s_delay_alu instid0(VALU_DEP_3)
	v_mul_lo_u32 v3, s46, v3
	v_mul_lo_u32 v28, v16, s53
	v_mad_co_u64_u32 v[10:11], null, v16, s52, 0
	v_sub_co_u32 v12, vcc_lo, v12, v26
	s_wait_alu 0xfffd
	v_sub_co_ci_u32_e64 v13, null, v13, v25, vcc_lo
	v_add3_u32 v9, v27, v9, v3
	s_add_nc_u64 s[38:39], s[38:39], s[18:19]
	s_delay_alu instid0(VALU_DEP_4)
	v_add3_u32 v3, v11, v28, v24
	v_mul_lo_u32 v24, s51, v12
	v_mul_lo_u32 v13, s50, v13
	v_mad_co_u64_u32 v[8:9], null, s50, v12, v[8:9]
	v_sub_co_u32 v12, vcc_lo, v14, v10
	s_wait_alu 0xfffd
	v_sub_co_ci_u32_e64 v3, null, v15, v3, vcc_lo
	v_mul_lo_u32 v14, v19, s56
	v_mul_lo_u32 v15, v18, s57
	v_mad_co_u64_u32 v[10:11], null, v18, s56, 0
	v_add3_u32 v9, v24, v9, v13
	v_mul_lo_u32 v3, s54, v3
	s_cmp_eq_u64 s[42:43], 0
	s_add_nc_u64 s[40:41], s[40:41], s[18:19]
	s_delay_alu instid0(VALU_DEP_2) | instskip(SKIP_4) | instid1(VALU_DEP_2)
	v_mad_co_u64_u32 v[8:9], null, s54, v12, v[8:9]
	v_mul_lo_u32 v12, s55, v12
	v_add3_u32 v11, v11, v15, v14
	v_sub_co_u32 v10, vcc_lo, v16, v10
	s_wait_alu 0xfffd
	v_sub_co_ci_u32_e64 v11, null, v17, v11, vcc_lo
	s_delay_alu instid0(VALU_DEP_4) | instskip(SKIP_2) | instid1(VALU_DEP_3)
	v_add3_u32 v9, v12, v9, v3
	s_wait_kmcnt 0x0
	v_mul_lo_u32 v12, s1, v10
	v_mul_lo_u32 v3, s0, v11
	s_delay_alu instid0(VALU_DEP_3) | instskip(SKIP_1) | instid1(VALU_DEP_2)
	v_mad_co_u64_u32 v[10:11], null, s0, v10, v[8:9]
	v_dual_mov_b32 v8, v18 :: v_dual_mov_b32 v9, v19
	v_add3_u32 v11, v12, v11, v3
	s_cbranch_scc1 .LBB22_38
.LBB22_22:                              ;   Parent Loop BB22_3 Depth=1
                                        ; =>  This Inner Loop Header: Depth=2
	s_load_b64 s[44:45], s[40:41], 0x18
                                        ; implicit-def: $vgpr12_vgpr13
	s_mov_b32 s0, exec_lo
	s_wait_kmcnt 0x0
	v_or_b32_e32 v3, s45, v9
	s_delay_alu instid0(VALU_DEP_1)
	v_cmpx_ne_u64_e32 0, v[2:3]
	s_wait_alu 0xfffe
	s_xor_b32 s1, exec_lo, s0
	s_cbranch_execz .LBB22_24
; %bb.23:                               ;   in Loop: Header=BB22_22 Depth=2
	s_ashr_i32 s46, s45, 31
	v_ashrrev_i32_e32 v3, 31, v9
	s_wait_alu 0xfffe
	s_mov_b32 s47, s46
	s_wait_alu 0xfffe
	s_add_nc_u64 s[48:49], s[44:45], s[46:47]
	v_add_co_u32 v12, vcc_lo, v8, v3
	s_wait_alu 0xfffe
	s_xor_b64 s[48:49], s[48:49], s[46:47]
	s_wait_alu 0xfffd
	v_add_co_ci_u32_e64 v13, null, v9, v3, vcc_lo
	s_wait_alu 0xfffe
	s_cvt_f32_u32 s0, s48
	s_cvt_f32_u32 s14, s49
	s_sub_nc_u64 s[52:53], 0, s[48:49]
	v_xor_b32_e32 v18, v12, v3
	v_xor_b32_e32 v19, v13, v3
	s_wait_alu 0xfffe
	s_fmamk_f32 s0, s14, 0x4f800000, s0
	v_xor_b32_e32 v3, s46, v3
	s_wait_alu 0xfffe
	s_delay_alu instid0(SALU_CYCLE_1) | instskip(NEXT) | instid1(TRANS32_DEP_1)
	v_s_rcp_f32 s0, s0
	s_mul_f32 s0, s0, 0x5f7ffffc
	s_wait_alu 0xfffe
	s_delay_alu instid0(SALU_CYCLE_2) | instskip(SKIP_1) | instid1(SALU_CYCLE_2)
	s_mul_f32 s14, s0, 0x2f800000
	s_wait_alu 0xfffe
	s_trunc_f32 s14, s14
	s_wait_alu 0xfffe
	s_delay_alu instid0(SALU_CYCLE_2) | instskip(SKIP_2) | instid1(SALU_CYCLE_1)
	s_fmamk_f32 s0, s14, 0xcf800000, s0
	s_cvt_u32_f32 s51, s14
	s_wait_alu 0xfffe
	s_cvt_u32_f32 s50, s0
	s_wait_alu 0xfffe
	s_delay_alu instid0(SALU_CYCLE_2)
	s_mul_u64 s[54:55], s[52:53], s[50:51]
	s_wait_alu 0xfffe
	s_mul_hi_u32 s57, s50, s55
	s_mul_i32 s56, s50, s55
	s_mul_hi_u32 s14, s50, s54
	s_mul_i32 s47, s51, s54
	s_wait_alu 0xfffe
	s_add_nc_u64 s[56:57], s[14:15], s[56:57]
	s_mul_hi_u32 s0, s51, s54
	s_mul_hi_u32 s58, s51, s55
	s_wait_alu 0xfffe
	s_add_co_u32 s14, s56, s47
	s_add_co_ci_u32 s14, s57, s0
	s_mul_i32 s54, s51, s55
	s_add_co_ci_u32 s55, s58, 0
	s_wait_alu 0xfffe
	s_add_nc_u64 s[54:55], s[14:15], s[54:55]
	s_wait_alu 0xfffe
	s_add_co_u32 s50, s50, s54
	s_cselect_b32 s0, -1, 0
	s_wait_alu 0xfffe
	s_cmp_lg_u32 s0, 0
	s_add_co_ci_u32 s51, s51, s55
	s_wait_alu 0xfffe
	s_mul_u64 s[52:53], s[52:53], s[50:51]
	s_wait_alu 0xfffe
	s_mul_hi_u32 s55, s50, s53
	s_mul_i32 s54, s50, s53
	s_mul_hi_u32 s14, s50, s52
	s_mul_i32 s47, s51, s52
	s_wait_alu 0xfffe
	s_add_nc_u64 s[54:55], s[14:15], s[54:55]
	s_mul_hi_u32 s0, s51, s52
	s_mul_hi_u32 s56, s51, s53
	s_wait_alu 0xfffe
	s_add_co_u32 s14, s54, s47
	s_add_co_ci_u32 s14, s55, s0
	s_mul_i32 s52, s51, s53
	s_add_co_ci_u32 s53, s56, 0
	s_wait_alu 0xfffe
	s_add_nc_u64 s[52:53], s[14:15], s[52:53]
	s_wait_alu 0xfffe
	s_add_co_u32 s0, s50, s52
	s_cselect_b32 s14, -1, 0
	s_wait_alu 0xfffe
	v_mul_hi_u32 v24, v18, s0
	s_cmp_lg_u32 s14, 0
	v_mad_co_u64_u32 v[14:15], null, v19, s0, 0
	s_add_co_ci_u32 s14, s51, s53
	s_wait_alu 0xfffe
	v_mad_co_u64_u32 v[12:13], null, v18, s14, 0
	v_mad_co_u64_u32 v[16:17], null, v19, s14, 0
	s_delay_alu instid0(VALU_DEP_2) | instskip(SKIP_1) | instid1(VALU_DEP_3)
	v_add_co_u32 v12, vcc_lo, v24, v12
	s_wait_alu 0xfffd
	v_add_co_ci_u32_e64 v13, null, 0, v13, vcc_lo
	s_delay_alu instid0(VALU_DEP_2) | instskip(SKIP_1) | instid1(VALU_DEP_2)
	v_add_co_u32 v12, vcc_lo, v12, v14
	s_wait_alu 0xfffd
	v_add_co_ci_u32_e32 v12, vcc_lo, v13, v15, vcc_lo
	s_wait_alu 0xfffd
	v_add_co_ci_u32_e32 v13, vcc_lo, 0, v17, vcc_lo
	s_delay_alu instid0(VALU_DEP_2) | instskip(SKIP_1) | instid1(VALU_DEP_2)
	v_add_co_u32 v14, vcc_lo, v12, v16
	s_wait_alu 0xfffd
	v_add_co_ci_u32_e64 v15, null, 0, v13, vcc_lo
	s_delay_alu instid0(VALU_DEP_2) | instskip(SKIP_1) | instid1(VALU_DEP_3)
	v_mul_lo_u32 v16, s49, v14
	v_mad_co_u64_u32 v[12:13], null, s48, v14, 0
	v_mul_lo_u32 v17, s48, v15
	s_delay_alu instid0(VALU_DEP_2) | instskip(NEXT) | instid1(VALU_DEP_2)
	v_sub_co_u32 v12, vcc_lo, v18, v12
	v_add3_u32 v13, v13, v17, v16
	v_add_co_u32 v17, s0, v14, 2
	s_wait_alu 0xf1ff
	v_add_co_ci_u32_e64 v18, null, 0, v15, s0
	s_delay_alu instid0(VALU_DEP_3) | instskip(SKIP_3) | instid1(VALU_DEP_3)
	v_sub_nc_u32_e32 v16, v19, v13
	v_sub_co_u32 v24, s0, v12, s48
	s_wait_alu 0xfffd
	v_sub_co_ci_u32_e64 v13, null, v19, v13, vcc_lo
	v_subrev_co_ci_u32_e64 v16, null, s49, v16, vcc_lo
	s_delay_alu instid0(VALU_DEP_3) | instskip(SKIP_1) | instid1(VALU_DEP_2)
	v_cmp_le_u32_e32 vcc_lo, s48, v24
	s_wait_alu 0xf1ff
	v_subrev_co_ci_u32_e64 v16, null, 0, v16, s0
	s_wait_alu 0xfffd
	v_cndmask_b32_e64 v19, 0, -1, vcc_lo
	s_delay_alu instid0(VALU_DEP_2)
	v_cmp_le_u32_e32 vcc_lo, s49, v16
	s_wait_alu 0xfffd
	v_cndmask_b32_e64 v24, 0, -1, vcc_lo
	v_cmp_le_u32_e32 vcc_lo, s48, v12
	s_wait_alu 0xfffd
	v_cndmask_b32_e64 v12, 0, -1, vcc_lo
	v_cmp_le_u32_e32 vcc_lo, s49, v13
	s_wait_alu 0xfffd
	v_cndmask_b32_e64 v25, 0, -1, vcc_lo
	v_cmp_eq_u32_e32 vcc_lo, s49, v16
	s_wait_alu 0xfffd
	v_cndmask_b32_e32 v16, v24, v19, vcc_lo
	v_add_co_u32 v19, vcc_lo, v14, 1
	s_wait_alu 0xfffd
	v_add_co_ci_u32_e64 v24, null, 0, v15, vcc_lo
	v_cmp_eq_u32_e32 vcc_lo, s49, v13
	s_wait_alu 0xfffd
	v_cndmask_b32_e32 v12, v25, v12, vcc_lo
	v_cmp_ne_u32_e32 vcc_lo, 0, v16
	s_wait_alu 0xfffd
	v_cndmask_b32_e32 v13, v24, v18, vcc_lo
	s_delay_alu instid0(VALU_DEP_3) | instskip(SKIP_2) | instid1(VALU_DEP_2)
	v_cmp_ne_u32_e64 s0, 0, v12
	v_cndmask_b32_e32 v12, v19, v17, vcc_lo
	s_wait_alu 0xf1ff
	v_cndmask_b32_e64 v13, v15, v13, s0
	s_delay_alu instid0(VALU_DEP_2) | instskip(NEXT) | instid1(VALU_DEP_2)
	v_cndmask_b32_e64 v12, v14, v12, s0
	v_xor_b32_e32 v13, v13, v3
	s_delay_alu instid0(VALU_DEP_2) | instskip(NEXT) | instid1(VALU_DEP_1)
	v_xor_b32_e32 v12, v12, v3
	v_sub_co_u32 v12, vcc_lo, v12, v3
	s_wait_alu 0xfffd
	s_delay_alu instid0(VALU_DEP_3)
	v_sub_co_ci_u32_e64 v13, null, v13, v3, vcc_lo
.LBB22_24:                              ;   in Loop: Header=BB22_22 Depth=2
	s_wait_alu 0xfffe
	s_and_not1_saveexec_b32 s0, s1
	s_cbranch_execz .LBB22_26
; %bb.25:                               ;   in Loop: Header=BB22_22 Depth=2
	v_cvt_f32_u32_e32 v3, s44
	s_sub_co_i32 s1, 0, s44
	s_delay_alu instid0(VALU_DEP_1) | instskip(NEXT) | instid1(TRANS32_DEP_1)
	v_rcp_iflag_f32_e32 v3, v3
	v_mul_f32_e32 v3, 0x4f7ffffe, v3
	s_delay_alu instid0(VALU_DEP_1) | instskip(SKIP_1) | instid1(VALU_DEP_1)
	v_cvt_u32_f32_e32 v3, v3
	s_wait_alu 0xfffe
	v_mul_lo_u32 v12, s1, v3
	s_delay_alu instid0(VALU_DEP_1) | instskip(NEXT) | instid1(VALU_DEP_1)
	v_mul_hi_u32 v12, v3, v12
	v_add_nc_u32_e32 v3, v3, v12
	s_delay_alu instid0(VALU_DEP_1) | instskip(NEXT) | instid1(VALU_DEP_1)
	v_mul_hi_u32 v3, v8, v3
	v_mul_lo_u32 v12, v3, s44
	v_add_nc_u32_e32 v13, 1, v3
	s_delay_alu instid0(VALU_DEP_2) | instskip(NEXT) | instid1(VALU_DEP_1)
	v_sub_nc_u32_e32 v12, v8, v12
	v_subrev_nc_u32_e32 v14, s44, v12
	v_cmp_le_u32_e32 vcc_lo, s44, v12
	s_wait_alu 0xfffd
	s_delay_alu instid0(VALU_DEP_2) | instskip(NEXT) | instid1(VALU_DEP_1)
	v_dual_cndmask_b32 v12, v12, v14 :: v_dual_cndmask_b32 v3, v3, v13
	v_cmp_le_u32_e32 vcc_lo, s44, v12
	s_delay_alu instid0(VALU_DEP_2) | instskip(SKIP_1) | instid1(VALU_DEP_1)
	v_add_nc_u32_e32 v13, 1, v3
	s_wait_alu 0xfffd
	v_dual_cndmask_b32 v12, v3, v13 :: v_dual_mov_b32 v13, v2
.LBB22_26:                              ;   in Loop: Header=BB22_22 Depth=2
	s_wait_alu 0xfffe
	s_or_b32 exec_lo, exec_lo, s0
	s_load_b64 s[48:49], s[40:41], 0x10
	s_load_b64 s[46:47], s[38:39], 0x18
                                        ; implicit-def: $vgpr14_vgpr15
	s_mov_b32 s0, exec_lo
	s_wait_kmcnt 0x0
	v_or_b32_e32 v3, s49, v13
	s_delay_alu instid0(VALU_DEP_1)
	v_cmpx_ne_u64_e32 0, v[2:3]
	s_wait_alu 0xfffe
	s_xor_b32 s1, exec_lo, s0
	s_cbranch_execz .LBB22_28
; %bb.27:                               ;   in Loop: Header=BB22_22 Depth=2
	s_ashr_i32 s50, s49, 31
	v_ashrrev_i32_e32 v3, 31, v13
	s_wait_alu 0xfffe
	s_mov_b32 s51, s50
	s_wait_alu 0xfffe
	s_add_nc_u64 s[52:53], s[48:49], s[50:51]
	v_add_co_u32 v14, vcc_lo, v12, v3
	s_wait_alu 0xfffe
	s_xor_b64 s[52:53], s[52:53], s[50:51]
	s_wait_alu 0xfffd
	v_add_co_ci_u32_e64 v15, null, v13, v3, vcc_lo
	s_wait_alu 0xfffe
	s_cvt_f32_u32 s0, s52
	s_cvt_f32_u32 s14, s53
	s_sub_nc_u64 s[56:57], 0, s[52:53]
	v_xor_b32_e32 v24, v14, v3
	v_xor_b32_e32 v25, v15, v3
	s_wait_alu 0xfffe
	s_fmamk_f32 s0, s14, 0x4f800000, s0
	v_xor_b32_e32 v3, s50, v3
	s_wait_alu 0xfffe
	s_delay_alu instid0(SALU_CYCLE_1) | instskip(NEXT) | instid1(TRANS32_DEP_1)
	v_s_rcp_f32 s0, s0
	s_mul_f32 s0, s0, 0x5f7ffffc
	s_wait_alu 0xfffe
	s_delay_alu instid0(SALU_CYCLE_2) | instskip(SKIP_1) | instid1(SALU_CYCLE_2)
	s_mul_f32 s14, s0, 0x2f800000
	s_wait_alu 0xfffe
	s_trunc_f32 s14, s14
	s_wait_alu 0xfffe
	s_delay_alu instid0(SALU_CYCLE_2) | instskip(SKIP_2) | instid1(SALU_CYCLE_1)
	s_fmamk_f32 s0, s14, 0xcf800000, s0
	s_cvt_u32_f32 s55, s14
	s_wait_alu 0xfffe
	s_cvt_u32_f32 s54, s0
	s_wait_alu 0xfffe
	s_delay_alu instid0(SALU_CYCLE_2)
	s_mul_u64 s[58:59], s[56:57], s[54:55]
	s_wait_alu 0xfffe
	s_mul_hi_u32 s61, s54, s59
	s_mul_i32 s60, s54, s59
	s_mul_hi_u32 s14, s54, s58
	s_mul_i32 s51, s55, s58
	s_wait_alu 0xfffe
	s_add_nc_u64 s[60:61], s[14:15], s[60:61]
	s_mul_hi_u32 s0, s55, s58
	s_mul_hi_u32 s66, s55, s59
	s_wait_alu 0xfffe
	s_add_co_u32 s14, s60, s51
	s_add_co_ci_u32 s14, s61, s0
	s_mul_i32 s58, s55, s59
	s_add_co_ci_u32 s59, s66, 0
	s_wait_alu 0xfffe
	s_add_nc_u64 s[58:59], s[14:15], s[58:59]
	s_wait_alu 0xfffe
	s_add_co_u32 s54, s54, s58
	s_cselect_b32 s0, -1, 0
	s_wait_alu 0xfffe
	s_cmp_lg_u32 s0, 0
	s_add_co_ci_u32 s55, s55, s59
	s_wait_alu 0xfffe
	s_mul_u64 s[56:57], s[56:57], s[54:55]
	s_wait_alu 0xfffe
	s_mul_hi_u32 s59, s54, s57
	s_mul_i32 s58, s54, s57
	s_mul_hi_u32 s14, s54, s56
	s_mul_i32 s51, s55, s56
	s_wait_alu 0xfffe
	s_add_nc_u64 s[58:59], s[14:15], s[58:59]
	s_mul_hi_u32 s0, s55, s56
	s_mul_hi_u32 s60, s55, s57
	s_wait_alu 0xfffe
	s_add_co_u32 s14, s58, s51
	s_add_co_ci_u32 s14, s59, s0
	s_mul_i32 s56, s55, s57
	s_add_co_ci_u32 s57, s60, 0
	s_wait_alu 0xfffe
	s_add_nc_u64 s[56:57], s[14:15], s[56:57]
	s_wait_alu 0xfffe
	s_add_co_u32 s0, s54, s56
	s_cselect_b32 s14, -1, 0
	s_wait_alu 0xfffe
	v_mul_hi_u32 v26, v24, s0
	s_cmp_lg_u32 s14, 0
	v_mad_co_u64_u32 v[16:17], null, v25, s0, 0
	s_add_co_ci_u32 s14, s55, s57
	s_wait_alu 0xfffe
	v_mad_co_u64_u32 v[14:15], null, v24, s14, 0
	v_mad_co_u64_u32 v[18:19], null, v25, s14, 0
	s_delay_alu instid0(VALU_DEP_2) | instskip(SKIP_1) | instid1(VALU_DEP_3)
	v_add_co_u32 v14, vcc_lo, v26, v14
	s_wait_alu 0xfffd
	v_add_co_ci_u32_e64 v15, null, 0, v15, vcc_lo
	s_delay_alu instid0(VALU_DEP_2) | instskip(SKIP_1) | instid1(VALU_DEP_2)
	v_add_co_u32 v14, vcc_lo, v14, v16
	s_wait_alu 0xfffd
	v_add_co_ci_u32_e32 v14, vcc_lo, v15, v17, vcc_lo
	s_wait_alu 0xfffd
	v_add_co_ci_u32_e32 v15, vcc_lo, 0, v19, vcc_lo
	s_delay_alu instid0(VALU_DEP_2) | instskip(SKIP_1) | instid1(VALU_DEP_2)
	v_add_co_u32 v16, vcc_lo, v14, v18
	s_wait_alu 0xfffd
	v_add_co_ci_u32_e64 v17, null, 0, v15, vcc_lo
	s_delay_alu instid0(VALU_DEP_2) | instskip(SKIP_1) | instid1(VALU_DEP_3)
	v_mul_lo_u32 v18, s53, v16
	v_mad_co_u64_u32 v[14:15], null, s52, v16, 0
	v_mul_lo_u32 v19, s52, v17
	s_delay_alu instid0(VALU_DEP_2) | instskip(NEXT) | instid1(VALU_DEP_2)
	v_sub_co_u32 v14, vcc_lo, v24, v14
	v_add3_u32 v15, v15, v19, v18
	v_add_co_u32 v19, s0, v16, 2
	s_wait_alu 0xf1ff
	v_add_co_ci_u32_e64 v24, null, 0, v17, s0
	s_delay_alu instid0(VALU_DEP_3) | instskip(SKIP_3) | instid1(VALU_DEP_3)
	v_sub_nc_u32_e32 v18, v25, v15
	v_sub_co_u32 v26, s0, v14, s52
	s_wait_alu 0xfffd
	v_sub_co_ci_u32_e64 v15, null, v25, v15, vcc_lo
	v_subrev_co_ci_u32_e64 v18, null, s53, v18, vcc_lo
	s_delay_alu instid0(VALU_DEP_3) | instskip(SKIP_1) | instid1(VALU_DEP_2)
	v_cmp_le_u32_e32 vcc_lo, s52, v26
	s_wait_alu 0xf1ff
	v_subrev_co_ci_u32_e64 v18, null, 0, v18, s0
	s_wait_alu 0xfffd
	v_cndmask_b32_e64 v25, 0, -1, vcc_lo
	s_delay_alu instid0(VALU_DEP_2)
	v_cmp_le_u32_e32 vcc_lo, s53, v18
	s_wait_alu 0xfffd
	v_cndmask_b32_e64 v26, 0, -1, vcc_lo
	v_cmp_le_u32_e32 vcc_lo, s52, v14
	s_wait_alu 0xfffd
	v_cndmask_b32_e64 v14, 0, -1, vcc_lo
	;; [unrolled: 3-line block ×3, first 2 shown]
	v_cmp_eq_u32_e32 vcc_lo, s53, v18
	s_wait_alu 0xfffd
	v_cndmask_b32_e32 v18, v26, v25, vcc_lo
	v_add_co_u32 v25, vcc_lo, v16, 1
	s_wait_alu 0xfffd
	v_add_co_ci_u32_e64 v26, null, 0, v17, vcc_lo
	v_cmp_eq_u32_e32 vcc_lo, s53, v15
	s_wait_alu 0xfffd
	v_cndmask_b32_e32 v14, v27, v14, vcc_lo
	v_cmp_ne_u32_e32 vcc_lo, 0, v18
	s_wait_alu 0xfffd
	v_cndmask_b32_e32 v15, v26, v24, vcc_lo
	s_delay_alu instid0(VALU_DEP_3) | instskip(SKIP_2) | instid1(VALU_DEP_2)
	v_cmp_ne_u32_e64 s0, 0, v14
	v_cndmask_b32_e32 v14, v25, v19, vcc_lo
	s_wait_alu 0xf1ff
	v_cndmask_b32_e64 v15, v17, v15, s0
	s_delay_alu instid0(VALU_DEP_2) | instskip(NEXT) | instid1(VALU_DEP_2)
	v_cndmask_b32_e64 v14, v16, v14, s0
	v_xor_b32_e32 v15, v15, v3
	s_delay_alu instid0(VALU_DEP_2) | instskip(NEXT) | instid1(VALU_DEP_1)
	v_xor_b32_e32 v14, v14, v3
	v_sub_co_u32 v14, vcc_lo, v14, v3
	s_wait_alu 0xfffd
	s_delay_alu instid0(VALU_DEP_3)
	v_sub_co_ci_u32_e64 v15, null, v15, v3, vcc_lo
.LBB22_28:                              ;   in Loop: Header=BB22_22 Depth=2
	s_wait_alu 0xfffe
	s_and_not1_saveexec_b32 s0, s1
	s_cbranch_execz .LBB22_30
; %bb.29:                               ;   in Loop: Header=BB22_22 Depth=2
	v_cvt_f32_u32_e32 v3, s48
	s_sub_co_i32 s1, 0, s48
	s_delay_alu instid0(VALU_DEP_1) | instskip(NEXT) | instid1(TRANS32_DEP_1)
	v_rcp_iflag_f32_e32 v3, v3
	v_mul_f32_e32 v3, 0x4f7ffffe, v3
	s_delay_alu instid0(VALU_DEP_1) | instskip(SKIP_1) | instid1(VALU_DEP_1)
	v_cvt_u32_f32_e32 v3, v3
	s_wait_alu 0xfffe
	v_mul_lo_u32 v14, s1, v3
	s_delay_alu instid0(VALU_DEP_1) | instskip(NEXT) | instid1(VALU_DEP_1)
	v_mul_hi_u32 v14, v3, v14
	v_add_nc_u32_e32 v3, v3, v14
	s_delay_alu instid0(VALU_DEP_1) | instskip(NEXT) | instid1(VALU_DEP_1)
	v_mul_hi_u32 v3, v12, v3
	v_mul_lo_u32 v14, v3, s48
	v_add_nc_u32_e32 v15, 1, v3
	s_delay_alu instid0(VALU_DEP_2) | instskip(NEXT) | instid1(VALU_DEP_1)
	v_sub_nc_u32_e32 v14, v12, v14
	v_subrev_nc_u32_e32 v16, s48, v14
	v_cmp_le_u32_e32 vcc_lo, s48, v14
	s_wait_alu 0xfffd
	s_delay_alu instid0(VALU_DEP_2) | instskip(NEXT) | instid1(VALU_DEP_1)
	v_dual_cndmask_b32 v14, v14, v16 :: v_dual_cndmask_b32 v3, v3, v15
	v_cmp_le_u32_e32 vcc_lo, s48, v14
	s_delay_alu instid0(VALU_DEP_2) | instskip(SKIP_1) | instid1(VALU_DEP_1)
	v_add_nc_u32_e32 v15, 1, v3
	s_wait_alu 0xfffd
	v_dual_cndmask_b32 v14, v3, v15 :: v_dual_mov_b32 v15, v2
.LBB22_30:                              ;   in Loop: Header=BB22_22 Depth=2
	s_wait_alu 0xfffe
	s_or_b32 exec_lo, exec_lo, s0
	s_load_b64 s[52:53], s[40:41], 0x8
	s_load_b64 s[50:51], s[38:39], 0x10
                                        ; implicit-def: $vgpr16_vgpr17
	s_mov_b32 s0, exec_lo
	s_wait_kmcnt 0x0
	v_or_b32_e32 v3, s53, v15
	s_delay_alu instid0(VALU_DEP_1)
	v_cmpx_ne_u64_e32 0, v[2:3]
	s_wait_alu 0xfffe
	s_xor_b32 s1, exec_lo, s0
	s_cbranch_execz .LBB22_32
; %bb.31:                               ;   in Loop: Header=BB22_22 Depth=2
	s_ashr_i32 s54, s53, 31
	v_ashrrev_i32_e32 v3, 31, v15
	s_wait_alu 0xfffe
	s_mov_b32 s55, s54
	s_wait_alu 0xfffe
	s_add_nc_u64 s[56:57], s[52:53], s[54:55]
	v_add_co_u32 v16, vcc_lo, v14, v3
	s_wait_alu 0xfffe
	s_xor_b64 s[56:57], s[56:57], s[54:55]
	s_wait_alu 0xfffd
	v_add_co_ci_u32_e64 v17, null, v15, v3, vcc_lo
	s_wait_alu 0xfffe
	s_cvt_f32_u32 s0, s56
	s_cvt_f32_u32 s14, s57
	s_sub_nc_u64 s[60:61], 0, s[56:57]
	v_xor_b32_e32 v26, v16, v3
	v_xor_b32_e32 v27, v17, v3
	s_wait_alu 0xfffe
	s_fmamk_f32 s0, s14, 0x4f800000, s0
	v_xor_b32_e32 v3, s54, v3
	s_wait_alu 0xfffe
	s_delay_alu instid0(SALU_CYCLE_1) | instskip(NEXT) | instid1(TRANS32_DEP_1)
	v_s_rcp_f32 s0, s0
	s_mul_f32 s0, s0, 0x5f7ffffc
	s_wait_alu 0xfffe
	s_delay_alu instid0(SALU_CYCLE_2) | instskip(SKIP_1) | instid1(SALU_CYCLE_2)
	s_mul_f32 s14, s0, 0x2f800000
	s_wait_alu 0xfffe
	s_trunc_f32 s14, s14
	s_wait_alu 0xfffe
	s_delay_alu instid0(SALU_CYCLE_2) | instskip(SKIP_2) | instid1(SALU_CYCLE_1)
	s_fmamk_f32 s0, s14, 0xcf800000, s0
	s_cvt_u32_f32 s59, s14
	s_wait_alu 0xfffe
	s_cvt_u32_f32 s58, s0
	s_wait_alu 0xfffe
	s_delay_alu instid0(SALU_CYCLE_2) | instskip(NEXT) | instid1(SALU_CYCLE_1)
	s_mul_u64 s[66:67], s[60:61], s[58:59]
	s_mul_hi_u32 s69, s58, s67
	s_mul_i32 s68, s58, s67
	s_mul_hi_u32 s14, s58, s66
	s_mul_i32 s55, s59, s66
	s_wait_alu 0xfffe
	s_add_nc_u64 s[68:69], s[14:15], s[68:69]
	s_mul_hi_u32 s0, s59, s66
	s_mul_hi_u32 s70, s59, s67
	s_add_co_u32 s14, s68, s55
	s_wait_alu 0xfffe
	s_add_co_ci_u32 s14, s69, s0
	s_mul_i32 s66, s59, s67
	s_add_co_ci_u32 s67, s70, 0
	s_wait_alu 0xfffe
	s_add_nc_u64 s[66:67], s[14:15], s[66:67]
	s_delay_alu instid0(SALU_CYCLE_1)
	s_add_co_u32 s58, s58, s66
	s_cselect_b32 s0, -1, 0
	s_wait_alu 0xfffe
	s_cmp_lg_u32 s0, 0
	s_add_co_ci_u32 s59, s59, s67
	s_wait_alu 0xfffe
	s_mul_u64 s[60:61], s[60:61], s[58:59]
	s_wait_alu 0xfffe
	s_mul_hi_u32 s67, s58, s61
	s_mul_i32 s66, s58, s61
	s_mul_hi_u32 s14, s58, s60
	s_mul_i32 s55, s59, s60
	s_wait_alu 0xfffe
	s_add_nc_u64 s[66:67], s[14:15], s[66:67]
	s_mul_hi_u32 s0, s59, s60
	s_mul_hi_u32 s68, s59, s61
	s_add_co_u32 s14, s66, s55
	s_wait_alu 0xfffe
	s_add_co_ci_u32 s14, s67, s0
	s_mul_i32 s60, s59, s61
	s_add_co_ci_u32 s61, s68, 0
	s_wait_alu 0xfffe
	s_add_nc_u64 s[60:61], s[14:15], s[60:61]
	s_wait_alu 0xfffe
	s_add_co_u32 s0, s58, s60
	s_cselect_b32 s14, -1, 0
	s_wait_alu 0xfffe
	v_mul_hi_u32 v28, v26, s0
	s_cmp_lg_u32 s14, 0
	v_mad_co_u64_u32 v[18:19], null, v27, s0, 0
	s_add_co_ci_u32 s14, s59, s61
	s_wait_alu 0xfffe
	v_mad_co_u64_u32 v[16:17], null, v26, s14, 0
	v_mad_co_u64_u32 v[24:25], null, v27, s14, 0
	s_delay_alu instid0(VALU_DEP_2) | instskip(SKIP_1) | instid1(VALU_DEP_3)
	v_add_co_u32 v16, vcc_lo, v28, v16
	s_wait_alu 0xfffd
	v_add_co_ci_u32_e64 v17, null, 0, v17, vcc_lo
	s_delay_alu instid0(VALU_DEP_2) | instskip(SKIP_1) | instid1(VALU_DEP_2)
	v_add_co_u32 v16, vcc_lo, v16, v18
	s_wait_alu 0xfffd
	v_add_co_ci_u32_e32 v16, vcc_lo, v17, v19, vcc_lo
	s_wait_alu 0xfffd
	v_add_co_ci_u32_e32 v17, vcc_lo, 0, v25, vcc_lo
	s_delay_alu instid0(VALU_DEP_2) | instskip(SKIP_1) | instid1(VALU_DEP_2)
	v_add_co_u32 v18, vcc_lo, v16, v24
	s_wait_alu 0xfffd
	v_add_co_ci_u32_e64 v19, null, 0, v17, vcc_lo
	s_delay_alu instid0(VALU_DEP_2) | instskip(SKIP_1) | instid1(VALU_DEP_3)
	v_mul_lo_u32 v24, s57, v18
	v_mad_co_u64_u32 v[16:17], null, s56, v18, 0
	v_mul_lo_u32 v25, s56, v19
	s_delay_alu instid0(VALU_DEP_2) | instskip(NEXT) | instid1(VALU_DEP_2)
	v_sub_co_u32 v16, vcc_lo, v26, v16
	v_add3_u32 v17, v17, v25, v24
	v_add_co_u32 v25, s0, v18, 2
	s_wait_alu 0xf1ff
	v_add_co_ci_u32_e64 v26, null, 0, v19, s0
	s_delay_alu instid0(VALU_DEP_3) | instskip(SKIP_3) | instid1(VALU_DEP_3)
	v_sub_nc_u32_e32 v24, v27, v17
	v_sub_co_u32 v28, s0, v16, s56
	s_wait_alu 0xfffd
	v_sub_co_ci_u32_e64 v17, null, v27, v17, vcc_lo
	v_subrev_co_ci_u32_e64 v24, null, s57, v24, vcc_lo
	s_delay_alu instid0(VALU_DEP_3) | instskip(SKIP_1) | instid1(VALU_DEP_2)
	v_cmp_le_u32_e32 vcc_lo, s56, v28
	s_wait_alu 0xf1ff
	v_subrev_co_ci_u32_e64 v24, null, 0, v24, s0
	s_wait_alu 0xfffd
	v_cndmask_b32_e64 v27, 0, -1, vcc_lo
	s_delay_alu instid0(VALU_DEP_2)
	v_cmp_le_u32_e32 vcc_lo, s57, v24
	s_wait_alu 0xfffd
	v_cndmask_b32_e64 v28, 0, -1, vcc_lo
	v_cmp_le_u32_e32 vcc_lo, s56, v16
	s_wait_alu 0xfffd
	v_cndmask_b32_e64 v16, 0, -1, vcc_lo
	v_cmp_le_u32_e32 vcc_lo, s57, v17
	s_wait_alu 0xfffd
	v_cndmask_b32_e64 v29, 0, -1, vcc_lo
	v_cmp_eq_u32_e32 vcc_lo, s57, v24
	s_wait_alu 0xfffd
	v_cndmask_b32_e32 v24, v28, v27, vcc_lo
	v_add_co_u32 v27, vcc_lo, v18, 1
	s_wait_alu 0xfffd
	v_add_co_ci_u32_e64 v28, null, 0, v19, vcc_lo
	v_cmp_eq_u32_e32 vcc_lo, s57, v17
	s_wait_alu 0xfffd
	v_cndmask_b32_e32 v16, v29, v16, vcc_lo
	v_cmp_ne_u32_e32 vcc_lo, 0, v24
	s_wait_alu 0xfffd
	v_cndmask_b32_e32 v17, v28, v26, vcc_lo
	s_delay_alu instid0(VALU_DEP_3) | instskip(SKIP_2) | instid1(VALU_DEP_2)
	v_cmp_ne_u32_e64 s0, 0, v16
	v_cndmask_b32_e32 v16, v27, v25, vcc_lo
	s_wait_alu 0xf1ff
	v_cndmask_b32_e64 v17, v19, v17, s0
	s_delay_alu instid0(VALU_DEP_2) | instskip(NEXT) | instid1(VALU_DEP_2)
	v_cndmask_b32_e64 v16, v18, v16, s0
	v_xor_b32_e32 v17, v17, v3
	s_delay_alu instid0(VALU_DEP_2) | instskip(NEXT) | instid1(VALU_DEP_1)
	v_xor_b32_e32 v16, v16, v3
	v_sub_co_u32 v16, vcc_lo, v16, v3
	s_wait_alu 0xfffd
	s_delay_alu instid0(VALU_DEP_3)
	v_sub_co_ci_u32_e64 v17, null, v17, v3, vcc_lo
.LBB22_32:                              ;   in Loop: Header=BB22_22 Depth=2
	s_wait_alu 0xfffe
	s_and_not1_saveexec_b32 s0, s1
	s_cbranch_execz .LBB22_34
; %bb.33:                               ;   in Loop: Header=BB22_22 Depth=2
	v_cvt_f32_u32_e32 v3, s52
	s_sub_co_i32 s1, 0, s52
	s_delay_alu instid0(VALU_DEP_1) | instskip(NEXT) | instid1(TRANS32_DEP_1)
	v_rcp_iflag_f32_e32 v3, v3
	v_mul_f32_e32 v3, 0x4f7ffffe, v3
	s_delay_alu instid0(VALU_DEP_1) | instskip(SKIP_1) | instid1(VALU_DEP_1)
	v_cvt_u32_f32_e32 v3, v3
	s_wait_alu 0xfffe
	v_mul_lo_u32 v16, s1, v3
	s_delay_alu instid0(VALU_DEP_1) | instskip(NEXT) | instid1(VALU_DEP_1)
	v_mul_hi_u32 v16, v3, v16
	v_add_nc_u32_e32 v3, v3, v16
	s_delay_alu instid0(VALU_DEP_1) | instskip(NEXT) | instid1(VALU_DEP_1)
	v_mul_hi_u32 v3, v14, v3
	v_mul_lo_u32 v16, v3, s52
	v_add_nc_u32_e32 v17, 1, v3
	s_delay_alu instid0(VALU_DEP_2) | instskip(NEXT) | instid1(VALU_DEP_1)
	v_sub_nc_u32_e32 v16, v14, v16
	v_subrev_nc_u32_e32 v18, s52, v16
	v_cmp_le_u32_e32 vcc_lo, s52, v16
	s_wait_alu 0xfffd
	s_delay_alu instid0(VALU_DEP_2) | instskip(NEXT) | instid1(VALU_DEP_1)
	v_dual_cndmask_b32 v16, v16, v18 :: v_dual_cndmask_b32 v3, v3, v17
	v_cmp_le_u32_e32 vcc_lo, s52, v16
	s_delay_alu instid0(VALU_DEP_2) | instskip(SKIP_1) | instid1(VALU_DEP_1)
	v_add_nc_u32_e32 v17, 1, v3
	s_wait_alu 0xfffd
	v_dual_cndmask_b32 v16, v3, v17 :: v_dual_mov_b32 v17, v2
.LBB22_34:                              ;   in Loop: Header=BB22_22 Depth=2
	s_wait_alu 0xfffe
	s_or_b32 exec_lo, exec_lo, s0
	s_load_b64 s[56:57], s[40:41], 0x0
	s_load_b64 s[54:55], s[38:39], 0x8
                                        ; implicit-def: $vgpr18_vgpr19
	s_mov_b32 s0, exec_lo
	s_wait_kmcnt 0x0
	v_or_b32_e32 v3, s57, v17
	s_delay_alu instid0(VALU_DEP_1)
	v_cmpx_ne_u64_e32 0, v[2:3]
	s_wait_alu 0xfffe
	s_xor_b32 s1, exec_lo, s0
	s_cbranch_execz .LBB22_36
; %bb.35:                               ;   in Loop: Header=BB22_22 Depth=2
	s_ashr_i32 s58, s57, 31
	v_ashrrev_i32_e32 v3, 31, v17
	s_wait_alu 0xfffe
	s_mov_b32 s59, s58
	s_wait_alu 0xfffe
	s_add_nc_u64 s[60:61], s[56:57], s[58:59]
	v_add_co_u32 v18, vcc_lo, v16, v3
	s_wait_alu 0xfffe
	s_xor_b64 s[60:61], s[60:61], s[58:59]
	s_wait_alu 0xfffd
	v_add_co_ci_u32_e64 v19, null, v17, v3, vcc_lo
	s_wait_alu 0xfffe
	s_cvt_f32_u32 s0, s60
	s_cvt_f32_u32 s14, s61
	s_sub_nc_u64 s[68:69], 0, s[60:61]
	v_xor_b32_e32 v28, v18, v3
	v_xor_b32_e32 v29, v19, v3
	s_wait_alu 0xfffe
	s_fmamk_f32 s0, s14, 0x4f800000, s0
	v_xor_b32_e32 v3, s58, v3
	s_wait_alu 0xfffe
	s_delay_alu instid0(SALU_CYCLE_1) | instskip(NEXT) | instid1(TRANS32_DEP_1)
	v_s_rcp_f32 s0, s0
	s_mul_f32 s0, s0, 0x5f7ffffc
	s_wait_alu 0xfffe
	s_delay_alu instid0(SALU_CYCLE_2) | instskip(SKIP_1) | instid1(SALU_CYCLE_2)
	s_mul_f32 s14, s0, 0x2f800000
	s_wait_alu 0xfffe
	s_trunc_f32 s14, s14
	s_wait_alu 0xfffe
	s_delay_alu instid0(SALU_CYCLE_2) | instskip(SKIP_2) | instid1(SALU_CYCLE_1)
	s_fmamk_f32 s0, s14, 0xcf800000, s0
	s_cvt_u32_f32 s67, s14
	s_wait_alu 0xfffe
	s_cvt_u32_f32 s66, s0
	s_delay_alu instid0(SALU_CYCLE_3) | instskip(NEXT) | instid1(SALU_CYCLE_1)
	s_mul_u64 s[70:71], s[68:69], s[66:67]
	s_mul_hi_u32 s73, s66, s71
	s_mul_i32 s72, s66, s71
	s_mul_hi_u32 s14, s66, s70
	s_mul_i32 s59, s67, s70
	s_wait_alu 0xfffe
	s_add_nc_u64 s[72:73], s[14:15], s[72:73]
	s_mul_hi_u32 s0, s67, s70
	s_mul_hi_u32 s74, s67, s71
	s_add_co_u32 s14, s72, s59
	s_wait_alu 0xfffe
	s_add_co_ci_u32 s14, s73, s0
	s_mul_i32 s70, s67, s71
	s_add_co_ci_u32 s71, s74, 0
	s_wait_alu 0xfffe
	s_add_nc_u64 s[70:71], s[14:15], s[70:71]
	s_delay_alu instid0(SALU_CYCLE_1) | instskip(SKIP_4) | instid1(SALU_CYCLE_1)
	s_add_co_u32 s66, s66, s70
	s_cselect_b32 s0, -1, 0
	s_wait_alu 0xfffe
	s_cmp_lg_u32 s0, 0
	s_add_co_ci_u32 s67, s67, s71
	s_mul_u64 s[68:69], s[68:69], s[66:67]
	s_delay_alu instid0(SALU_CYCLE_1)
	s_mul_hi_u32 s71, s66, s69
	s_mul_i32 s70, s66, s69
	s_mul_hi_u32 s14, s66, s68
	s_mul_i32 s59, s67, s68
	s_wait_alu 0xfffe
	s_add_nc_u64 s[70:71], s[14:15], s[70:71]
	s_mul_hi_u32 s0, s67, s68
	s_mul_hi_u32 s72, s67, s69
	s_add_co_u32 s14, s70, s59
	s_wait_alu 0xfffe
	s_add_co_ci_u32 s14, s71, s0
	s_mul_i32 s68, s67, s69
	s_add_co_ci_u32 s69, s72, 0
	s_wait_alu 0xfffe
	s_add_nc_u64 s[68:69], s[14:15], s[68:69]
	s_delay_alu instid0(SALU_CYCLE_1)
	s_add_co_u32 s0, s66, s68
	s_cselect_b32 s14, -1, 0
	s_wait_alu 0xfffe
	v_mul_hi_u32 v30, v28, s0
	s_cmp_lg_u32 s14, 0
	v_mad_co_u64_u32 v[24:25], null, v29, s0, 0
	s_add_co_ci_u32 s14, s67, s69
	s_wait_alu 0xfffe
	v_mad_co_u64_u32 v[18:19], null, v28, s14, 0
	v_mad_co_u64_u32 v[26:27], null, v29, s14, 0
	s_delay_alu instid0(VALU_DEP_2) | instskip(SKIP_1) | instid1(VALU_DEP_3)
	v_add_co_u32 v18, vcc_lo, v30, v18
	s_wait_alu 0xfffd
	v_add_co_ci_u32_e64 v19, null, 0, v19, vcc_lo
	s_delay_alu instid0(VALU_DEP_2) | instskip(SKIP_1) | instid1(VALU_DEP_2)
	v_add_co_u32 v18, vcc_lo, v18, v24
	s_wait_alu 0xfffd
	v_add_co_ci_u32_e32 v18, vcc_lo, v19, v25, vcc_lo
	s_wait_alu 0xfffd
	v_add_co_ci_u32_e32 v19, vcc_lo, 0, v27, vcc_lo
	s_delay_alu instid0(VALU_DEP_2) | instskip(SKIP_1) | instid1(VALU_DEP_2)
	v_add_co_u32 v24, vcc_lo, v18, v26
	s_wait_alu 0xfffd
	v_add_co_ci_u32_e64 v25, null, 0, v19, vcc_lo
	s_delay_alu instid0(VALU_DEP_2) | instskip(SKIP_1) | instid1(VALU_DEP_3)
	v_mul_lo_u32 v26, s61, v24
	v_mad_co_u64_u32 v[18:19], null, s60, v24, 0
	v_mul_lo_u32 v27, s60, v25
	s_delay_alu instid0(VALU_DEP_2) | instskip(NEXT) | instid1(VALU_DEP_2)
	v_sub_co_u32 v18, vcc_lo, v28, v18
	v_add3_u32 v19, v19, v27, v26
	v_add_co_u32 v27, s0, v24, 2
	s_wait_alu 0xf1ff
	v_add_co_ci_u32_e64 v28, null, 0, v25, s0
	s_delay_alu instid0(VALU_DEP_3) | instskip(SKIP_3) | instid1(VALU_DEP_3)
	v_sub_nc_u32_e32 v26, v29, v19
	v_sub_co_u32 v30, s0, v18, s60
	s_wait_alu 0xfffd
	v_sub_co_ci_u32_e64 v19, null, v29, v19, vcc_lo
	v_subrev_co_ci_u32_e64 v26, null, s61, v26, vcc_lo
	s_delay_alu instid0(VALU_DEP_3) | instskip(SKIP_1) | instid1(VALU_DEP_2)
	v_cmp_le_u32_e32 vcc_lo, s60, v30
	s_wait_alu 0xf1ff
	v_subrev_co_ci_u32_e64 v26, null, 0, v26, s0
	s_wait_alu 0xfffd
	v_cndmask_b32_e64 v29, 0, -1, vcc_lo
	s_delay_alu instid0(VALU_DEP_2)
	v_cmp_le_u32_e32 vcc_lo, s61, v26
	s_wait_alu 0xfffd
	v_cndmask_b32_e64 v30, 0, -1, vcc_lo
	v_cmp_le_u32_e32 vcc_lo, s60, v18
	s_wait_alu 0xfffd
	v_cndmask_b32_e64 v18, 0, -1, vcc_lo
	;; [unrolled: 3-line block ×3, first 2 shown]
	v_cmp_eq_u32_e32 vcc_lo, s61, v26
	s_wait_alu 0xfffd
	v_cndmask_b32_e32 v26, v30, v29, vcc_lo
	v_add_co_u32 v29, vcc_lo, v24, 1
	s_wait_alu 0xfffd
	v_add_co_ci_u32_e64 v30, null, 0, v25, vcc_lo
	v_cmp_eq_u32_e32 vcc_lo, s61, v19
	s_wait_alu 0xfffd
	v_cndmask_b32_e32 v18, v31, v18, vcc_lo
	v_cmp_ne_u32_e32 vcc_lo, 0, v26
	s_wait_alu 0xfffd
	v_cndmask_b32_e32 v19, v30, v28, vcc_lo
	s_delay_alu instid0(VALU_DEP_3) | instskip(SKIP_2) | instid1(VALU_DEP_2)
	v_cmp_ne_u32_e64 s0, 0, v18
	v_cndmask_b32_e32 v18, v29, v27, vcc_lo
	s_wait_alu 0xf1ff
	v_cndmask_b32_e64 v19, v25, v19, s0
	s_delay_alu instid0(VALU_DEP_2) | instskip(NEXT) | instid1(VALU_DEP_2)
	v_cndmask_b32_e64 v18, v24, v18, s0
	v_xor_b32_e32 v19, v19, v3
	s_delay_alu instid0(VALU_DEP_2) | instskip(NEXT) | instid1(VALU_DEP_1)
	v_xor_b32_e32 v18, v18, v3
	v_sub_co_u32 v18, vcc_lo, v18, v3
	s_wait_alu 0xfffd
	s_delay_alu instid0(VALU_DEP_3)
	v_sub_co_ci_u32_e64 v19, null, v19, v3, vcc_lo
.LBB22_36:                              ;   in Loop: Header=BB22_22 Depth=2
	s_wait_alu 0xfffe
	s_and_not1_saveexec_b32 s0, s1
	s_cbranch_execz .LBB22_21
; %bb.37:                               ;   in Loop: Header=BB22_22 Depth=2
	v_cvt_f32_u32_e32 v3, s56
	s_sub_co_i32 s1, 0, s56
	s_delay_alu instid0(VALU_DEP_1) | instskip(NEXT) | instid1(TRANS32_DEP_1)
	v_rcp_iflag_f32_e32 v3, v3
	v_mul_f32_e32 v3, 0x4f7ffffe, v3
	s_delay_alu instid0(VALU_DEP_1) | instskip(SKIP_1) | instid1(VALU_DEP_1)
	v_cvt_u32_f32_e32 v3, v3
	s_wait_alu 0xfffe
	v_mul_lo_u32 v18, s1, v3
	s_delay_alu instid0(VALU_DEP_1) | instskip(NEXT) | instid1(VALU_DEP_1)
	v_mul_hi_u32 v18, v3, v18
	v_add_nc_u32_e32 v3, v3, v18
	s_delay_alu instid0(VALU_DEP_1) | instskip(NEXT) | instid1(VALU_DEP_1)
	v_mul_hi_u32 v3, v16, v3
	v_mul_lo_u32 v18, v3, s56
	v_add_nc_u32_e32 v19, 1, v3
	s_delay_alu instid0(VALU_DEP_2) | instskip(NEXT) | instid1(VALU_DEP_1)
	v_sub_nc_u32_e32 v18, v16, v18
	v_subrev_nc_u32_e32 v24, s56, v18
	v_cmp_le_u32_e32 vcc_lo, s56, v18
	s_wait_alu 0xfffd
	s_delay_alu instid0(VALU_DEP_2) | instskip(NEXT) | instid1(VALU_DEP_1)
	v_dual_cndmask_b32 v18, v18, v24 :: v_dual_cndmask_b32 v3, v3, v19
	v_cmp_le_u32_e32 vcc_lo, s56, v18
	s_delay_alu instid0(VALU_DEP_2) | instskip(SKIP_1) | instid1(VALU_DEP_1)
	v_add_nc_u32_e32 v19, 1, v3
	s_wait_alu 0xfffd
	v_dual_cndmask_b32 v18, v3, v19 :: v_dual_mov_b32 v19, v2
	s_branch .LBB22_21
.LBB22_38:                              ;   in Loop: Header=BB22_3 Depth=1
	s_load_b64 s[38:39], s[24:25], 0x0
	s_wait_kmcnt 0x0
	v_cmp_gt_i64_e32 vcc_lo, s[38:39], v[4:5]
	s_and_b32 exec_lo, exec_lo, vcc_lo
	s_cbranch_execz .LBB22_2
; %bb.39:                               ;   in Loop: Header=BB22_3 Depth=1
	v_lshlrev_b64_e32 v[8:9], 3, v[10:11]
	v_cmp_lt_i64_e32 vcc_lo, s[4:5], v[6:7]
	s_delay_alu instid0(VALU_DEP_2) | instskip(SKIP_1) | instid1(VALU_DEP_3)
	v_add_co_u32 v6, s0, s10, v8
	s_wait_alu 0xf1ff
	v_add_co_ci_u32_e64 v7, null, s11, v9, s0
	s_and_saveexec_b32 s0, vcc_lo
	s_cbranch_execz .LBB22_41
; %bb.40:                               ;   in Loop: Header=BB22_3 Depth=1
	v_mov_b32_e32 v3, v2
	global_store_b64 v[6:7], v[2:3], off
.LBB22_41:                              ;   in Loop: Header=BB22_3 Depth=1
	s_wait_alu 0xfffe
	s_or_b32 exec_lo, exec_lo, s0
	v_add_co_u32 v3, vcc_lo, v4, 1
	s_wait_alu 0xfffd
	v_add_co_ci_u32_e64 v4, null, 0, v5, vcc_lo
	s_delay_alu instid0(VALU_DEP_2) | instskip(SKIP_1) | instid1(VALU_DEP_2)
	v_sub_co_u32 v8, vcc_lo, v3, v22
	s_wait_alu 0xfffd
	v_sub_co_ci_u32_e64 v9, null, v4, v23, vcc_lo
	v_cmp_gt_i64_e32 vcc_lo, s[38:39], v[3:4]
	s_delay_alu instid0(VALU_DEP_2)
	v_cmp_lt_i64_e64 s0, s[4:5], v[8:9]
	s_and_b32 s0, vcc_lo, s0
	s_wait_alu 0xfffe
	s_and_b32 exec_lo, exec_lo, s0
	s_cbranch_execz .LBB22_2
; %bb.42:                               ;   in Loop: Header=BB22_3 Depth=1
	s_lshl_b64 s[0:1], s[2:3], 3
	v_mov_b32_e32 v3, v2
	s_wait_alu 0xfffe
	v_add_co_u32 v4, vcc_lo, v6, s0
	s_wait_alu 0xfffd
	v_add_co_ci_u32_e64 v5, null, s1, v7, vcc_lo
	global_store_b64 v[4:5], v[2:3], off
	s_branch .LBB22_2
.LBB22_43:
	s_endpgm
	.section	.rodata,"a",@progbits
	.p2align	6, 0x0
	.amdhsa_kernel _ZN2at6native16triu_tril_kernelIdlLb0ELi2ELb1EEEvNS_4cuda6detail10TensorInfoIT_T0_EENS4_IKS5_S6_EEllS6_
		.amdhsa_group_segment_fixed_size 0
		.amdhsa_private_segment_fixed_size 0
		.amdhsa_kernarg_size 1112
		.amdhsa_user_sgpr_count 2
		.amdhsa_user_sgpr_dispatch_ptr 0
		.amdhsa_user_sgpr_queue_ptr 0
		.amdhsa_user_sgpr_kernarg_segment_ptr 1
		.amdhsa_user_sgpr_dispatch_id 0
		.amdhsa_user_sgpr_private_segment_size 0
		.amdhsa_wavefront_size32 1
		.amdhsa_uses_dynamic_stack 0
		.amdhsa_enable_private_segment 0
		.amdhsa_system_sgpr_workgroup_id_x 1
		.amdhsa_system_sgpr_workgroup_id_y 0
		.amdhsa_system_sgpr_workgroup_id_z 0
		.amdhsa_system_sgpr_workgroup_info 0
		.amdhsa_system_vgpr_workitem_id 0
		.amdhsa_next_free_vgpr 32
		.amdhsa_next_free_sgpr 75
		.amdhsa_reserve_vcc 1
		.amdhsa_float_round_mode_32 0
		.amdhsa_float_round_mode_16_64 0
		.amdhsa_float_denorm_mode_32 3
		.amdhsa_float_denorm_mode_16_64 3
		.amdhsa_fp16_overflow 0
		.amdhsa_workgroup_processor_mode 1
		.amdhsa_memory_ordered 1
		.amdhsa_forward_progress 1
		.amdhsa_inst_pref_size 66
		.amdhsa_round_robin_scheduling 0
		.amdhsa_exception_fp_ieee_invalid_op 0
		.amdhsa_exception_fp_denorm_src 0
		.amdhsa_exception_fp_ieee_div_zero 0
		.amdhsa_exception_fp_ieee_overflow 0
		.amdhsa_exception_fp_ieee_underflow 0
		.amdhsa_exception_fp_ieee_inexact 0
		.amdhsa_exception_int_div_zero 0
	.end_amdhsa_kernel
	.section	.text._ZN2at6native16triu_tril_kernelIdlLb0ELi2ELb1EEEvNS_4cuda6detail10TensorInfoIT_T0_EENS4_IKS5_S6_EEllS6_,"axG",@progbits,_ZN2at6native16triu_tril_kernelIdlLb0ELi2ELb1EEEvNS_4cuda6detail10TensorInfoIT_T0_EENS4_IKS5_S6_EEllS6_,comdat
.Lfunc_end22:
	.size	_ZN2at6native16triu_tril_kernelIdlLb0ELi2ELb1EEEvNS_4cuda6detail10TensorInfoIT_T0_EENS4_IKS5_S6_EEllS6_, .Lfunc_end22-_ZN2at6native16triu_tril_kernelIdlLb0ELi2ELb1EEEvNS_4cuda6detail10TensorInfoIT_T0_EENS4_IKS5_S6_EEllS6_
                                        ; -- End function
	.set _ZN2at6native16triu_tril_kernelIdlLb0ELi2ELb1EEEvNS_4cuda6detail10TensorInfoIT_T0_EENS4_IKS5_S6_EEllS6_.num_vgpr, 32
	.set _ZN2at6native16triu_tril_kernelIdlLb0ELi2ELb1EEEvNS_4cuda6detail10TensorInfoIT_T0_EENS4_IKS5_S6_EEllS6_.num_agpr, 0
	.set _ZN2at6native16triu_tril_kernelIdlLb0ELi2ELb1EEEvNS_4cuda6detail10TensorInfoIT_T0_EENS4_IKS5_S6_EEllS6_.numbered_sgpr, 75
	.set _ZN2at6native16triu_tril_kernelIdlLb0ELi2ELb1EEEvNS_4cuda6detail10TensorInfoIT_T0_EENS4_IKS5_S6_EEllS6_.num_named_barrier, 0
	.set _ZN2at6native16triu_tril_kernelIdlLb0ELi2ELb1EEEvNS_4cuda6detail10TensorInfoIT_T0_EENS4_IKS5_S6_EEllS6_.private_seg_size, 0
	.set _ZN2at6native16triu_tril_kernelIdlLb0ELi2ELb1EEEvNS_4cuda6detail10TensorInfoIT_T0_EENS4_IKS5_S6_EEllS6_.uses_vcc, 1
	.set _ZN2at6native16triu_tril_kernelIdlLb0ELi2ELb1EEEvNS_4cuda6detail10TensorInfoIT_T0_EENS4_IKS5_S6_EEllS6_.uses_flat_scratch, 0
	.set _ZN2at6native16triu_tril_kernelIdlLb0ELi2ELb1EEEvNS_4cuda6detail10TensorInfoIT_T0_EENS4_IKS5_S6_EEllS6_.has_dyn_sized_stack, 0
	.set _ZN2at6native16triu_tril_kernelIdlLb0ELi2ELb1EEEvNS_4cuda6detail10TensorInfoIT_T0_EENS4_IKS5_S6_EEllS6_.has_recursion, 0
	.set _ZN2at6native16triu_tril_kernelIdlLb0ELi2ELb1EEEvNS_4cuda6detail10TensorInfoIT_T0_EENS4_IKS5_S6_EEllS6_.has_indirect_call, 0
	.section	.AMDGPU.csdata,"",@progbits
; Kernel info:
; codeLenInByte = 8372
; TotalNumSgprs: 77
; NumVgprs: 32
; ScratchSize: 0
; MemoryBound: 0
; FloatMode: 240
; IeeeMode: 1
; LDSByteSize: 0 bytes/workgroup (compile time only)
; SGPRBlocks: 0
; VGPRBlocks: 3
; NumSGPRsForWavesPerEU: 77
; NumVGPRsForWavesPerEU: 32
; Occupancy: 16
; WaveLimiterHint : 0
; COMPUTE_PGM_RSRC2:SCRATCH_EN: 0
; COMPUTE_PGM_RSRC2:USER_SGPR: 2
; COMPUTE_PGM_RSRC2:TRAP_HANDLER: 0
; COMPUTE_PGM_RSRC2:TGID_X_EN: 1
; COMPUTE_PGM_RSRC2:TGID_Y_EN: 0
; COMPUTE_PGM_RSRC2:TGID_Z_EN: 0
; COMPUTE_PGM_RSRC2:TIDIG_COMP_CNT: 0
	.section	.text._ZN2at6native16triu_tril_kernelIdlLb0ELi2ELb0EEEvNS_4cuda6detail10TensorInfoIT_T0_EENS4_IKS5_S6_EEllS6_,"axG",@progbits,_ZN2at6native16triu_tril_kernelIdlLb0ELi2ELb0EEEvNS_4cuda6detail10TensorInfoIT_T0_EENS4_IKS5_S6_EEllS6_,comdat
	.protected	_ZN2at6native16triu_tril_kernelIdlLb0ELi2ELb0EEEvNS_4cuda6detail10TensorInfoIT_T0_EENS4_IKS5_S6_EEllS6_ ; -- Begin function _ZN2at6native16triu_tril_kernelIdlLb0ELi2ELb0EEEvNS_4cuda6detail10TensorInfoIT_T0_EENS4_IKS5_S6_EEllS6_
	.globl	_ZN2at6native16triu_tril_kernelIdlLb0ELi2ELb0EEEvNS_4cuda6detail10TensorInfoIT_T0_EENS4_IKS5_S6_EEllS6_
	.p2align	8
	.type	_ZN2at6native16triu_tril_kernelIdlLb0ELi2ELb0EEEvNS_4cuda6detail10TensorInfoIT_T0_EENS4_IKS5_S6_EEllS6_,@function
_ZN2at6native16triu_tril_kernelIdlLb0ELi2ELb0EEEvNS_4cuda6detail10TensorInfoIT_T0_EENS4_IKS5_S6_EEllS6_: ; @_ZN2at6native16triu_tril_kernelIdlLb0ELi2ELb0EEEvNS_4cuda6detail10TensorInfoIT_T0_EENS4_IKS5_S6_EEllS6_
; %bb.0:
	s_clause 0x1
	s_load_b32 s2, s[0:1], 0x364
	s_load_b128 s[4:7], s[0:1], 0x340
	v_mov_b32_e32 v2, 0
	s_delay_alu instid0(VALU_DEP_1) | instskip(SKIP_3) | instid1(VALU_DEP_1)
	v_mov_b32_e32 v1, v2
	s_wait_kmcnt 0x0
	s_and_b32 s16, s2, 0xffff
	s_mov_b32 s2, exec_lo
	v_mad_co_u64_u32 v[0:1], null, s16, ttmp9, v[0:1]
	s_delay_alu instid0(VALU_DEP_1) | instskip(NEXT) | instid1(VALU_DEP_1)
	v_lshlrev_b64_e32 v[0:1], 1, v[0:1]
	v_cmpx_gt_i64_e64 s[6:7], v[0:1]
	s_cbranch_execz .LBB23_38
; %bb.1:
	s_clause 0x1
	s_load_b32 s38, s[0:1], 0x338
	s_load_b64 s[2:3], s[0:1], 0x1a0
	s_add_nc_u64 s[20:21], s[0:1], 0x1a0
	s_load_b64 s[22:23], s[0:1], 0x350
	s_add_nc_u64 s[14:15], s[0:1], 0x358
	s_mov_b32 s27, 0
	s_mov_b32 s63, 0
	s_wait_kmcnt 0x0
	s_ashr_i32 s39, s38, 31
	s_add_co_i32 s28, s38, -3
	s_lshl_b64 s[18:19], s[38:39], 3
	s_ashr_i32 s29, s28, 31
	s_add_nc_u64 s[12:13], s[20:21], s[18:19]
	v_cmp_gt_i64_e64 s62, s[38:39], 2
	s_add_nc_u64 s[8:9], s[12:13], -8
	s_add_nc_u64 s[30:31], s[28:29], -1
	s_load_b128 s[8:11], s[8:9], 0x0
	s_load_b32 s17, s[14:15], 0x0
	s_clause 0x1
	s_load_b64 s[24:25], s[0:1], 0x0
	s_load_b128 s[12:15], s[12:13], 0xc0
	v_cvt_f32_u32_e32 v3, s22
	s_add_nc_u64 s[38:39], s[0:1], 0xc8
	s_delay_alu instid0(VALU_DEP_1)
	v_rcp_iflag_f32_e32 v3, v3
	s_wait_kmcnt 0x0
	v_cvt_f32_u32_e32 v4, s8
	s_mul_i32 s26, s17, s16
	s_add_nc_u64 s[16:17], s[0:1], s[18:19]
	s_lshl_b32 s33, s26, 1
	s_load_b128 s[16:19], s[16:17], 0xc0
	v_rcp_iflag_f32_e32 v4, v4
	s_delay_alu instid0(TRANS32_DEP_2)
	v_mul_f32_e32 v3, 0x4f7ffffe, v3
	s_bitcmp0_b32 s28, 0
	s_cselect_b32 s60, -1, 0
	s_lshl_b64 s[36:37], s[28:29], 3
	s_cmp_lg_u32 s28, 0
	s_add_nc_u64 s[34:35], s[20:21], s[36:37]
	s_add_nc_u64 s[36:37], s[0:1], s[36:37]
	s_cselect_b32 s61, -1, 0
	s_delay_alu instid0(TRANS32_DEP_1) | instskip(SKIP_2) | instid1(VALU_DEP_2)
	v_mul_f32_e32 v4, 0x4f7ffffe, v4
	v_cvt_u32_f32_e32 v16, v3
	s_ashr_i32 s40, s23, 31
	v_cvt_u32_f32_e32 v17, v4
	s_branch .LBB23_3
.LBB23_2:                               ;   in Loop: Header=BB23_3 Depth=1
	s_wait_alu 0xfffe
	s_or_b32 exec_lo, exec_lo, s0
	v_add_co_u32 v0, vcc_lo, v0, s33
	s_wait_alu 0xfffd
	v_add_co_ci_u32_e64 v1, null, 0, v1, vcc_lo
	s_delay_alu instid0(VALU_DEP_1) | instskip(SKIP_1) | instid1(SALU_CYCLE_1)
	v_cmp_le_i64_e32 vcc_lo, s[6:7], v[0:1]
	s_or_b32 s63, vcc_lo, s63
	s_and_not1_b32 exec_lo, exec_lo, s63
	s_cbranch_execz .LBB23_38
.LBB23_3:                               ; =>This Loop Header: Depth=1
                                        ;     Child Loop BB23_21 Depth 2
	v_or_b32_e32 v3, s23, v1
                                        ; implicit-def: $vgpr6_vgpr7
	s_mov_b32 s0, exec_lo
	s_delay_alu instid0(VALU_DEP_1)
	v_cmpx_ne_u64_e32 0, v[2:3]
	s_wait_alu 0xfffe
	s_xor_b32 s1, exec_lo, s0
	s_cbranch_execz .LBB23_5
; %bb.4:                                ;   in Loop: Header=BB23_3 Depth=1
	s_mov_b32 s41, s40
	v_ashrrev_i32_e32 v9, 31, v1
	s_wait_alu 0xfffe
	s_add_nc_u64 s[42:43], s[22:23], s[40:41]
	s_wait_alu 0xfffe
	s_xor_b64 s[42:43], s[42:43], s[40:41]
	v_add_co_u32 v3, vcc_lo, v0, v9
	s_wait_alu 0xfffe
	s_cvt_f32_u32 s0, s42
	s_cvt_f32_u32 s26, s43
	s_sub_nc_u64 s[46:47], 0, s[42:43]
	s_wait_alu 0xfffd
	v_add_co_ci_u32_e64 v4, null, v1, v9, vcc_lo
	s_wait_alu 0xfffe
	s_fmamk_f32 s0, s26, 0x4f800000, s0
	v_xor_b32_e32 v10, v3, v9
	s_delay_alu instid0(VALU_DEP_2) | instskip(SKIP_2) | instid1(TRANS32_DEP_1)
	v_xor_b32_e32 v11, v4, v9
	s_wait_alu 0xfffe
	v_s_rcp_f32 s0, s0
	s_mul_f32 s0, s0, 0x5f7ffffc
	s_wait_alu 0xfffe
	s_delay_alu instid0(SALU_CYCLE_2) | instskip(SKIP_1) | instid1(SALU_CYCLE_2)
	s_mul_f32 s26, s0, 0x2f800000
	s_wait_alu 0xfffe
	s_trunc_f32 s26, s26
	s_wait_alu 0xfffe
	s_delay_alu instid0(SALU_CYCLE_2) | instskip(SKIP_2) | instid1(SALU_CYCLE_1)
	s_fmamk_f32 s0, s26, 0xcf800000, s0
	s_cvt_u32_f32 s45, s26
	s_wait_alu 0xfffe
	s_cvt_u32_f32 s44, s0
	s_wait_alu 0xfffe
	s_delay_alu instid0(SALU_CYCLE_2)
	s_mul_u64 s[48:49], s[46:47], s[44:45]
	s_wait_alu 0xfffe
	s_mul_hi_u32 s51, s44, s49
	s_mul_i32 s50, s44, s49
	s_mul_hi_u32 s26, s44, s48
	s_mul_i32 s41, s45, s48
	s_wait_alu 0xfffe
	s_add_nc_u64 s[50:51], s[26:27], s[50:51]
	s_mul_hi_u32 s0, s45, s48
	s_mul_hi_u32 s52, s45, s49
	s_wait_alu 0xfffe
	s_add_co_u32 s26, s50, s41
	s_add_co_ci_u32 s26, s51, s0
	s_mul_i32 s48, s45, s49
	s_add_co_ci_u32 s49, s52, 0
	s_wait_alu 0xfffe
	s_add_nc_u64 s[48:49], s[26:27], s[48:49]
	s_wait_alu 0xfffe
	s_add_co_u32 s44, s44, s48
	s_cselect_b32 s0, -1, 0
	s_wait_alu 0xfffe
	s_cmp_lg_u32 s0, 0
	s_add_co_ci_u32 s45, s45, s49
	s_wait_alu 0xfffe
	s_mul_u64 s[46:47], s[46:47], s[44:45]
	s_wait_alu 0xfffe
	s_mul_hi_u32 s49, s44, s47
	s_mul_i32 s48, s44, s47
	s_mul_hi_u32 s26, s44, s46
	s_mul_i32 s41, s45, s46
	s_wait_alu 0xfffe
	s_add_nc_u64 s[48:49], s[26:27], s[48:49]
	s_mul_hi_u32 s0, s45, s46
	s_mul_hi_u32 s50, s45, s47
	s_wait_alu 0xfffe
	s_add_co_u32 s26, s48, s41
	s_add_co_ci_u32 s26, s49, s0
	s_mul_i32 s46, s45, s47
	s_add_co_ci_u32 s47, s50, 0
	s_wait_alu 0xfffe
	s_add_nc_u64 s[46:47], s[26:27], s[46:47]
	s_wait_alu 0xfffe
	s_add_co_u32 s0, s44, s46
	s_cselect_b32 s26, -1, 0
	s_wait_alu 0xfffe
	v_mul_hi_u32 v12, v10, s0
	s_cmp_lg_u32 s26, 0
	v_mad_co_u64_u32 v[5:6], null, v11, s0, 0
	s_add_co_ci_u32 s26, s45, s47
	s_wait_alu 0xfffe
	v_mad_co_u64_u32 v[3:4], null, v10, s26, 0
	v_mad_co_u64_u32 v[7:8], null, v11, s26, 0
	s_delay_alu instid0(VALU_DEP_2) | instskip(SKIP_1) | instid1(VALU_DEP_3)
	v_add_co_u32 v3, vcc_lo, v12, v3
	s_wait_alu 0xfffd
	v_add_co_ci_u32_e64 v4, null, 0, v4, vcc_lo
	s_delay_alu instid0(VALU_DEP_2) | instskip(SKIP_1) | instid1(VALU_DEP_2)
	v_add_co_u32 v3, vcc_lo, v3, v5
	s_wait_alu 0xfffd
	v_add_co_ci_u32_e32 v3, vcc_lo, v4, v6, vcc_lo
	s_wait_alu 0xfffd
	v_add_co_ci_u32_e32 v4, vcc_lo, 0, v8, vcc_lo
	s_delay_alu instid0(VALU_DEP_2) | instskip(SKIP_1) | instid1(VALU_DEP_2)
	v_add_co_u32 v5, vcc_lo, v3, v7
	s_wait_alu 0xfffd
	v_add_co_ci_u32_e64 v6, null, 0, v4, vcc_lo
	s_delay_alu instid0(VALU_DEP_2) | instskip(SKIP_1) | instid1(VALU_DEP_3)
	v_mul_lo_u32 v7, s43, v5
	v_mad_co_u64_u32 v[3:4], null, s42, v5, 0
	v_mul_lo_u32 v8, s42, v6
	s_delay_alu instid0(VALU_DEP_2) | instskip(NEXT) | instid1(VALU_DEP_2)
	v_sub_co_u32 v3, vcc_lo, v10, v3
	v_add3_u32 v4, v4, v8, v7
	v_add_co_u32 v8, s0, v5, 2
	s_wait_alu 0xf1ff
	v_add_co_ci_u32_e64 v10, null, 0, v6, s0
	s_delay_alu instid0(VALU_DEP_3) | instskip(SKIP_3) | instid1(VALU_DEP_3)
	v_sub_nc_u32_e32 v7, v11, v4
	v_sub_co_u32 v12, s0, v3, s42
	s_wait_alu 0xfffd
	v_sub_co_ci_u32_e64 v4, null, v11, v4, vcc_lo
	v_subrev_co_ci_u32_e64 v7, null, s43, v7, vcc_lo
	s_delay_alu instid0(VALU_DEP_3) | instskip(SKIP_1) | instid1(VALU_DEP_2)
	v_cmp_le_u32_e32 vcc_lo, s42, v12
	s_wait_alu 0xf1ff
	v_subrev_co_ci_u32_e64 v7, null, 0, v7, s0
	s_wait_alu 0xfffd
	v_cndmask_b32_e64 v11, 0, -1, vcc_lo
	s_delay_alu instid0(VALU_DEP_2)
	v_cmp_le_u32_e32 vcc_lo, s43, v7
	s_wait_alu 0xfffd
	v_cndmask_b32_e64 v12, 0, -1, vcc_lo
	v_cmp_le_u32_e32 vcc_lo, s42, v3
	s_wait_alu 0xfffd
	v_cndmask_b32_e64 v3, 0, -1, vcc_lo
	;; [unrolled: 3-line block ×3, first 2 shown]
	v_cmp_eq_u32_e32 vcc_lo, s43, v7
	s_wait_alu 0xfffd
	v_cndmask_b32_e32 v7, v12, v11, vcc_lo
	v_add_co_u32 v11, vcc_lo, v5, 1
	s_wait_alu 0xfffd
	v_add_co_ci_u32_e64 v12, null, 0, v6, vcc_lo
	v_cmp_eq_u32_e32 vcc_lo, s43, v4
	s_wait_alu 0xfffd
	v_cndmask_b32_e32 v3, v13, v3, vcc_lo
	v_cmp_ne_u32_e32 vcc_lo, 0, v7
	v_xor_b32_e32 v7, s40, v9
	s_wait_alu 0xfffd
	v_cndmask_b32_e32 v4, v12, v10, vcc_lo
	v_cmp_ne_u32_e64 s0, 0, v3
	v_cndmask_b32_e32 v3, v11, v8, vcc_lo
	s_wait_alu 0xf1ff
	s_delay_alu instid0(VALU_DEP_2) | instskip(NEXT) | instid1(VALU_DEP_2)
	v_cndmask_b32_e64 v4, v6, v4, s0
	v_cndmask_b32_e64 v3, v5, v3, s0
	s_delay_alu instid0(VALU_DEP_2) | instskip(NEXT) | instid1(VALU_DEP_2)
	v_xor_b32_e32 v4, v4, v7
	v_xor_b32_e32 v3, v3, v7
	s_delay_alu instid0(VALU_DEP_1) | instskip(SKIP_1) | instid1(VALU_DEP_3)
	v_sub_co_u32 v6, vcc_lo, v3, v7
	s_wait_alu 0xfffd
	v_sub_co_ci_u32_e64 v7, null, v4, v7, vcc_lo
.LBB23_5:                               ;   in Loop: Header=BB23_3 Depth=1
	s_wait_alu 0xfffe
	s_and_not1_saveexec_b32 s0, s1
	s_cbranch_execz .LBB23_7
; %bb.6:                                ;   in Loop: Header=BB23_3 Depth=1
	s_sub_co_i32 s1, 0, s22
	v_mov_b32_e32 v7, v2
	s_wait_alu 0xfffe
	v_mul_lo_u32 v3, s1, v16
	s_delay_alu instid0(VALU_DEP_1) | instskip(NEXT) | instid1(VALU_DEP_1)
	v_mul_hi_u32 v3, v16, v3
	v_add_nc_u32_e32 v3, v16, v3
	s_delay_alu instid0(VALU_DEP_1) | instskip(NEXT) | instid1(VALU_DEP_1)
	v_mul_hi_u32 v3, v0, v3
	v_mul_lo_u32 v4, v3, s22
	s_delay_alu instid0(VALU_DEP_1) | instskip(NEXT) | instid1(VALU_DEP_1)
	v_sub_nc_u32_e32 v4, v0, v4
	v_subrev_nc_u32_e32 v6, s22, v4
	v_cmp_le_u32_e32 vcc_lo, s22, v4
	s_wait_alu 0xfffd
	s_delay_alu instid0(VALU_DEP_2) | instskip(NEXT) | instid1(VALU_DEP_1)
	v_dual_cndmask_b32 v4, v4, v6 :: v_dual_add_nc_u32 v5, 1, v3
	v_cndmask_b32_e32 v3, v3, v5, vcc_lo
	s_delay_alu instid0(VALU_DEP_2) | instskip(NEXT) | instid1(VALU_DEP_2)
	v_cmp_le_u32_e32 vcc_lo, s22, v4
	v_add_nc_u32_e32 v5, 1, v3
	s_wait_alu 0xfffd
	s_delay_alu instid0(VALU_DEP_1)
	v_cndmask_b32_e32 v6, v3, v5, vcc_lo
.LBB23_7:                               ;   in Loop: Header=BB23_3 Depth=1
	s_wait_alu 0xfffe
	s_or_b32 exec_lo, exec_lo, s0
	v_or_b32_e32 v3, s9, v7
                                        ; implicit-def: $vgpr10_vgpr11
	s_mov_b32 s0, exec_lo
	s_delay_alu instid0(VALU_DEP_1)
	v_cmpx_ne_u64_e32 0, v[2:3]
	s_wait_alu 0xfffe
	s_xor_b32 s1, exec_lo, s0
	s_cbranch_execz .LBB23_9
; %bb.8:                                ;   in Loop: Header=BB23_3 Depth=1
	s_ashr_i32 s42, s9, 31
	v_ashrrev_i32_e32 v5, 31, v7
	s_wait_alu 0xfffe
	s_mov_b32 s43, s42
	s_wait_alu 0xfffe
	s_add_nc_u64 s[44:45], s[8:9], s[42:43]
	v_add_co_u32 v3, vcc_lo, v6, v5
	s_wait_alu 0xfffe
	s_xor_b64 s[44:45], s[44:45], s[42:43]
	s_wait_alu 0xfffd
	v_add_co_ci_u32_e64 v4, null, v7, v5, vcc_lo
	s_wait_alu 0xfffe
	s_cvt_f32_u32 s0, s44
	s_cvt_f32_u32 s26, s45
	s_sub_nc_u64 s[48:49], 0, s[44:45]
	v_xor_b32_e32 v12, v3, v5
	v_xor_b32_e32 v13, v4, v5
	s_wait_alu 0xfffe
	s_fmamk_f32 s0, s26, 0x4f800000, s0
	v_xor_b32_e32 v5, s42, v5
	s_wait_alu 0xfffe
	s_delay_alu instid0(SALU_CYCLE_1) | instskip(NEXT) | instid1(TRANS32_DEP_1)
	v_s_rcp_f32 s0, s0
	s_mul_f32 s0, s0, 0x5f7ffffc
	s_wait_alu 0xfffe
	s_delay_alu instid0(SALU_CYCLE_2) | instskip(SKIP_1) | instid1(SALU_CYCLE_2)
	s_mul_f32 s26, s0, 0x2f800000
	s_wait_alu 0xfffe
	s_trunc_f32 s26, s26
	s_wait_alu 0xfffe
	s_delay_alu instid0(SALU_CYCLE_2) | instskip(SKIP_2) | instid1(SALU_CYCLE_1)
	s_fmamk_f32 s0, s26, 0xcf800000, s0
	s_cvt_u32_f32 s47, s26
	s_wait_alu 0xfffe
	s_cvt_u32_f32 s46, s0
	s_wait_alu 0xfffe
	s_delay_alu instid0(SALU_CYCLE_2)
	s_mul_u64 s[50:51], s[48:49], s[46:47]
	s_wait_alu 0xfffe
	s_mul_hi_u32 s53, s46, s51
	s_mul_i32 s52, s46, s51
	s_mul_hi_u32 s26, s46, s50
	s_mul_i32 s41, s47, s50
	s_wait_alu 0xfffe
	s_add_nc_u64 s[52:53], s[26:27], s[52:53]
	s_mul_hi_u32 s0, s47, s50
	s_mul_hi_u32 s43, s47, s51
	s_wait_alu 0xfffe
	s_add_co_u32 s26, s52, s41
	s_add_co_ci_u32 s26, s53, s0
	s_mul_i32 s50, s47, s51
	s_add_co_ci_u32 s51, s43, 0
	s_wait_alu 0xfffe
	s_add_nc_u64 s[50:51], s[26:27], s[50:51]
	s_wait_alu 0xfffe
	s_add_co_u32 s46, s46, s50
	s_cselect_b32 s0, -1, 0
	s_wait_alu 0xfffe
	s_cmp_lg_u32 s0, 0
	s_add_co_ci_u32 s47, s47, s51
	s_wait_alu 0xfffe
	s_mul_u64 s[48:49], s[48:49], s[46:47]
	s_wait_alu 0xfffe
	s_mul_hi_u32 s51, s46, s49
	s_mul_i32 s50, s46, s49
	s_mul_hi_u32 s26, s46, s48
	s_mul_i32 s41, s47, s48
	s_wait_alu 0xfffe
	s_add_nc_u64 s[50:51], s[26:27], s[50:51]
	s_mul_hi_u32 s0, s47, s48
	s_mul_hi_u32 s43, s47, s49
	s_wait_alu 0xfffe
	s_add_co_u32 s26, s50, s41
	s_add_co_ci_u32 s26, s51, s0
	s_mul_i32 s48, s47, s49
	s_add_co_ci_u32 s49, s43, 0
	s_wait_alu 0xfffe
	s_add_nc_u64 s[48:49], s[26:27], s[48:49]
	s_wait_alu 0xfffe
	s_add_co_u32 s0, s46, s48
	s_cselect_b32 s26, -1, 0
	s_wait_alu 0xfffe
	v_mul_hi_u32 v14, v12, s0
	s_cmp_lg_u32 s26, 0
	v_mad_co_u64_u32 v[8:9], null, v13, s0, 0
	s_add_co_ci_u32 s26, s47, s49
	s_wait_alu 0xfffe
	v_mad_co_u64_u32 v[3:4], null, v12, s26, 0
	v_mad_co_u64_u32 v[10:11], null, v13, s26, 0
	s_delay_alu instid0(VALU_DEP_2) | instskip(SKIP_1) | instid1(VALU_DEP_3)
	v_add_co_u32 v3, vcc_lo, v14, v3
	s_wait_alu 0xfffd
	v_add_co_ci_u32_e64 v4, null, 0, v4, vcc_lo
	s_delay_alu instid0(VALU_DEP_2) | instskip(SKIP_1) | instid1(VALU_DEP_2)
	v_add_co_u32 v3, vcc_lo, v3, v8
	s_wait_alu 0xfffd
	v_add_co_ci_u32_e32 v3, vcc_lo, v4, v9, vcc_lo
	s_wait_alu 0xfffd
	v_add_co_ci_u32_e32 v4, vcc_lo, 0, v11, vcc_lo
	s_delay_alu instid0(VALU_DEP_2) | instskip(SKIP_1) | instid1(VALU_DEP_2)
	v_add_co_u32 v8, vcc_lo, v3, v10
	s_wait_alu 0xfffd
	v_add_co_ci_u32_e64 v9, null, 0, v4, vcc_lo
	s_delay_alu instid0(VALU_DEP_2) | instskip(SKIP_1) | instid1(VALU_DEP_3)
	v_mul_lo_u32 v10, s45, v8
	v_mad_co_u64_u32 v[3:4], null, s44, v8, 0
	v_mul_lo_u32 v11, s44, v9
	s_delay_alu instid0(VALU_DEP_2) | instskip(NEXT) | instid1(VALU_DEP_2)
	v_sub_co_u32 v3, vcc_lo, v12, v3
	v_add3_u32 v4, v4, v11, v10
	v_add_co_u32 v11, s0, v8, 2
	s_wait_alu 0xf1ff
	v_add_co_ci_u32_e64 v12, null, 0, v9, s0
	s_delay_alu instid0(VALU_DEP_3) | instskip(SKIP_3) | instid1(VALU_DEP_3)
	v_sub_nc_u32_e32 v10, v13, v4
	v_sub_co_u32 v14, s0, v3, s44
	s_wait_alu 0xfffd
	v_sub_co_ci_u32_e64 v4, null, v13, v4, vcc_lo
	v_subrev_co_ci_u32_e64 v10, null, s45, v10, vcc_lo
	s_delay_alu instid0(VALU_DEP_3) | instskip(SKIP_1) | instid1(VALU_DEP_2)
	v_cmp_le_u32_e32 vcc_lo, s44, v14
	s_wait_alu 0xf1ff
	v_subrev_co_ci_u32_e64 v10, null, 0, v10, s0
	s_wait_alu 0xfffd
	v_cndmask_b32_e64 v13, 0, -1, vcc_lo
	s_delay_alu instid0(VALU_DEP_2)
	v_cmp_le_u32_e32 vcc_lo, s45, v10
	s_wait_alu 0xfffd
	v_cndmask_b32_e64 v14, 0, -1, vcc_lo
	v_cmp_le_u32_e32 vcc_lo, s44, v3
	s_wait_alu 0xfffd
	v_cndmask_b32_e64 v3, 0, -1, vcc_lo
	;; [unrolled: 3-line block ×3, first 2 shown]
	v_cmp_eq_u32_e32 vcc_lo, s45, v10
	s_wait_alu 0xfffd
	v_cndmask_b32_e32 v10, v14, v13, vcc_lo
	v_add_co_u32 v13, vcc_lo, v8, 1
	s_wait_alu 0xfffd
	v_add_co_ci_u32_e64 v14, null, 0, v9, vcc_lo
	v_cmp_eq_u32_e32 vcc_lo, s45, v4
	s_wait_alu 0xfffd
	v_cndmask_b32_e32 v3, v15, v3, vcc_lo
	v_cmp_ne_u32_e32 vcc_lo, 0, v10
	s_delay_alu instid0(VALU_DEP_2) | instskip(SKIP_3) | instid1(VALU_DEP_1)
	v_cmp_ne_u32_e64 s0, 0, v3
	s_wait_alu 0xfffd
	v_dual_cndmask_b32 v4, v14, v12 :: v_dual_cndmask_b32 v3, v13, v11
	s_wait_alu 0xf1ff
	v_cndmask_b32_e64 v4, v9, v4, s0
	s_delay_alu instid0(VALU_DEP_2) | instskip(NEXT) | instid1(VALU_DEP_2)
	v_cndmask_b32_e64 v3, v8, v3, s0
	v_xor_b32_e32 v4, v4, v5
	s_delay_alu instid0(VALU_DEP_2) | instskip(NEXT) | instid1(VALU_DEP_1)
	v_xor_b32_e32 v3, v3, v5
	v_sub_co_u32 v10, vcc_lo, v3, v5
	s_wait_alu 0xfffd
	s_delay_alu instid0(VALU_DEP_3)
	v_sub_co_ci_u32_e64 v11, null, v4, v5, vcc_lo
.LBB23_9:                               ;   in Loop: Header=BB23_3 Depth=1
	s_wait_alu 0xfffe
	s_and_not1_saveexec_b32 s0, s1
	s_cbranch_execz .LBB23_11
; %bb.10:                               ;   in Loop: Header=BB23_3 Depth=1
	s_sub_co_i32 s1, 0, s8
	v_mov_b32_e32 v11, v2
	s_wait_alu 0xfffe
	v_mul_lo_u32 v3, s1, v17
	s_delay_alu instid0(VALU_DEP_1) | instskip(NEXT) | instid1(VALU_DEP_1)
	v_mul_hi_u32 v3, v17, v3
	v_add_nc_u32_e32 v3, v17, v3
	s_delay_alu instid0(VALU_DEP_1) | instskip(NEXT) | instid1(VALU_DEP_1)
	v_mul_hi_u32 v3, v6, v3
	v_mul_lo_u32 v4, v3, s8
	v_add_nc_u32_e32 v5, 1, v3
	s_delay_alu instid0(VALU_DEP_2) | instskip(NEXT) | instid1(VALU_DEP_1)
	v_sub_nc_u32_e32 v4, v6, v4
	v_subrev_nc_u32_e32 v8, s8, v4
	v_cmp_le_u32_e32 vcc_lo, s8, v4
	s_wait_alu 0xfffd
	s_delay_alu instid0(VALU_DEP_2) | instskip(NEXT) | instid1(VALU_DEP_1)
	v_dual_cndmask_b32 v4, v4, v8 :: v_dual_cndmask_b32 v3, v3, v5
	v_cmp_le_u32_e32 vcc_lo, s8, v4
	s_delay_alu instid0(VALU_DEP_2) | instskip(SKIP_1) | instid1(VALU_DEP_1)
	v_add_nc_u32_e32 v5, 1, v3
	s_wait_alu 0xfffd
	v_cndmask_b32_e32 v10, v3, v5, vcc_lo
.LBB23_11:                              ;   in Loop: Header=BB23_3 Depth=1
	s_wait_alu 0xfffe
	s_or_b32 exec_lo, exec_lo, s0
	v_mul_lo_u32 v5, v7, s22
	v_mul_lo_u32 v12, v6, s23
	v_mad_co_u64_u32 v[3:4], null, v6, s22, 0
	v_mul_lo_u32 v13, v11, s8
	v_mul_lo_u32 v14, v10, s9
	v_mad_co_u64_u32 v[8:9], null, v10, s8, 0
	s_delay_alu instid0(VALU_DEP_4) | instskip(SKIP_1) | instid1(VALU_DEP_3)
	v_add3_u32 v5, v4, v12, v5
	v_sub_co_u32 v4, vcc_lo, v0, v3
	v_add3_u32 v3, v9, v14, v13
	s_wait_alu 0xfffd
	s_delay_alu instid0(VALU_DEP_3) | instskip(NEXT) | instid1(VALU_DEP_3)
	v_sub_co_ci_u32_e64 v5, null, v1, v5, vcc_lo
	v_mul_lo_u32 v9, s15, v4
	v_mad_co_u64_u32 v[12:13], null, s14, v4, 0
	s_wait_kmcnt 0x0
	v_mul_lo_u32 v20, s19, v4
	v_mul_lo_u32 v21, s14, v5
	v_mul_lo_u32 v22, s18, v5
	v_mad_co_u64_u32 v[14:15], null, s18, v4, 0
	v_sub_co_u32 v18, vcc_lo, v6, v8
	s_wait_alu 0xfffd
	v_sub_co_ci_u32_e64 v19, null, v7, v3, vcc_lo
	v_add3_u32 v13, v13, v21, v9
	s_delay_alu instid0(VALU_DEP_3) | instskip(SKIP_1) | instid1(VALU_DEP_4)
	v_mul_lo_u32 v3, s13, v18
	v_add3_u32 v15, v15, v22, v20
	v_mul_lo_u32 v21, s12, v19
	s_and_not1_b32 vcc_lo, exec_lo, s62
	v_mad_co_u64_u32 v[8:9], null, s12, v18, v[12:13]
	v_mul_lo_u32 v12, s16, v19
	v_mul_lo_u32 v13, s17, v18
	v_mad_co_u64_u32 v[6:7], null, s16, v18, v[14:15]
	s_delay_alu instid0(VALU_DEP_4) | instskip(NEXT) | instid1(VALU_DEP_2)
	v_add3_u32 v9, v3, v9, v21
	v_add3_u32 v7, v13, v7, v12
	s_wait_alu 0xfffe
	s_cbranch_vccnz .LBB23_29
; %bb.12:                               ;   in Loop: Header=BB23_3 Depth=1
	s_and_not1_b32 vcc_lo, exec_lo, s60
	s_wait_alu 0xfffe
	s_cbranch_vccnz .LBB23_18
; %bb.13:                               ;   in Loop: Header=BB23_3 Depth=1
	s_load_b64 s[42:43], s[34:35], 0x8
                                        ; implicit-def: $vgpr12_vgpr13
	s_mov_b32 s0, exec_lo
	s_wait_kmcnt 0x0
	v_or_b32_e32 v3, s43, v11
	s_delay_alu instid0(VALU_DEP_1)
	v_cmpx_ne_u64_e32 0, v[2:3]
	s_wait_alu 0xfffe
	s_xor_b32 s1, exec_lo, s0
	s_cbranch_execz .LBB23_15
; %bb.14:                               ;   in Loop: Header=BB23_3 Depth=1
	s_ashr_i32 s44, s43, 31
	v_ashrrev_i32_e32 v3, 31, v11
	s_wait_alu 0xfffe
	s_mov_b32 s45, s44
	s_wait_alu 0xfffe
	s_add_nc_u64 s[46:47], s[42:43], s[44:45]
	v_add_co_u32 v12, vcc_lo, v10, v3
	s_wait_alu 0xfffe
	s_xor_b64 s[46:47], s[46:47], s[44:45]
	s_wait_alu 0xfffd
	v_add_co_ci_u32_e64 v13, null, v11, v3, vcc_lo
	s_wait_alu 0xfffe
	s_cvt_f32_u32 s0, s46
	s_cvt_f32_u32 s26, s47
	s_sub_nc_u64 s[50:51], 0, s[46:47]
	v_xor_b32_e32 v22, v12, v3
	v_xor_b32_e32 v23, v13, v3
	s_wait_alu 0xfffe
	s_fmamk_f32 s0, s26, 0x4f800000, s0
	v_xor_b32_e32 v3, s44, v3
	s_wait_alu 0xfffe
	s_delay_alu instid0(SALU_CYCLE_1) | instskip(NEXT) | instid1(TRANS32_DEP_1)
	v_s_rcp_f32 s0, s0
	s_mul_f32 s0, s0, 0x5f7ffffc
	s_wait_alu 0xfffe
	s_delay_alu instid0(SALU_CYCLE_2) | instskip(SKIP_1) | instid1(SALU_CYCLE_2)
	s_mul_f32 s26, s0, 0x2f800000
	s_wait_alu 0xfffe
	s_trunc_f32 s26, s26
	s_wait_alu 0xfffe
	s_delay_alu instid0(SALU_CYCLE_2) | instskip(SKIP_2) | instid1(SALU_CYCLE_1)
	s_fmamk_f32 s0, s26, 0xcf800000, s0
	s_cvt_u32_f32 s49, s26
	s_wait_alu 0xfffe
	s_cvt_u32_f32 s48, s0
	s_wait_alu 0xfffe
	s_delay_alu instid0(SALU_CYCLE_2)
	s_mul_u64 s[52:53], s[50:51], s[48:49]
	s_wait_alu 0xfffe
	s_mul_hi_u32 s55, s48, s53
	s_mul_i32 s54, s48, s53
	s_mul_hi_u32 s26, s48, s52
	s_mul_i32 s41, s49, s52
	s_wait_alu 0xfffe
	s_add_nc_u64 s[54:55], s[26:27], s[54:55]
	s_mul_hi_u32 s0, s49, s52
	s_mul_hi_u32 s45, s49, s53
	s_wait_alu 0xfffe
	s_add_co_u32 s26, s54, s41
	s_add_co_ci_u32 s26, s55, s0
	s_mul_i32 s52, s49, s53
	s_add_co_ci_u32 s53, s45, 0
	s_wait_alu 0xfffe
	s_add_nc_u64 s[52:53], s[26:27], s[52:53]
	s_wait_alu 0xfffe
	s_add_co_u32 s48, s48, s52
	s_cselect_b32 s0, -1, 0
	s_wait_alu 0xfffe
	s_cmp_lg_u32 s0, 0
	s_add_co_ci_u32 s49, s49, s53
	s_wait_alu 0xfffe
	s_mul_u64 s[50:51], s[50:51], s[48:49]
	s_wait_alu 0xfffe
	s_mul_hi_u32 s53, s48, s51
	s_mul_i32 s52, s48, s51
	s_mul_hi_u32 s26, s48, s50
	s_mul_i32 s41, s49, s50
	s_wait_alu 0xfffe
	s_add_nc_u64 s[52:53], s[26:27], s[52:53]
	s_mul_hi_u32 s0, s49, s50
	s_mul_hi_u32 s45, s49, s51
	s_wait_alu 0xfffe
	s_add_co_u32 s26, s52, s41
	s_add_co_ci_u32 s26, s53, s0
	s_mul_i32 s50, s49, s51
	s_add_co_ci_u32 s51, s45, 0
	s_wait_alu 0xfffe
	s_add_nc_u64 s[50:51], s[26:27], s[50:51]
	s_wait_alu 0xfffe
	s_add_co_u32 s0, s48, s50
	s_cselect_b32 s26, -1, 0
	s_wait_alu 0xfffe
	v_mul_hi_u32 v24, v22, s0
	s_cmp_lg_u32 s26, 0
	v_mad_co_u64_u32 v[14:15], null, v23, s0, 0
	s_add_co_ci_u32 s26, s49, s51
	s_wait_alu 0xfffe
	v_mad_co_u64_u32 v[12:13], null, v22, s26, 0
	v_mad_co_u64_u32 v[20:21], null, v23, s26, 0
	s_delay_alu instid0(VALU_DEP_2) | instskip(SKIP_1) | instid1(VALU_DEP_3)
	v_add_co_u32 v12, vcc_lo, v24, v12
	s_wait_alu 0xfffd
	v_add_co_ci_u32_e64 v13, null, 0, v13, vcc_lo
	s_delay_alu instid0(VALU_DEP_2) | instskip(SKIP_1) | instid1(VALU_DEP_2)
	v_add_co_u32 v12, vcc_lo, v12, v14
	s_wait_alu 0xfffd
	v_add_co_ci_u32_e32 v12, vcc_lo, v13, v15, vcc_lo
	s_wait_alu 0xfffd
	v_add_co_ci_u32_e32 v13, vcc_lo, 0, v21, vcc_lo
	s_delay_alu instid0(VALU_DEP_2) | instskip(SKIP_1) | instid1(VALU_DEP_2)
	v_add_co_u32 v14, vcc_lo, v12, v20
	s_wait_alu 0xfffd
	v_add_co_ci_u32_e64 v15, null, 0, v13, vcc_lo
	s_delay_alu instid0(VALU_DEP_2) | instskip(SKIP_1) | instid1(VALU_DEP_3)
	v_mul_lo_u32 v20, s47, v14
	v_mad_co_u64_u32 v[12:13], null, s46, v14, 0
	v_mul_lo_u32 v21, s46, v15
	s_delay_alu instid0(VALU_DEP_2) | instskip(NEXT) | instid1(VALU_DEP_2)
	v_sub_co_u32 v12, vcc_lo, v22, v12
	v_add3_u32 v13, v13, v21, v20
	v_add_co_u32 v21, s0, v14, 2
	s_wait_alu 0xf1ff
	v_add_co_ci_u32_e64 v22, null, 0, v15, s0
	s_delay_alu instid0(VALU_DEP_3) | instskip(SKIP_3) | instid1(VALU_DEP_3)
	v_sub_nc_u32_e32 v20, v23, v13
	v_sub_co_u32 v24, s0, v12, s46
	s_wait_alu 0xfffd
	v_sub_co_ci_u32_e64 v13, null, v23, v13, vcc_lo
	v_subrev_co_ci_u32_e64 v20, null, s47, v20, vcc_lo
	s_delay_alu instid0(VALU_DEP_3) | instskip(SKIP_1) | instid1(VALU_DEP_2)
	v_cmp_le_u32_e32 vcc_lo, s46, v24
	s_wait_alu 0xf1ff
	v_subrev_co_ci_u32_e64 v20, null, 0, v20, s0
	s_wait_alu 0xfffd
	v_cndmask_b32_e64 v23, 0, -1, vcc_lo
	s_delay_alu instid0(VALU_DEP_2)
	v_cmp_le_u32_e32 vcc_lo, s47, v20
	s_wait_alu 0xfffd
	v_cndmask_b32_e64 v24, 0, -1, vcc_lo
	v_cmp_le_u32_e32 vcc_lo, s46, v12
	s_wait_alu 0xfffd
	v_cndmask_b32_e64 v12, 0, -1, vcc_lo
	;; [unrolled: 3-line block ×3, first 2 shown]
	v_cmp_eq_u32_e32 vcc_lo, s47, v20
	s_wait_alu 0xfffd
	v_cndmask_b32_e32 v20, v24, v23, vcc_lo
	v_add_co_u32 v23, vcc_lo, v14, 1
	s_wait_alu 0xfffd
	v_add_co_ci_u32_e64 v24, null, 0, v15, vcc_lo
	v_cmp_eq_u32_e32 vcc_lo, s47, v13
	s_wait_alu 0xfffd
	v_cndmask_b32_e32 v12, v25, v12, vcc_lo
	v_cmp_ne_u32_e32 vcc_lo, 0, v20
	s_wait_alu 0xfffd
	v_cndmask_b32_e32 v13, v24, v22, vcc_lo
	s_delay_alu instid0(VALU_DEP_3) | instskip(SKIP_2) | instid1(VALU_DEP_2)
	v_cmp_ne_u32_e64 s0, 0, v12
	v_cndmask_b32_e32 v12, v23, v21, vcc_lo
	s_wait_alu 0xf1ff
	v_cndmask_b32_e64 v13, v15, v13, s0
	s_delay_alu instid0(VALU_DEP_2) | instskip(NEXT) | instid1(VALU_DEP_2)
	v_cndmask_b32_e64 v12, v14, v12, s0
	v_xor_b32_e32 v13, v13, v3
	s_delay_alu instid0(VALU_DEP_2) | instskip(NEXT) | instid1(VALU_DEP_1)
	v_xor_b32_e32 v12, v12, v3
	v_sub_co_u32 v12, vcc_lo, v12, v3
	s_wait_alu 0xfffd
	s_delay_alu instid0(VALU_DEP_3)
	v_sub_co_ci_u32_e64 v13, null, v13, v3, vcc_lo
.LBB23_15:                              ;   in Loop: Header=BB23_3 Depth=1
	s_wait_alu 0xfffe
	s_and_not1_saveexec_b32 s0, s1
	s_cbranch_execz .LBB23_17
; %bb.16:                               ;   in Loop: Header=BB23_3 Depth=1
	v_cvt_f32_u32_e32 v3, s42
	s_sub_co_i32 s1, 0, s42
	s_delay_alu instid0(VALU_DEP_1) | instskip(NEXT) | instid1(TRANS32_DEP_1)
	v_rcp_iflag_f32_e32 v3, v3
	v_mul_f32_e32 v3, 0x4f7ffffe, v3
	s_delay_alu instid0(VALU_DEP_1) | instskip(SKIP_1) | instid1(VALU_DEP_1)
	v_cvt_u32_f32_e32 v3, v3
	s_wait_alu 0xfffe
	v_mul_lo_u32 v12, s1, v3
	s_delay_alu instid0(VALU_DEP_1) | instskip(NEXT) | instid1(VALU_DEP_1)
	v_mul_hi_u32 v12, v3, v12
	v_add_nc_u32_e32 v3, v3, v12
	s_delay_alu instid0(VALU_DEP_1) | instskip(NEXT) | instid1(VALU_DEP_1)
	v_mul_hi_u32 v3, v10, v3
	v_mul_lo_u32 v12, v3, s42
	v_add_nc_u32_e32 v13, 1, v3
	s_delay_alu instid0(VALU_DEP_2) | instskip(NEXT) | instid1(VALU_DEP_1)
	v_sub_nc_u32_e32 v12, v10, v12
	v_subrev_nc_u32_e32 v14, s42, v12
	v_cmp_le_u32_e32 vcc_lo, s42, v12
	s_wait_alu 0xfffd
	s_delay_alu instid0(VALU_DEP_2) | instskip(NEXT) | instid1(VALU_DEP_1)
	v_dual_cndmask_b32 v12, v12, v14 :: v_dual_cndmask_b32 v3, v3, v13
	v_cmp_le_u32_e32 vcc_lo, s42, v12
	s_delay_alu instid0(VALU_DEP_2) | instskip(SKIP_1) | instid1(VALU_DEP_1)
	v_add_nc_u32_e32 v13, 1, v3
	s_wait_alu 0xfffd
	v_dual_cndmask_b32 v12, v3, v13 :: v_dual_mov_b32 v13, v2
.LBB23_17:                              ;   in Loop: Header=BB23_3 Depth=1
	s_wait_alu 0xfffe
	s_or_b32 exec_lo, exec_lo, s0
	s_delay_alu instid0(VALU_DEP_1) | instskip(NEXT) | instid1(VALU_DEP_2)
	v_mul_lo_u32 v3, v13, s42
	v_mul_lo_u32 v20, v12, s43
	s_load_b64 s[0:1], s[34:35], 0xd0
	v_mad_co_u64_u32 v[14:15], null, v12, s42, 0
	s_load_b64 s[42:43], s[36:37], 0xd0
	v_add3_u32 v3, v15, v20, v3
	v_sub_co_u32 v10, vcc_lo, v10, v14
	s_wait_alu 0xfffd
	s_delay_alu instid0(VALU_DEP_2) | instskip(SKIP_1) | instid1(VALU_DEP_1)
	v_sub_co_ci_u32_e64 v3, null, v11, v3, vcc_lo
	s_wait_kmcnt 0x0
	v_mul_lo_u32 v11, s0, v3
	v_mul_lo_u32 v14, s1, v10
	v_mad_co_u64_u32 v[8:9], null, s0, v10, v[8:9]
	v_mul_lo_u32 v3, s42, v3
	v_mul_lo_u32 v15, s43, v10
	v_mad_co_u64_u32 v[6:7], null, s42, v10, v[6:7]
	s_mov_b64 s[0:1], s[30:31]
	v_add3_u32 v9, v14, v9, v11
	v_dual_mov_b32 v10, v12 :: v_dual_mov_b32 v11, v13
	v_add3_u32 v7, v15, v7, v3
	s_and_not1_b32 vcc_lo, exec_lo, s61
	s_wait_alu 0xfffe
	s_cbranch_vccz .LBB23_19
	s_branch .LBB23_29
.LBB23_18:                              ;   in Loop: Header=BB23_3 Depth=1
	s_mov_b64 s[0:1], s[28:29]
	s_and_not1_b32 vcc_lo, exec_lo, s61
	s_wait_alu 0xfffe
	s_cbranch_vccnz .LBB23_29
.LBB23_19:                              ;   in Loop: Header=BB23_3 Depth=1
	s_lshl_b64 s[44:45], s[0:1], 3
	s_add_nc_u64 s[46:47], s[0:1], 1
	s_wait_alu 0xfffe
	s_add_nc_u64 s[42:43], s[38:39], s[44:45]
	s_add_nc_u64 s[44:45], s[20:21], s[44:45]
	s_branch .LBB23_21
.LBB23_20:                              ;   in Loop: Header=BB23_21 Depth=2
	s_wait_alu 0xfffe
	s_or_b32 exec_lo, exec_lo, s0
	v_mul_lo_u32 v3, v13, s48
	v_mul_lo_u32 v24, v12, s49
	v_mad_co_u64_u32 v[20:21], null, v12, s48, 0
	s_load_b64 s[0:1], s[44:45], 0xc8
	s_load_b64 s[48:49], s[42:43], 0x0
	v_mul_lo_u32 v25, v15, s54
	v_mul_lo_u32 v26, v14, s55
	v_mad_co_u64_u32 v[22:23], null, v14, s54, 0
	v_add3_u32 v3, v21, v24, v3
	v_sub_co_u32 v10, vcc_lo, v10, v20
	s_add_nc_u64 s[46:47], s[46:47], -2
	s_add_nc_u64 s[42:43], s[42:43], -16
	s_wait_alu 0xfffd
	v_sub_co_ci_u32_e64 v3, null, v11, v3, vcc_lo
	v_mul_lo_u32 v11, s53, v10
	v_mad_co_u64_u32 v[8:9], null, s52, v10, v[8:9]
	s_delay_alu instid0(VALU_DEP_3)
	v_mul_lo_u32 v20, s52, v3
	v_mul_lo_u32 v21, s51, v10
	v_mad_co_u64_u32 v[6:7], null, s50, v10, v[6:7]
	v_mul_lo_u32 v3, s50, v3
	v_add3_u32 v10, v23, v26, v25
	s_wait_alu 0xfffe
	s_cmp_eq_u64 s[46:47], 0
	s_add_nc_u64 s[44:45], s[44:45], -16
	v_add3_u32 v9, v11, v9, v20
	v_sub_co_u32 v11, vcc_lo, v12, v22
	s_wait_alu 0xfffd
	v_sub_co_ci_u32_e64 v10, null, v13, v10, vcc_lo
	v_add3_u32 v7, v21, v7, v3
	s_wait_kmcnt 0x0
	v_mad_co_u64_u32 v[8:9], null, s0, v11, v[8:9]
	s_delay_alu instid0(VALU_DEP_3) | instskip(SKIP_4) | instid1(VALU_DEP_4)
	v_mul_lo_u32 v3, s0, v10
	v_mul_lo_u32 v12, s1, v11
	;; [unrolled: 1-line block ×4, first 2 shown]
	v_mad_co_u64_u32 v[6:7], null, s48, v11, v[6:7]
	v_add3_u32 v9, v12, v9, v3
	s_delay_alu instid0(VALU_DEP_2)
	v_add3_u32 v7, v13, v7, v10
	v_dual_mov_b32 v10, v14 :: v_dual_mov_b32 v11, v15
	s_cbranch_scc1 .LBB23_29
.LBB23_21:                              ;   Parent Loop BB23_3 Depth=1
                                        ; =>  This Inner Loop Header: Depth=2
	s_load_b64 s[48:49], s[44:45], 0x8
                                        ; implicit-def: $vgpr12_vgpr13
	s_mov_b32 s0, exec_lo
	s_wait_kmcnt 0x0
	v_or_b32_e32 v3, s49, v11
	s_delay_alu instid0(VALU_DEP_1)
	v_cmpx_ne_u64_e32 0, v[2:3]
	s_wait_alu 0xfffe
	s_xor_b32 s1, exec_lo, s0
	s_cbranch_execz .LBB23_23
; %bb.22:                               ;   in Loop: Header=BB23_21 Depth=2
	s_ashr_i32 s50, s49, 31
	v_ashrrev_i32_e32 v3, 31, v11
	s_wait_alu 0xfffe
	s_mov_b32 s51, s50
	s_wait_alu 0xfffe
	s_add_nc_u64 s[52:53], s[48:49], s[50:51]
	v_add_co_u32 v12, vcc_lo, v10, v3
	s_wait_alu 0xfffe
	s_xor_b64 s[52:53], s[52:53], s[50:51]
	s_wait_alu 0xfffd
	v_add_co_ci_u32_e64 v13, null, v11, v3, vcc_lo
	s_wait_alu 0xfffe
	s_cvt_f32_u32 s0, s52
	s_cvt_f32_u32 s26, s53
	s_sub_nc_u64 s[56:57], 0, s[52:53]
	v_xor_b32_e32 v22, v12, v3
	v_xor_b32_e32 v23, v13, v3
	s_wait_alu 0xfffe
	s_fmamk_f32 s0, s26, 0x4f800000, s0
	v_xor_b32_e32 v3, s50, v3
	s_wait_alu 0xfffe
	s_delay_alu instid0(SALU_CYCLE_1) | instskip(NEXT) | instid1(TRANS32_DEP_1)
	v_s_rcp_f32 s0, s0
	s_mul_f32 s0, s0, 0x5f7ffffc
	s_wait_alu 0xfffe
	s_delay_alu instid0(SALU_CYCLE_2) | instskip(SKIP_1) | instid1(SALU_CYCLE_2)
	s_mul_f32 s26, s0, 0x2f800000
	s_wait_alu 0xfffe
	s_trunc_f32 s26, s26
	s_wait_alu 0xfffe
	s_delay_alu instid0(SALU_CYCLE_2) | instskip(SKIP_2) | instid1(SALU_CYCLE_1)
	s_fmamk_f32 s0, s26, 0xcf800000, s0
	s_cvt_u32_f32 s55, s26
	s_wait_alu 0xfffe
	s_cvt_u32_f32 s54, s0
	s_wait_alu 0xfffe
	s_delay_alu instid0(SALU_CYCLE_2)
	s_mul_u64 s[58:59], s[56:57], s[54:55]
	s_wait_alu 0xfffe
	s_mul_hi_u32 s65, s54, s59
	s_mul_i32 s64, s54, s59
	s_mul_hi_u32 s26, s54, s58
	s_mul_i32 s41, s55, s58
	s_wait_alu 0xfffe
	s_add_nc_u64 s[64:65], s[26:27], s[64:65]
	s_mul_hi_u32 s0, s55, s58
	s_mul_hi_u32 s51, s55, s59
	s_add_co_u32 s26, s64, s41
	s_wait_alu 0xfffe
	s_add_co_ci_u32 s26, s65, s0
	s_mul_i32 s58, s55, s59
	s_add_co_ci_u32 s59, s51, 0
	s_wait_alu 0xfffe
	s_add_nc_u64 s[58:59], s[26:27], s[58:59]
	s_wait_alu 0xfffe
	s_add_co_u32 s54, s54, s58
	s_cselect_b32 s0, -1, 0
	s_wait_alu 0xfffe
	s_cmp_lg_u32 s0, 0
	s_add_co_ci_u32 s55, s55, s59
	s_wait_alu 0xfffe
	s_mul_u64 s[56:57], s[56:57], s[54:55]
	s_wait_alu 0xfffe
	s_mul_hi_u32 s59, s54, s57
	s_mul_i32 s58, s54, s57
	s_mul_hi_u32 s26, s54, s56
	s_mul_i32 s41, s55, s56
	s_wait_alu 0xfffe
	s_add_nc_u64 s[58:59], s[26:27], s[58:59]
	s_mul_hi_u32 s0, s55, s56
	s_mul_hi_u32 s51, s55, s57
	s_wait_alu 0xfffe
	s_add_co_u32 s26, s58, s41
	s_add_co_ci_u32 s26, s59, s0
	s_mul_i32 s56, s55, s57
	s_add_co_ci_u32 s57, s51, 0
	s_wait_alu 0xfffe
	s_add_nc_u64 s[56:57], s[26:27], s[56:57]
	s_wait_alu 0xfffe
	s_add_co_u32 s0, s54, s56
	s_cselect_b32 s26, -1, 0
	s_wait_alu 0xfffe
	v_mul_hi_u32 v24, v22, s0
	s_cmp_lg_u32 s26, 0
	v_mad_co_u64_u32 v[14:15], null, v23, s0, 0
	s_add_co_ci_u32 s26, s55, s57
	s_wait_alu 0xfffe
	v_mad_co_u64_u32 v[12:13], null, v22, s26, 0
	v_mad_co_u64_u32 v[20:21], null, v23, s26, 0
	s_delay_alu instid0(VALU_DEP_2) | instskip(SKIP_1) | instid1(VALU_DEP_3)
	v_add_co_u32 v12, vcc_lo, v24, v12
	s_wait_alu 0xfffd
	v_add_co_ci_u32_e64 v13, null, 0, v13, vcc_lo
	s_delay_alu instid0(VALU_DEP_2) | instskip(SKIP_1) | instid1(VALU_DEP_2)
	v_add_co_u32 v12, vcc_lo, v12, v14
	s_wait_alu 0xfffd
	v_add_co_ci_u32_e32 v12, vcc_lo, v13, v15, vcc_lo
	s_wait_alu 0xfffd
	v_add_co_ci_u32_e32 v13, vcc_lo, 0, v21, vcc_lo
	s_delay_alu instid0(VALU_DEP_2) | instskip(SKIP_1) | instid1(VALU_DEP_2)
	v_add_co_u32 v14, vcc_lo, v12, v20
	s_wait_alu 0xfffd
	v_add_co_ci_u32_e64 v15, null, 0, v13, vcc_lo
	s_delay_alu instid0(VALU_DEP_2) | instskip(SKIP_1) | instid1(VALU_DEP_3)
	v_mul_lo_u32 v20, s53, v14
	v_mad_co_u64_u32 v[12:13], null, s52, v14, 0
	v_mul_lo_u32 v21, s52, v15
	s_delay_alu instid0(VALU_DEP_2) | instskip(NEXT) | instid1(VALU_DEP_2)
	v_sub_co_u32 v12, vcc_lo, v22, v12
	v_add3_u32 v13, v13, v21, v20
	v_add_co_u32 v21, s0, v14, 2
	s_wait_alu 0xf1ff
	v_add_co_ci_u32_e64 v22, null, 0, v15, s0
	s_delay_alu instid0(VALU_DEP_3) | instskip(SKIP_3) | instid1(VALU_DEP_3)
	v_sub_nc_u32_e32 v20, v23, v13
	v_sub_co_u32 v24, s0, v12, s52
	s_wait_alu 0xfffd
	v_sub_co_ci_u32_e64 v13, null, v23, v13, vcc_lo
	v_subrev_co_ci_u32_e64 v20, null, s53, v20, vcc_lo
	s_delay_alu instid0(VALU_DEP_3) | instskip(SKIP_1) | instid1(VALU_DEP_2)
	v_cmp_le_u32_e32 vcc_lo, s52, v24
	s_wait_alu 0xf1ff
	v_subrev_co_ci_u32_e64 v20, null, 0, v20, s0
	s_wait_alu 0xfffd
	v_cndmask_b32_e64 v23, 0, -1, vcc_lo
	s_delay_alu instid0(VALU_DEP_2)
	v_cmp_le_u32_e32 vcc_lo, s53, v20
	s_wait_alu 0xfffd
	v_cndmask_b32_e64 v24, 0, -1, vcc_lo
	v_cmp_le_u32_e32 vcc_lo, s52, v12
	s_wait_alu 0xfffd
	v_cndmask_b32_e64 v12, 0, -1, vcc_lo
	;; [unrolled: 3-line block ×3, first 2 shown]
	v_cmp_eq_u32_e32 vcc_lo, s53, v20
	s_wait_alu 0xfffd
	v_cndmask_b32_e32 v20, v24, v23, vcc_lo
	v_add_co_u32 v23, vcc_lo, v14, 1
	s_wait_alu 0xfffd
	v_add_co_ci_u32_e64 v24, null, 0, v15, vcc_lo
	v_cmp_eq_u32_e32 vcc_lo, s53, v13
	s_wait_alu 0xfffd
	v_cndmask_b32_e32 v12, v25, v12, vcc_lo
	v_cmp_ne_u32_e32 vcc_lo, 0, v20
	s_wait_alu 0xfffd
	v_cndmask_b32_e32 v13, v24, v22, vcc_lo
	s_delay_alu instid0(VALU_DEP_3) | instskip(SKIP_2) | instid1(VALU_DEP_2)
	v_cmp_ne_u32_e64 s0, 0, v12
	v_cndmask_b32_e32 v12, v23, v21, vcc_lo
	s_wait_alu 0xf1ff
	v_cndmask_b32_e64 v13, v15, v13, s0
	s_delay_alu instid0(VALU_DEP_2) | instskip(NEXT) | instid1(VALU_DEP_2)
	v_cndmask_b32_e64 v12, v14, v12, s0
	v_xor_b32_e32 v13, v13, v3
	s_delay_alu instid0(VALU_DEP_2) | instskip(NEXT) | instid1(VALU_DEP_1)
	v_xor_b32_e32 v12, v12, v3
	v_sub_co_u32 v12, vcc_lo, v12, v3
	s_wait_alu 0xfffd
	s_delay_alu instid0(VALU_DEP_3)
	v_sub_co_ci_u32_e64 v13, null, v13, v3, vcc_lo
.LBB23_23:                              ;   in Loop: Header=BB23_21 Depth=2
	s_wait_alu 0xfffe
	s_and_not1_saveexec_b32 s0, s1
	s_cbranch_execz .LBB23_25
; %bb.24:                               ;   in Loop: Header=BB23_21 Depth=2
	v_cvt_f32_u32_e32 v3, s48
	s_sub_co_i32 s1, 0, s48
	s_delay_alu instid0(VALU_DEP_1) | instskip(NEXT) | instid1(TRANS32_DEP_1)
	v_rcp_iflag_f32_e32 v3, v3
	v_mul_f32_e32 v3, 0x4f7ffffe, v3
	s_delay_alu instid0(VALU_DEP_1) | instskip(SKIP_1) | instid1(VALU_DEP_1)
	v_cvt_u32_f32_e32 v3, v3
	s_wait_alu 0xfffe
	v_mul_lo_u32 v12, s1, v3
	s_delay_alu instid0(VALU_DEP_1) | instskip(NEXT) | instid1(VALU_DEP_1)
	v_mul_hi_u32 v12, v3, v12
	v_add_nc_u32_e32 v3, v3, v12
	s_delay_alu instid0(VALU_DEP_1) | instskip(NEXT) | instid1(VALU_DEP_1)
	v_mul_hi_u32 v3, v10, v3
	v_mul_lo_u32 v12, v3, s48
	v_add_nc_u32_e32 v13, 1, v3
	s_delay_alu instid0(VALU_DEP_2) | instskip(NEXT) | instid1(VALU_DEP_1)
	v_sub_nc_u32_e32 v12, v10, v12
	v_subrev_nc_u32_e32 v14, s48, v12
	v_cmp_le_u32_e32 vcc_lo, s48, v12
	s_wait_alu 0xfffd
	s_delay_alu instid0(VALU_DEP_2) | instskip(NEXT) | instid1(VALU_DEP_1)
	v_dual_cndmask_b32 v12, v12, v14 :: v_dual_cndmask_b32 v3, v3, v13
	v_cmp_le_u32_e32 vcc_lo, s48, v12
	s_delay_alu instid0(VALU_DEP_2) | instskip(SKIP_1) | instid1(VALU_DEP_1)
	v_add_nc_u32_e32 v13, 1, v3
	s_wait_alu 0xfffd
	v_dual_cndmask_b32 v12, v3, v13 :: v_dual_mov_b32 v13, v2
.LBB23_25:                              ;   in Loop: Header=BB23_21 Depth=2
	s_wait_alu 0xfffe
	s_or_b32 exec_lo, exec_lo, s0
	s_clause 0x1
	s_load_b64 s[54:55], s[44:45], 0x0
	s_load_b64 s[52:53], s[44:45], 0xd0
	;; [unrolled: 1-line block ×3, first 2 shown]
                                        ; implicit-def: $vgpr14_vgpr15
	s_mov_b32 s0, exec_lo
	s_wait_kmcnt 0x0
	v_or_b32_e32 v3, s55, v13
	s_delay_alu instid0(VALU_DEP_1)
	v_cmpx_ne_u64_e32 0, v[2:3]
	s_wait_alu 0xfffe
	s_xor_b32 s1, exec_lo, s0
	s_cbranch_execz .LBB23_27
; %bb.26:                               ;   in Loop: Header=BB23_21 Depth=2
	s_ashr_i32 s56, s55, 31
	v_ashrrev_i32_e32 v3, 31, v13
	s_wait_alu 0xfffe
	s_mov_b32 s57, s56
	s_wait_alu 0xfffe
	s_add_nc_u64 s[58:59], s[54:55], s[56:57]
	v_add_co_u32 v14, vcc_lo, v12, v3
	s_wait_alu 0xfffe
	s_xor_b64 s[58:59], s[58:59], s[56:57]
	s_wait_alu 0xfffd
	v_add_co_ci_u32_e64 v15, null, v13, v3, vcc_lo
	s_wait_alu 0xfffe
	s_cvt_f32_u32 s0, s58
	s_cvt_f32_u32 s26, s59
	s_sub_nc_u64 s[66:67], 0, s[58:59]
	v_xor_b32_e32 v24, v14, v3
	v_xor_b32_e32 v25, v15, v3
	s_wait_alu 0xfffe
	s_fmamk_f32 s0, s26, 0x4f800000, s0
	v_xor_b32_e32 v3, s56, v3
	s_wait_alu 0xfffe
	s_delay_alu instid0(SALU_CYCLE_1) | instskip(NEXT) | instid1(TRANS32_DEP_1)
	v_s_rcp_f32 s0, s0
	s_mul_f32 s0, s0, 0x5f7ffffc
	s_wait_alu 0xfffe
	s_delay_alu instid0(SALU_CYCLE_2) | instskip(SKIP_1) | instid1(SALU_CYCLE_2)
	s_mul_f32 s26, s0, 0x2f800000
	s_wait_alu 0xfffe
	s_trunc_f32 s26, s26
	s_wait_alu 0xfffe
	s_delay_alu instid0(SALU_CYCLE_2) | instskip(SKIP_2) | instid1(SALU_CYCLE_1)
	s_fmamk_f32 s0, s26, 0xcf800000, s0
	s_cvt_u32_f32 s65, s26
	s_wait_alu 0xfffe
	s_cvt_u32_f32 s64, s0
	s_delay_alu instid0(SALU_CYCLE_3) | instskip(NEXT) | instid1(SALU_CYCLE_1)
	s_mul_u64 s[68:69], s[66:67], s[64:65]
	s_mul_hi_u32 s71, s64, s69
	s_mul_i32 s70, s64, s69
	s_mul_hi_u32 s26, s64, s68
	s_mul_i32 s41, s65, s68
	s_wait_alu 0xfffe
	s_add_nc_u64 s[70:71], s[26:27], s[70:71]
	s_mul_hi_u32 s0, s65, s68
	s_mul_hi_u32 s57, s65, s69
	s_add_co_u32 s26, s70, s41
	s_wait_alu 0xfffe
	s_add_co_ci_u32 s26, s71, s0
	s_mul_i32 s68, s65, s69
	s_add_co_ci_u32 s69, s57, 0
	s_wait_alu 0xfffe
	s_add_nc_u64 s[68:69], s[26:27], s[68:69]
	s_delay_alu instid0(SALU_CYCLE_1) | instskip(SKIP_4) | instid1(SALU_CYCLE_1)
	s_add_co_u32 s64, s64, s68
	s_cselect_b32 s0, -1, 0
	s_wait_alu 0xfffe
	s_cmp_lg_u32 s0, 0
	s_add_co_ci_u32 s65, s65, s69
	s_mul_u64 s[66:67], s[66:67], s[64:65]
	s_delay_alu instid0(SALU_CYCLE_1)
	s_mul_hi_u32 s69, s64, s67
	s_mul_i32 s68, s64, s67
	s_mul_hi_u32 s26, s64, s66
	s_mul_i32 s41, s65, s66
	s_wait_alu 0xfffe
	s_add_nc_u64 s[68:69], s[26:27], s[68:69]
	s_mul_hi_u32 s0, s65, s66
	s_mul_hi_u32 s57, s65, s67
	s_add_co_u32 s26, s68, s41
	s_wait_alu 0xfffe
	s_add_co_ci_u32 s26, s69, s0
	s_mul_i32 s66, s65, s67
	s_add_co_ci_u32 s67, s57, 0
	s_wait_alu 0xfffe
	s_add_nc_u64 s[66:67], s[26:27], s[66:67]
	s_delay_alu instid0(SALU_CYCLE_1)
	s_add_co_u32 s0, s64, s66
	s_cselect_b32 s26, -1, 0
	s_wait_alu 0xfffe
	v_mul_hi_u32 v26, v24, s0
	s_cmp_lg_u32 s26, 0
	v_mad_co_u64_u32 v[20:21], null, v25, s0, 0
	s_add_co_ci_u32 s26, s65, s67
	s_wait_alu 0xfffe
	v_mad_co_u64_u32 v[14:15], null, v24, s26, 0
	v_mad_co_u64_u32 v[22:23], null, v25, s26, 0
	s_delay_alu instid0(VALU_DEP_2) | instskip(SKIP_1) | instid1(VALU_DEP_3)
	v_add_co_u32 v14, vcc_lo, v26, v14
	s_wait_alu 0xfffd
	v_add_co_ci_u32_e64 v15, null, 0, v15, vcc_lo
	s_delay_alu instid0(VALU_DEP_2) | instskip(SKIP_1) | instid1(VALU_DEP_2)
	v_add_co_u32 v14, vcc_lo, v14, v20
	s_wait_alu 0xfffd
	v_add_co_ci_u32_e32 v14, vcc_lo, v15, v21, vcc_lo
	s_wait_alu 0xfffd
	v_add_co_ci_u32_e32 v15, vcc_lo, 0, v23, vcc_lo
	s_delay_alu instid0(VALU_DEP_2) | instskip(SKIP_1) | instid1(VALU_DEP_2)
	v_add_co_u32 v20, vcc_lo, v14, v22
	s_wait_alu 0xfffd
	v_add_co_ci_u32_e64 v21, null, 0, v15, vcc_lo
	s_delay_alu instid0(VALU_DEP_2) | instskip(SKIP_1) | instid1(VALU_DEP_3)
	v_mul_lo_u32 v22, s59, v20
	v_mad_co_u64_u32 v[14:15], null, s58, v20, 0
	v_mul_lo_u32 v23, s58, v21
	s_delay_alu instid0(VALU_DEP_2) | instskip(NEXT) | instid1(VALU_DEP_2)
	v_sub_co_u32 v14, vcc_lo, v24, v14
	v_add3_u32 v15, v15, v23, v22
	v_add_co_u32 v23, s0, v20, 2
	s_wait_alu 0xf1ff
	v_add_co_ci_u32_e64 v24, null, 0, v21, s0
	s_delay_alu instid0(VALU_DEP_3) | instskip(SKIP_3) | instid1(VALU_DEP_3)
	v_sub_nc_u32_e32 v22, v25, v15
	v_sub_co_u32 v26, s0, v14, s58
	s_wait_alu 0xfffd
	v_sub_co_ci_u32_e64 v15, null, v25, v15, vcc_lo
	v_subrev_co_ci_u32_e64 v22, null, s59, v22, vcc_lo
	s_delay_alu instid0(VALU_DEP_3) | instskip(SKIP_1) | instid1(VALU_DEP_2)
	v_cmp_le_u32_e32 vcc_lo, s58, v26
	s_wait_alu 0xf1ff
	v_subrev_co_ci_u32_e64 v22, null, 0, v22, s0
	s_wait_alu 0xfffd
	v_cndmask_b32_e64 v25, 0, -1, vcc_lo
	s_delay_alu instid0(VALU_DEP_2)
	v_cmp_le_u32_e32 vcc_lo, s59, v22
	s_wait_alu 0xfffd
	v_cndmask_b32_e64 v26, 0, -1, vcc_lo
	v_cmp_le_u32_e32 vcc_lo, s58, v14
	s_wait_alu 0xfffd
	v_cndmask_b32_e64 v14, 0, -1, vcc_lo
	;; [unrolled: 3-line block ×3, first 2 shown]
	v_cmp_eq_u32_e32 vcc_lo, s59, v22
	s_wait_alu 0xfffd
	v_cndmask_b32_e32 v22, v26, v25, vcc_lo
	v_add_co_u32 v25, vcc_lo, v20, 1
	s_wait_alu 0xfffd
	v_add_co_ci_u32_e64 v26, null, 0, v21, vcc_lo
	v_cmp_eq_u32_e32 vcc_lo, s59, v15
	s_wait_alu 0xfffd
	v_cndmask_b32_e32 v14, v27, v14, vcc_lo
	v_cmp_ne_u32_e32 vcc_lo, 0, v22
	s_wait_alu 0xfffd
	v_cndmask_b32_e32 v15, v26, v24, vcc_lo
	s_delay_alu instid0(VALU_DEP_3) | instskip(SKIP_2) | instid1(VALU_DEP_2)
	v_cmp_ne_u32_e64 s0, 0, v14
	v_cndmask_b32_e32 v14, v25, v23, vcc_lo
	s_wait_alu 0xf1ff
	v_cndmask_b32_e64 v15, v21, v15, s0
	s_delay_alu instid0(VALU_DEP_2) | instskip(NEXT) | instid1(VALU_DEP_2)
	v_cndmask_b32_e64 v14, v20, v14, s0
	v_xor_b32_e32 v15, v15, v3
	s_delay_alu instid0(VALU_DEP_2) | instskip(NEXT) | instid1(VALU_DEP_1)
	v_xor_b32_e32 v14, v14, v3
	v_sub_co_u32 v14, vcc_lo, v14, v3
	s_wait_alu 0xfffd
	s_delay_alu instid0(VALU_DEP_3)
	v_sub_co_ci_u32_e64 v15, null, v15, v3, vcc_lo
.LBB23_27:                              ;   in Loop: Header=BB23_21 Depth=2
	s_wait_alu 0xfffe
	s_and_not1_saveexec_b32 s0, s1
	s_cbranch_execz .LBB23_20
; %bb.28:                               ;   in Loop: Header=BB23_21 Depth=2
	v_cvt_f32_u32_e32 v3, s54
	s_sub_co_i32 s1, 0, s54
	s_delay_alu instid0(VALU_DEP_1) | instskip(NEXT) | instid1(TRANS32_DEP_1)
	v_rcp_iflag_f32_e32 v3, v3
	v_mul_f32_e32 v3, 0x4f7ffffe, v3
	s_delay_alu instid0(VALU_DEP_1) | instskip(SKIP_1) | instid1(VALU_DEP_1)
	v_cvt_u32_f32_e32 v3, v3
	s_wait_alu 0xfffe
	v_mul_lo_u32 v14, s1, v3
	s_delay_alu instid0(VALU_DEP_1) | instskip(NEXT) | instid1(VALU_DEP_1)
	v_mul_hi_u32 v14, v3, v14
	v_add_nc_u32_e32 v3, v3, v14
	s_delay_alu instid0(VALU_DEP_1) | instskip(NEXT) | instid1(VALU_DEP_1)
	v_mul_hi_u32 v3, v12, v3
	v_mul_lo_u32 v14, v3, s54
	v_add_nc_u32_e32 v15, 1, v3
	s_delay_alu instid0(VALU_DEP_2) | instskip(NEXT) | instid1(VALU_DEP_1)
	v_sub_nc_u32_e32 v14, v12, v14
	v_subrev_nc_u32_e32 v20, s54, v14
	v_cmp_le_u32_e32 vcc_lo, s54, v14
	s_wait_alu 0xfffd
	s_delay_alu instid0(VALU_DEP_2) | instskip(NEXT) | instid1(VALU_DEP_1)
	v_dual_cndmask_b32 v14, v14, v20 :: v_dual_cndmask_b32 v3, v3, v15
	v_cmp_le_u32_e32 vcc_lo, s54, v14
	s_delay_alu instid0(VALU_DEP_2) | instskip(SKIP_1) | instid1(VALU_DEP_1)
	v_add_nc_u32_e32 v15, 1, v3
	s_wait_alu 0xfffd
	v_dual_cndmask_b32 v14, v3, v15 :: v_dual_mov_b32 v15, v2
	s_branch .LBB23_20
.LBB23_29:                              ;   in Loop: Header=BB23_3 Depth=1
	v_sub_co_u32 v12, vcc_lo, v4, v18
	v_mov_b32_e32 v14, 0
	v_dual_mov_b32 v15, 0 :: v_dual_mov_b32 v10, 0
	s_wait_alu 0xfffd
	v_sub_co_ci_u32_e64 v13, null, v5, v19, vcc_lo
	v_mov_b32_e32 v11, 0
	s_mov_b32 s0, exec_lo
	s_delay_alu instid0(VALU_DEP_2)
	v_cmpx_ge_i64_e64 s[4:5], v[12:13]
	s_cbranch_execz .LBB23_35
; %bb.30:                               ;   in Loop: Header=BB23_3 Depth=1
	v_mov_b32_e32 v10, 0
	v_dual_mov_b32 v11, 0 :: v_dual_mov_b32 v14, 0
	v_mov_b32_e32 v15, 0
	s_mov_b32 s1, exec_lo
	v_cmpx_gt_i64_e64 s[10:11], v[4:5]
	s_cbranch_execz .LBB23_34
; %bb.31:                               ;   in Loop: Header=BB23_3 Depth=1
	v_lshlrev_b64_e32 v[8:9], 3, v[8:9]
	s_delay_alu instid0(VALU_DEP_1) | instskip(SKIP_1) | instid1(VALU_DEP_2)
	v_add_co_u32 v8, vcc_lo, s2, v8
	s_wait_alu 0xfffd
	v_add_co_ci_u32_e64 v9, null, s3, v9, vcc_lo
	v_add_co_u32 v14, vcc_lo, v4, 1
	s_wait_alu 0xfffd
	v_add_co_ci_u32_e64 v15, null, 0, v5, vcc_lo
	global_load_b64 v[10:11], v[8:9], off
	v_cmp_gt_i64_e32 vcc_lo, s[10:11], v[14:15]
	v_mov_b32_e32 v14, 0
	v_mov_b32_e32 v15, 0
	s_and_saveexec_b32 s26, vcc_lo
	s_wait_alu 0xfffe
	s_xor_b32 s26, exec_lo, s26
	s_cbranch_execz .LBB23_33
; %bb.32:                               ;   in Loop: Header=BB23_3 Depth=1
	s_lshl_b64 s[42:43], s[14:15], 3
	s_wait_alu 0xfffe
	v_add_co_u32 v8, vcc_lo, v8, s42
	s_wait_alu 0xfffd
	v_add_co_ci_u32_e64 v9, null, s43, v9, vcc_lo
	global_load_b64 v[14:15], v[8:9], off
.LBB23_33:                              ;   in Loop: Header=BB23_3 Depth=1
	s_wait_alu 0xfffe
	s_or_b32 exec_lo, exec_lo, s26
.LBB23_34:                              ;   in Loop: Header=BB23_3 Depth=1
	s_wait_alu 0xfffe
	s_or_b32 exec_lo, exec_lo, s1
	v_add_co_u32 v8, vcc_lo, v12, 1
	s_wait_alu 0xfffd
	v_add_co_ci_u32_e64 v9, null, 0, v13, vcc_lo
	s_delay_alu instid0(VALU_DEP_1)
	v_cmp_ge_i64_e32 vcc_lo, s[4:5], v[8:9]
	s_wait_loadcnt 0x0
	s_wait_alu 0xfffd
	v_dual_cndmask_b32 v15, 0, v15 :: v_dual_cndmask_b32 v14, 0, v14
.LBB23_35:                              ;   in Loop: Header=BB23_3 Depth=1
	s_wait_alu 0xfffe
	s_or_b32 exec_lo, exec_lo, s0
	s_delay_alu instid0(SALU_CYCLE_1)
	s_mov_b32 s0, exec_lo
	v_cmpx_gt_i64_e64 s[10:11], v[4:5]
	s_cbranch_execz .LBB23_2
; %bb.36:                               ;   in Loop: Header=BB23_3 Depth=1
	v_lshlrev_b64_e32 v[6:7], 3, v[6:7]
	v_add_co_u32 v8, vcc_lo, v4, 1
	s_wait_alu 0xfffd
	v_add_co_ci_u32_e64 v9, null, 0, v5, vcc_lo
	s_mov_b32 s1, exec_lo
	v_add_co_u32 v3, vcc_lo, s24, v6
	s_wait_alu 0xfffd
	v_add_co_ci_u32_e64 v4, null, s25, v7, vcc_lo
	global_store_b64 v[3:4], v[10:11], off
	v_cmpx_gt_i64_e64 s[10:11], v[8:9]
	s_wait_alu 0xfffe
	s_xor_b32 s1, exec_lo, s1
	s_cbranch_execz .LBB23_2
; %bb.37:                               ;   in Loop: Header=BB23_3 Depth=1
	s_lshl_b64 s[42:43], s[18:19], 3
	s_wait_alu 0xfffe
	v_add_co_u32 v3, vcc_lo, v3, s42
	s_wait_alu 0xfffd
	v_add_co_ci_u32_e64 v4, null, s43, v4, vcc_lo
	global_store_b64 v[3:4], v[14:15], off
	s_branch .LBB23_2
.LBB23_38:
	s_endpgm
	.section	.rodata,"a",@progbits
	.p2align	6, 0x0
	.amdhsa_kernel _ZN2at6native16triu_tril_kernelIdlLb0ELi2ELb0EEEvNS_4cuda6detail10TensorInfoIT_T0_EENS4_IKS5_S6_EEllS6_
		.amdhsa_group_segment_fixed_size 0
		.amdhsa_private_segment_fixed_size 0
		.amdhsa_kernarg_size 1112
		.amdhsa_user_sgpr_count 2
		.amdhsa_user_sgpr_dispatch_ptr 0
		.amdhsa_user_sgpr_queue_ptr 0
		.amdhsa_user_sgpr_kernarg_segment_ptr 1
		.amdhsa_user_sgpr_dispatch_id 0
		.amdhsa_user_sgpr_private_segment_size 0
		.amdhsa_wavefront_size32 1
		.amdhsa_uses_dynamic_stack 0
		.amdhsa_enable_private_segment 0
		.amdhsa_system_sgpr_workgroup_id_x 1
		.amdhsa_system_sgpr_workgroup_id_y 0
		.amdhsa_system_sgpr_workgroup_id_z 0
		.amdhsa_system_sgpr_workgroup_info 0
		.amdhsa_system_vgpr_workitem_id 0
		.amdhsa_next_free_vgpr 28
		.amdhsa_next_free_sgpr 72
		.amdhsa_reserve_vcc 1
		.amdhsa_float_round_mode_32 0
		.amdhsa_float_round_mode_16_64 0
		.amdhsa_float_denorm_mode_32 3
		.amdhsa_float_denorm_mode_16_64 3
		.amdhsa_fp16_overflow 0
		.amdhsa_workgroup_processor_mode 1
		.amdhsa_memory_ordered 1
		.amdhsa_forward_progress 1
		.amdhsa_inst_pref_size 51
		.amdhsa_round_robin_scheduling 0
		.amdhsa_exception_fp_ieee_invalid_op 0
		.amdhsa_exception_fp_denorm_src 0
		.amdhsa_exception_fp_ieee_div_zero 0
		.amdhsa_exception_fp_ieee_overflow 0
		.amdhsa_exception_fp_ieee_underflow 0
		.amdhsa_exception_fp_ieee_inexact 0
		.amdhsa_exception_int_div_zero 0
	.end_amdhsa_kernel
	.section	.text._ZN2at6native16triu_tril_kernelIdlLb0ELi2ELb0EEEvNS_4cuda6detail10TensorInfoIT_T0_EENS4_IKS5_S6_EEllS6_,"axG",@progbits,_ZN2at6native16triu_tril_kernelIdlLb0ELi2ELb0EEEvNS_4cuda6detail10TensorInfoIT_T0_EENS4_IKS5_S6_EEllS6_,comdat
.Lfunc_end23:
	.size	_ZN2at6native16triu_tril_kernelIdlLb0ELi2ELb0EEEvNS_4cuda6detail10TensorInfoIT_T0_EENS4_IKS5_S6_EEllS6_, .Lfunc_end23-_ZN2at6native16triu_tril_kernelIdlLb0ELi2ELb0EEEvNS_4cuda6detail10TensorInfoIT_T0_EENS4_IKS5_S6_EEllS6_
                                        ; -- End function
	.set _ZN2at6native16triu_tril_kernelIdlLb0ELi2ELb0EEEvNS_4cuda6detail10TensorInfoIT_T0_EENS4_IKS5_S6_EEllS6_.num_vgpr, 28
	.set _ZN2at6native16triu_tril_kernelIdlLb0ELi2ELb0EEEvNS_4cuda6detail10TensorInfoIT_T0_EENS4_IKS5_S6_EEllS6_.num_agpr, 0
	.set _ZN2at6native16triu_tril_kernelIdlLb0ELi2ELb0EEEvNS_4cuda6detail10TensorInfoIT_T0_EENS4_IKS5_S6_EEllS6_.numbered_sgpr, 72
	.set _ZN2at6native16triu_tril_kernelIdlLb0ELi2ELb0EEEvNS_4cuda6detail10TensorInfoIT_T0_EENS4_IKS5_S6_EEllS6_.num_named_barrier, 0
	.set _ZN2at6native16triu_tril_kernelIdlLb0ELi2ELb0EEEvNS_4cuda6detail10TensorInfoIT_T0_EENS4_IKS5_S6_EEllS6_.private_seg_size, 0
	.set _ZN2at6native16triu_tril_kernelIdlLb0ELi2ELb0EEEvNS_4cuda6detail10TensorInfoIT_T0_EENS4_IKS5_S6_EEllS6_.uses_vcc, 1
	.set _ZN2at6native16triu_tril_kernelIdlLb0ELi2ELb0EEEvNS_4cuda6detail10TensorInfoIT_T0_EENS4_IKS5_S6_EEllS6_.uses_flat_scratch, 0
	.set _ZN2at6native16triu_tril_kernelIdlLb0ELi2ELb0EEEvNS_4cuda6detail10TensorInfoIT_T0_EENS4_IKS5_S6_EEllS6_.has_dyn_sized_stack, 0
	.set _ZN2at6native16triu_tril_kernelIdlLb0ELi2ELb0EEEvNS_4cuda6detail10TensorInfoIT_T0_EENS4_IKS5_S6_EEllS6_.has_recursion, 0
	.set _ZN2at6native16triu_tril_kernelIdlLb0ELi2ELb0EEEvNS_4cuda6detail10TensorInfoIT_T0_EENS4_IKS5_S6_EEllS6_.has_indirect_call, 0
	.section	.AMDGPU.csdata,"",@progbits
; Kernel info:
; codeLenInByte = 6492
; TotalNumSgprs: 74
; NumVgprs: 28
; ScratchSize: 0
; MemoryBound: 0
; FloatMode: 240
; IeeeMode: 1
; LDSByteSize: 0 bytes/workgroup (compile time only)
; SGPRBlocks: 0
; VGPRBlocks: 3
; NumSGPRsForWavesPerEU: 74
; NumVGPRsForWavesPerEU: 28
; Occupancy: 16
; WaveLimiterHint : 0
; COMPUTE_PGM_RSRC2:SCRATCH_EN: 0
; COMPUTE_PGM_RSRC2:USER_SGPR: 2
; COMPUTE_PGM_RSRC2:TRAP_HANDLER: 0
; COMPUTE_PGM_RSRC2:TGID_X_EN: 1
; COMPUTE_PGM_RSRC2:TGID_Y_EN: 0
; COMPUTE_PGM_RSRC2:TGID_Z_EN: 0
; COMPUTE_PGM_RSRC2:TIDIG_COMP_CNT: 0
	.section	.text._ZN2at6native16triu_tril_kernelIfiLb0ELi2ELb1EEEvNS_4cuda6detail10TensorInfoIT_T0_EENS4_IKS5_S6_EEllS6_,"axG",@progbits,_ZN2at6native16triu_tril_kernelIfiLb0ELi2ELb1EEEvNS_4cuda6detail10TensorInfoIT_T0_EENS4_IKS5_S6_EEllS6_,comdat
	.protected	_ZN2at6native16triu_tril_kernelIfiLb0ELi2ELb1EEEvNS_4cuda6detail10TensorInfoIT_T0_EENS4_IKS5_S6_EEllS6_ ; -- Begin function _ZN2at6native16triu_tril_kernelIfiLb0ELi2ELb1EEEvNS_4cuda6detail10TensorInfoIT_T0_EENS4_IKS5_S6_EEllS6_
	.globl	_ZN2at6native16triu_tril_kernelIfiLb0ELi2ELb1EEEvNS_4cuda6detail10TensorInfoIT_T0_EENS4_IKS5_S6_EEllS6_
	.p2align	8
	.type	_ZN2at6native16triu_tril_kernelIfiLb0ELi2ELb1EEEvNS_4cuda6detail10TensorInfoIT_T0_EENS4_IKS5_S6_EEllS6_,@function
_ZN2at6native16triu_tril_kernelIfiLb0ELi2ELb1EEEvNS_4cuda6detail10TensorInfoIT_T0_EENS4_IKS5_S6_EEllS6_: ; @_ZN2at6native16triu_tril_kernelIfiLb0ELi2ELb1EEEvNS_4cuda6detail10TensorInfoIT_T0_EENS4_IKS5_S6_EEllS6_
; %bb.0:
	s_clause 0x1
	s_load_b32 s2, s[0:1], 0x1d4
	s_load_b128 s[4:7], s[0:1], 0x1b0
	v_mov_b32_e32 v2, 0
	s_mov_b32 s3, exec_lo
	s_delay_alu instid0(VALU_DEP_1)
	v_mov_b32_e32 v1, v2
	s_wait_kmcnt 0x0
	s_and_b32 s2, s2, 0xffff
	s_delay_alu instid0(VALU_DEP_1) | instid1(SALU_CYCLE_1)
	v_mad_co_u64_u32 v[0:1], null, s2, ttmp9, v[0:1]
	s_delay_alu instid0(VALU_DEP_1) | instskip(NEXT) | instid1(VALU_DEP_1)
	v_lshlrev_b64_e32 v[0:1], 1, v[0:1]
	v_cmpx_gt_i64_e64 s[6:7], v[0:1]
	s_cbranch_execz .LBB24_62
; %bb.1:
	s_clause 0x1
	s_load_b32 s20, s[0:1], 0x1a8
	s_load_b32 s8, s[0:1], 0x1c0
	s_add_nc_u64 s[12:13], s[0:1], 0x1c8
	s_add_nc_u64 s[10:11], s[0:1], 0xd8
	s_load_b32 s3, s[12:13], 0x0
	s_mov_b32 s19, 0
	s_mov_b32 s57, 0
	s_wait_kmcnt 0x0
	s_ashr_i32 s21, s20, 31
	v_cvt_f32_u32_e32 v3, s8
	s_lshl_b64 s[22:23], s[20:21], 2
	s_add_co_i32 s9, s20, 6
	s_add_nc_u64 s[12:13], s[10:11], s[22:23]
	s_mul_i32 s3, s3, s2
	s_clause 0x1
	s_load_b32 s14, s[12:13], 0x0
	s_load_b64 s[16:17], s[0:1], 0x0
	v_rcp_iflag_f32_e32 v3, v3
	s_and_b32 s18, s20, 7
	s_add_co_i32 s33, s20, -3
	s_and_b32 s52, s9, 7
	s_lshl_b32 s53, s3, 1
	s_ashr_i32 s9, s8, 31
	v_cmp_gt_i64_e64 s56, s[20:21], 2
	s_add_nc_u64 s[20:21], s[0:1], s[22:23]
	s_wait_kmcnt 0x0
	v_cvt_f32_u32_e32 v4, s14
	s_ashr_i32 s15, s14, 31
	s_cmp_lg_u32 s18, 2
	s_cselect_b32 s54, -1, 0
	s_delay_alu instid0(VALU_DEP_1)
	v_rcp_iflag_f32_e32 v4, v4
	v_mul_f32_e32 v3, 0x4f7ffffe, v3
	s_cmp_gt_u32 s33, 6
	s_cselect_b32 s55, -1, 0
	s_sub_co_i32 s2, 0, s8
	s_wait_alu 0xfffe
	s_ashr_i32 s22, s9, 31
	s_ashr_i32 s24, s15, 31
	s_delay_alu instid0(TRANS32_DEP_1) | instskip(SKIP_1) | instid1(VALU_DEP_2)
	v_mul_f32_e32 v4, 0x4f7ffffe, v4
	v_cvt_u32_f32_e32 v3, v3
	v_cvt_u32_f32_e32 v25, v4
	s_delay_alu instid0(VALU_DEP_2) | instskip(NEXT) | instid1(VALU_DEP_1)
	v_mul_lo_u32 v5, s2, v3
	v_mul_hi_u32 v5, v3, v5
	s_delay_alu instid0(VALU_DEP_1)
	v_add_nc_u32_e32 v26, v3, v5
	s_branch .LBB24_3
.LBB24_2:                               ;   in Loop: Header=BB24_3 Depth=1
	s_wait_alu 0xfffe
	s_or_b32 exec_lo, exec_lo, s23
	v_add_co_u32 v0, vcc_lo, v0, s53
	s_wait_alu 0xfffd
	v_add_co_ci_u32_e64 v1, null, 0, v1, vcc_lo
	s_delay_alu instid0(VALU_DEP_1) | instskip(SKIP_1) | instid1(SALU_CYCLE_1)
	v_cmp_le_i64_e32 vcc_lo, s[6:7], v[0:1]
	s_or_b32 s57, vcc_lo, s57
	s_and_not1_b32 exec_lo, exec_lo, s57
	s_cbranch_execz .LBB24_62
.LBB24_3:                               ; =>This Loop Header: Depth=1
                                        ;     Child Loop BB24_16 Depth 2
                                        ;     Child Loop BB24_22 Depth 2
	v_or_b32_e32 v3, s9, v1
                                        ; implicit-def: $vgpr4_vgpr5
	s_mov_b32 s2, exec_lo
	s_delay_alu instid0(VALU_DEP_1)
	v_cmpx_ne_u64_e32 0, v[2:3]
	s_wait_alu 0xfffe
	s_xor_b32 s3, exec_lo, s2
	s_cbranch_execz .LBB24_5
; %bb.4:                                ;   in Loop: Header=BB24_3 Depth=1
	s_mov_b32 s23, s22
	v_ashrrev_i32_e32 v9, 31, v1
	s_wait_alu 0xfffe
	s_add_nc_u64 s[26:27], s[8:9], s[22:23]
	s_wait_alu 0xfffe
	s_xor_b64 s[26:27], s[26:27], s[22:23]
	v_add_co_u32 v3, vcc_lo, v0, v9
	s_wait_alu 0xfffe
	s_cvt_f32_u32 s2, s26
	s_cvt_f32_u32 s18, s27
	s_sub_nc_u64 s[30:31], 0, s[26:27]
	s_wait_alu 0xfffd
	v_add_co_ci_u32_e64 v4, null, v1, v9, vcc_lo
	s_wait_alu 0xfffe
	s_fmamk_f32 s2, s18, 0x4f800000, s2
	v_xor_b32_e32 v10, v3, v9
	s_delay_alu instid0(VALU_DEP_2) | instskip(SKIP_2) | instid1(TRANS32_DEP_1)
	v_xor_b32_e32 v11, v4, v9
	s_wait_alu 0xfffe
	v_s_rcp_f32 s2, s2
	s_mul_f32 s2, s2, 0x5f7ffffc
	s_wait_alu 0xfffe
	s_delay_alu instid0(SALU_CYCLE_2) | instskip(SKIP_1) | instid1(SALU_CYCLE_2)
	s_mul_f32 s18, s2, 0x2f800000
	s_wait_alu 0xfffe
	s_trunc_f32 s18, s18
	s_wait_alu 0xfffe
	s_delay_alu instid0(SALU_CYCLE_2) | instskip(SKIP_2) | instid1(SALU_CYCLE_1)
	s_fmamk_f32 s2, s18, 0xcf800000, s2
	s_cvt_u32_f32 s29, s18
	s_wait_alu 0xfffe
	s_cvt_u32_f32 s28, s2
	s_wait_alu 0xfffe
	s_delay_alu instid0(SALU_CYCLE_2)
	s_mul_u64 s[34:35], s[30:31], s[28:29]
	s_wait_alu 0xfffe
	s_mul_hi_u32 s37, s28, s35
	s_mul_i32 s36, s28, s35
	s_mul_hi_u32 s18, s28, s34
	s_mul_i32 s23, s29, s34
	s_wait_alu 0xfffe
	s_add_nc_u64 s[36:37], s[18:19], s[36:37]
	s_mul_hi_u32 s2, s29, s34
	s_mul_hi_u32 s25, s29, s35
	s_wait_alu 0xfffe
	s_add_co_u32 s18, s36, s23
	s_add_co_ci_u32 s18, s37, s2
	s_mul_i32 s34, s29, s35
	s_add_co_ci_u32 s35, s25, 0
	s_wait_alu 0xfffe
	s_add_nc_u64 s[34:35], s[18:19], s[34:35]
	s_wait_alu 0xfffe
	s_add_co_u32 s28, s28, s34
	s_cselect_b32 s2, -1, 0
	s_wait_alu 0xfffe
	s_cmp_lg_u32 s2, 0
	s_add_co_ci_u32 s29, s29, s35
	s_wait_alu 0xfffe
	s_mul_u64 s[30:31], s[30:31], s[28:29]
	s_wait_alu 0xfffe
	s_mul_hi_u32 s35, s28, s31
	s_mul_i32 s34, s28, s31
	s_mul_hi_u32 s18, s28, s30
	s_mul_i32 s23, s29, s30
	s_wait_alu 0xfffe
	s_add_nc_u64 s[34:35], s[18:19], s[34:35]
	s_mul_hi_u32 s2, s29, s30
	s_mul_hi_u32 s25, s29, s31
	s_wait_alu 0xfffe
	s_add_co_u32 s18, s34, s23
	s_add_co_ci_u32 s18, s35, s2
	s_mul_i32 s30, s29, s31
	s_add_co_ci_u32 s31, s25, 0
	s_wait_alu 0xfffe
	s_add_nc_u64 s[30:31], s[18:19], s[30:31]
	s_wait_alu 0xfffe
	s_add_co_u32 s2, s28, s30
	s_cselect_b32 s18, -1, 0
	s_wait_alu 0xfffe
	v_mul_hi_u32 v12, v10, s2
	s_cmp_lg_u32 s18, 0
	v_mad_co_u64_u32 v[5:6], null, v11, s2, 0
	s_add_co_ci_u32 s18, s29, s31
	s_wait_alu 0xfffe
	v_mad_co_u64_u32 v[3:4], null, v10, s18, 0
	v_mad_co_u64_u32 v[7:8], null, v11, s18, 0
	s_delay_alu instid0(VALU_DEP_2) | instskip(SKIP_1) | instid1(VALU_DEP_3)
	v_add_co_u32 v3, vcc_lo, v12, v3
	s_wait_alu 0xfffd
	v_add_co_ci_u32_e64 v4, null, 0, v4, vcc_lo
	s_delay_alu instid0(VALU_DEP_2) | instskip(SKIP_1) | instid1(VALU_DEP_2)
	v_add_co_u32 v3, vcc_lo, v3, v5
	s_wait_alu 0xfffd
	v_add_co_ci_u32_e32 v3, vcc_lo, v4, v6, vcc_lo
	s_wait_alu 0xfffd
	v_add_co_ci_u32_e32 v4, vcc_lo, 0, v8, vcc_lo
	s_delay_alu instid0(VALU_DEP_2) | instskip(SKIP_1) | instid1(VALU_DEP_2)
	v_add_co_u32 v5, vcc_lo, v3, v7
	s_wait_alu 0xfffd
	v_add_co_ci_u32_e64 v6, null, 0, v4, vcc_lo
	s_delay_alu instid0(VALU_DEP_2) | instskip(SKIP_1) | instid1(VALU_DEP_3)
	v_mul_lo_u32 v7, s27, v5
	v_mad_co_u64_u32 v[3:4], null, s26, v5, 0
	v_mul_lo_u32 v8, s26, v6
	s_delay_alu instid0(VALU_DEP_2) | instskip(NEXT) | instid1(VALU_DEP_2)
	v_sub_co_u32 v3, vcc_lo, v10, v3
	v_add3_u32 v4, v4, v8, v7
	v_add_co_u32 v8, s2, v5, 2
	s_wait_alu 0xf1ff
	v_add_co_ci_u32_e64 v10, null, 0, v6, s2
	s_delay_alu instid0(VALU_DEP_3) | instskip(SKIP_3) | instid1(VALU_DEP_3)
	v_sub_nc_u32_e32 v7, v11, v4
	v_sub_co_u32 v12, s2, v3, s26
	s_wait_alu 0xfffd
	v_sub_co_ci_u32_e64 v4, null, v11, v4, vcc_lo
	v_subrev_co_ci_u32_e64 v7, null, s27, v7, vcc_lo
	s_delay_alu instid0(VALU_DEP_3) | instskip(SKIP_1) | instid1(VALU_DEP_2)
	v_cmp_le_u32_e32 vcc_lo, s26, v12
	s_wait_alu 0xf1ff
	v_subrev_co_ci_u32_e64 v7, null, 0, v7, s2
	s_wait_alu 0xfffd
	v_cndmask_b32_e64 v11, 0, -1, vcc_lo
	s_delay_alu instid0(VALU_DEP_2)
	v_cmp_le_u32_e32 vcc_lo, s27, v7
	s_wait_alu 0xfffd
	v_cndmask_b32_e64 v12, 0, -1, vcc_lo
	v_cmp_le_u32_e32 vcc_lo, s26, v3
	s_wait_alu 0xfffd
	v_cndmask_b32_e64 v3, 0, -1, vcc_lo
	;; [unrolled: 3-line block ×3, first 2 shown]
	v_cmp_eq_u32_e32 vcc_lo, s27, v7
	s_wait_alu 0xfffd
	v_cndmask_b32_e32 v7, v12, v11, vcc_lo
	v_add_co_u32 v11, vcc_lo, v5, 1
	s_wait_alu 0xfffd
	v_add_co_ci_u32_e64 v12, null, 0, v6, vcc_lo
	v_cmp_eq_u32_e32 vcc_lo, s27, v4
	s_wait_alu 0xfffd
	v_cndmask_b32_e32 v3, v13, v3, vcc_lo
	v_cmp_ne_u32_e32 vcc_lo, 0, v7
	v_xor_b32_e32 v7, s22, v9
	s_wait_alu 0xfffd
	v_cndmask_b32_e32 v4, v12, v10, vcc_lo
	v_cmp_ne_u32_e64 s2, 0, v3
	v_cndmask_b32_e32 v3, v11, v8, vcc_lo
	s_wait_alu 0xf1ff
	s_delay_alu instid0(VALU_DEP_2) | instskip(NEXT) | instid1(VALU_DEP_2)
	v_cndmask_b32_e64 v4, v6, v4, s2
	v_cndmask_b32_e64 v3, v5, v3, s2
	s_delay_alu instid0(VALU_DEP_2) | instskip(NEXT) | instid1(VALU_DEP_2)
	v_xor_b32_e32 v5, v4, v7
	v_xor_b32_e32 v3, v3, v7
	s_delay_alu instid0(VALU_DEP_1) | instskip(SKIP_1) | instid1(VALU_DEP_3)
	v_sub_co_u32 v4, vcc_lo, v3, v7
	s_wait_alu 0xfffd
	v_sub_co_ci_u32_e64 v5, null, v5, v7, vcc_lo
.LBB24_5:                               ;   in Loop: Header=BB24_3 Depth=1
	s_wait_alu 0xfffe
	s_and_not1_saveexec_b32 s2, s3
	s_cbranch_execz .LBB24_7
; %bb.6:                                ;   in Loop: Header=BB24_3 Depth=1
	v_mul_hi_u32 v3, v0, v26
	s_delay_alu instid0(VALU_DEP_1) | instskip(NEXT) | instid1(VALU_DEP_1)
	v_mul_lo_u32 v4, v3, s8
	v_sub_nc_u32_e32 v4, v0, v4
	s_delay_alu instid0(VALU_DEP_1) | instskip(SKIP_2) | instid1(VALU_DEP_2)
	v_subrev_nc_u32_e32 v6, s8, v4
	v_cmp_le_u32_e32 vcc_lo, s8, v4
	s_wait_alu 0xfffd
	v_dual_cndmask_b32 v4, v4, v6 :: v_dual_add_nc_u32 v5, 1, v3
	s_delay_alu instid0(VALU_DEP_1) | instskip(NEXT) | instid1(VALU_DEP_2)
	v_cndmask_b32_e32 v3, v3, v5, vcc_lo
	v_cmp_le_u32_e32 vcc_lo, s8, v4
	s_delay_alu instid0(VALU_DEP_2) | instskip(SKIP_1) | instid1(VALU_DEP_1)
	v_add_nc_u32_e32 v5, 1, v3
	s_wait_alu 0xfffd
	v_dual_cndmask_b32 v4, v3, v5 :: v_dual_mov_b32 v5, v2
.LBB24_7:                               ;   in Loop: Header=BB24_3 Depth=1
	s_wait_alu 0xfffe
	s_or_b32 exec_lo, exec_lo, s2
	s_delay_alu instid0(VALU_DEP_1) | instskip(SKIP_1) | instid1(VALU_DEP_1)
	v_or_b32_e32 v3, s15, v5
                                        ; implicit-def: $vgpr7_vgpr8
	s_mov_b32 s2, exec_lo
	v_cmpx_ne_u64_e32 0, v[2:3]
	s_wait_alu 0xfffe
	s_xor_b32 s3, exec_lo, s2
	s_cbranch_execz .LBB24_9
; %bb.8:                                ;   in Loop: Header=BB24_3 Depth=1
	s_mov_b32 s25, s24
	v_ashrrev_i32_e32 v3, 31, v5
	s_wait_alu 0xfffe
	s_add_nc_u64 s[26:27], s[14:15], s[24:25]
	s_wait_alu 0xfffe
	s_xor_b64 s[26:27], s[26:27], s[24:25]
	v_add_co_u32 v6, vcc_lo, v4, v3
	s_wait_alu 0xfffe
	s_cvt_f32_u32 s2, s26
	s_cvt_f32_u32 s18, s27
	s_sub_nc_u64 s[30:31], 0, s[26:27]
	s_wait_alu 0xfffd
	v_add_co_ci_u32_e64 v5, null, v5, v3, vcc_lo
	s_wait_alu 0xfffe
	s_fmamk_f32 s2, s18, 0x4f800000, s2
	v_xor_b32_e32 v11, v6, v3
	s_delay_alu instid0(VALU_DEP_2) | instskip(SKIP_3) | instid1(TRANS32_DEP_1)
	v_xor_b32_e32 v12, v5, v3
	s_wait_alu 0xfffe
	v_s_rcp_f32 s2, s2
	v_xor_b32_e32 v3, s24, v3
	s_mul_f32 s2, s2, 0x5f7ffffc
	s_wait_alu 0xfffe
	s_delay_alu instid0(SALU_CYCLE_2) | instskip(SKIP_1) | instid1(SALU_CYCLE_2)
	s_mul_f32 s18, s2, 0x2f800000
	s_wait_alu 0xfffe
	s_trunc_f32 s18, s18
	s_wait_alu 0xfffe
	s_delay_alu instid0(SALU_CYCLE_2) | instskip(SKIP_2) | instid1(SALU_CYCLE_1)
	s_fmamk_f32 s2, s18, 0xcf800000, s2
	s_cvt_u32_f32 s29, s18
	s_wait_alu 0xfffe
	s_cvt_u32_f32 s28, s2
	s_wait_alu 0xfffe
	s_delay_alu instid0(SALU_CYCLE_2)
	s_mul_u64 s[34:35], s[30:31], s[28:29]
	s_wait_alu 0xfffe
	s_mul_hi_u32 s37, s28, s35
	s_mul_i32 s36, s28, s35
	s_mul_hi_u32 s18, s28, s34
	s_mul_i32 s23, s29, s34
	s_wait_alu 0xfffe
	s_add_nc_u64 s[36:37], s[18:19], s[36:37]
	s_mul_hi_u32 s2, s29, s34
	s_mul_hi_u32 s25, s29, s35
	s_wait_alu 0xfffe
	s_add_co_u32 s18, s36, s23
	s_add_co_ci_u32 s18, s37, s2
	s_mul_i32 s34, s29, s35
	s_add_co_ci_u32 s35, s25, 0
	s_wait_alu 0xfffe
	s_add_nc_u64 s[34:35], s[18:19], s[34:35]
	s_wait_alu 0xfffe
	s_add_co_u32 s28, s28, s34
	s_cselect_b32 s2, -1, 0
	s_wait_alu 0xfffe
	s_cmp_lg_u32 s2, 0
	s_add_co_ci_u32 s29, s29, s35
	s_wait_alu 0xfffe
	s_mul_u64 s[30:31], s[30:31], s[28:29]
	s_wait_alu 0xfffe
	s_mul_hi_u32 s35, s28, s31
	s_mul_i32 s34, s28, s31
	s_mul_hi_u32 s18, s28, s30
	s_mul_i32 s23, s29, s30
	s_wait_alu 0xfffe
	s_add_nc_u64 s[34:35], s[18:19], s[34:35]
	s_mul_hi_u32 s2, s29, s30
	s_mul_hi_u32 s25, s29, s31
	s_wait_alu 0xfffe
	s_add_co_u32 s18, s34, s23
	s_add_co_ci_u32 s18, s35, s2
	s_mul_i32 s30, s29, s31
	s_add_co_ci_u32 s31, s25, 0
	s_wait_alu 0xfffe
	s_add_nc_u64 s[30:31], s[18:19], s[30:31]
	s_wait_alu 0xfffe
	s_add_co_u32 s2, s28, s30
	s_cselect_b32 s18, -1, 0
	s_wait_alu 0xfffe
	v_mul_hi_u32 v13, v11, s2
	s_cmp_lg_u32 s18, 0
	v_mad_co_u64_u32 v[7:8], null, v12, s2, 0
	s_add_co_ci_u32 s18, s29, s31
	s_wait_alu 0xfffe
	v_mad_co_u64_u32 v[5:6], null, v11, s18, 0
	v_mad_co_u64_u32 v[9:10], null, v12, s18, 0
	s_delay_alu instid0(VALU_DEP_2) | instskip(SKIP_1) | instid1(VALU_DEP_3)
	v_add_co_u32 v5, vcc_lo, v13, v5
	s_wait_alu 0xfffd
	v_add_co_ci_u32_e64 v6, null, 0, v6, vcc_lo
	s_delay_alu instid0(VALU_DEP_2) | instskip(SKIP_1) | instid1(VALU_DEP_2)
	v_add_co_u32 v5, vcc_lo, v5, v7
	s_wait_alu 0xfffd
	v_add_co_ci_u32_e32 v5, vcc_lo, v6, v8, vcc_lo
	s_wait_alu 0xfffd
	v_add_co_ci_u32_e32 v6, vcc_lo, 0, v10, vcc_lo
	s_delay_alu instid0(VALU_DEP_2) | instskip(SKIP_1) | instid1(VALU_DEP_2)
	v_add_co_u32 v7, vcc_lo, v5, v9
	s_wait_alu 0xfffd
	v_add_co_ci_u32_e64 v8, null, 0, v6, vcc_lo
	s_delay_alu instid0(VALU_DEP_2) | instskip(SKIP_1) | instid1(VALU_DEP_3)
	v_mul_lo_u32 v9, s27, v7
	v_mad_co_u64_u32 v[5:6], null, s26, v7, 0
	v_mul_lo_u32 v10, s26, v8
	s_delay_alu instid0(VALU_DEP_2) | instskip(NEXT) | instid1(VALU_DEP_2)
	v_sub_co_u32 v5, vcc_lo, v11, v5
	v_add3_u32 v6, v6, v10, v9
	v_add_co_u32 v10, s2, v7, 2
	s_wait_alu 0xf1ff
	v_add_co_ci_u32_e64 v11, null, 0, v8, s2
	s_delay_alu instid0(VALU_DEP_3) | instskip(SKIP_3) | instid1(VALU_DEP_3)
	v_sub_nc_u32_e32 v9, v12, v6
	v_sub_co_u32 v13, s2, v5, s26
	s_wait_alu 0xfffd
	v_sub_co_ci_u32_e64 v6, null, v12, v6, vcc_lo
	v_subrev_co_ci_u32_e64 v9, null, s27, v9, vcc_lo
	s_delay_alu instid0(VALU_DEP_3) | instskip(SKIP_1) | instid1(VALU_DEP_2)
	v_cmp_le_u32_e32 vcc_lo, s26, v13
	s_wait_alu 0xf1ff
	v_subrev_co_ci_u32_e64 v9, null, 0, v9, s2
	s_wait_alu 0xfffd
	v_cndmask_b32_e64 v12, 0, -1, vcc_lo
	s_delay_alu instid0(VALU_DEP_2)
	v_cmp_le_u32_e32 vcc_lo, s27, v9
	s_wait_alu 0xfffd
	v_cndmask_b32_e64 v13, 0, -1, vcc_lo
	v_cmp_le_u32_e32 vcc_lo, s26, v5
	s_wait_alu 0xfffd
	v_cndmask_b32_e64 v5, 0, -1, vcc_lo
	;; [unrolled: 3-line block ×3, first 2 shown]
	v_cmp_eq_u32_e32 vcc_lo, s27, v9
	s_wait_alu 0xfffd
	v_cndmask_b32_e32 v9, v13, v12, vcc_lo
	v_add_co_u32 v12, vcc_lo, v7, 1
	s_wait_alu 0xfffd
	v_add_co_ci_u32_e64 v13, null, 0, v8, vcc_lo
	v_cmp_eq_u32_e32 vcc_lo, s27, v6
	s_wait_alu 0xfffd
	v_cndmask_b32_e32 v5, v14, v5, vcc_lo
	v_cmp_ne_u32_e32 vcc_lo, 0, v9
	s_wait_alu 0xfffd
	v_cndmask_b32_e32 v6, v13, v11, vcc_lo
	s_delay_alu instid0(VALU_DEP_3) | instskip(SKIP_2) | instid1(VALU_DEP_2)
	v_cmp_ne_u32_e64 s2, 0, v5
	v_cndmask_b32_e32 v5, v12, v10, vcc_lo
	s_wait_alu 0xf1ff
	v_cndmask_b32_e64 v6, v8, v6, s2
	s_delay_alu instid0(VALU_DEP_2) | instskip(NEXT) | instid1(VALU_DEP_2)
	v_cndmask_b32_e64 v5, v7, v5, s2
	v_xor_b32_e32 v6, v6, v3
	s_delay_alu instid0(VALU_DEP_2) | instskip(NEXT) | instid1(VALU_DEP_1)
	v_xor_b32_e32 v5, v5, v3
	v_sub_co_u32 v7, vcc_lo, v5, v3
	s_wait_alu 0xfffd
	s_delay_alu instid0(VALU_DEP_3)
	v_sub_co_ci_u32_e64 v8, null, v6, v3, vcc_lo
.LBB24_9:                               ;   in Loop: Header=BB24_3 Depth=1
	s_wait_alu 0xfffe
	s_and_not1_saveexec_b32 s2, s3
	s_cbranch_execz .LBB24_11
; %bb.10:                               ;   in Loop: Header=BB24_3 Depth=1
	s_sub_co_i32 s3, 0, s14
	v_mov_b32_e32 v8, v2
	s_wait_alu 0xfffe
	v_mul_lo_u32 v3, s3, v25
	s_delay_alu instid0(VALU_DEP_1) | instskip(NEXT) | instid1(VALU_DEP_1)
	v_mul_hi_u32 v3, v25, v3
	v_add_nc_u32_e32 v3, v25, v3
	s_delay_alu instid0(VALU_DEP_1) | instskip(NEXT) | instid1(VALU_DEP_1)
	v_mul_hi_u32 v3, v4, v3
	v_mul_lo_u32 v5, v3, s14
	v_add_nc_u32_e32 v6, 1, v3
	s_delay_alu instid0(VALU_DEP_2) | instskip(NEXT) | instid1(VALU_DEP_1)
	v_sub_nc_u32_e32 v5, v4, v5
	v_subrev_nc_u32_e32 v7, s14, v5
	v_cmp_le_u32_e32 vcc_lo, s14, v5
	s_wait_alu 0xfffd
	s_delay_alu instid0(VALU_DEP_2) | instskip(SKIP_1) | instid1(VALU_DEP_2)
	v_cndmask_b32_e32 v5, v5, v7, vcc_lo
	v_cndmask_b32_e32 v3, v3, v6, vcc_lo
	v_cmp_le_u32_e32 vcc_lo, s14, v5
	s_delay_alu instid0(VALU_DEP_2) | instskip(SKIP_1) | instid1(VALU_DEP_1)
	v_add_nc_u32_e32 v6, 1, v3
	s_wait_alu 0xfffd
	v_cndmask_b32_e32 v7, v3, v6, vcc_lo
.LBB24_11:                              ;   in Loop: Header=BB24_3 Depth=1
	s_wait_alu 0xfffe
	s_or_b32 exec_lo, exec_lo, s2
	v_mad_co_u64_u32 v[5:6], null, v4, s8, 0
	s_delay_alu instid0(VALU_DEP_2) | instskip(SKIP_3) | instid1(VALU_DEP_1)
	v_mad_co_u64_u32 v[9:10], null, v7, s14, 0
	s_mov_b32 s23, exec_lo
	v_sub_co_u32 v28, null, v0, v5
	v_sub_co_u32 v27, null, v4, v9
	v_sub_nc_u32_e32 v6, v28, v27
	s_delay_alu instid0(VALU_DEP_1) | instskip(NEXT) | instid1(VALU_DEP_1)
	v_add_nc_u32_e32 v3, 2, v6
	v_ashrrev_i32_e32 v4, 31, v3
	s_delay_alu instid0(VALU_DEP_1)
	v_cmpx_lt_i64_e64 s[4:5], v[3:4]
	s_cbranch_execz .LBB24_2
; %bb.12:                               ;   in Loop: Header=BB24_3 Depth=1
	s_load_b64 s[2:3], s[20:21], 0x64
	s_and_not1_b32 vcc_lo, exec_lo, s56
	s_wait_kmcnt 0x0
	v_mul_lo_u32 v3, s3, v28
	s_delay_alu instid0(VALU_DEP_1)
	v_mad_co_u64_u32 v[4:5], null, s2, v27, v[3:4]
	s_wait_alu 0xfffe
	s_cbranch_vccnz .LBB24_56
; %bb.13:                               ;   in Loop: Header=BB24_3 Depth=1
	s_mov_b32 s25, s52
	s_and_not1_b32 vcc_lo, exec_lo, s54
	s_mov_b32 s18, s33
	s_mov_b32 s2, s33
	s_wait_alu 0xfffe
	s_cbranch_vccz .LBB24_16
; %bb.14:                               ;   in Loop: Header=BB24_3 Depth=1
	s_and_not1_b32 vcc_lo, exec_lo, s55
	s_wait_alu 0xfffe
	s_cbranch_vccz .LBB24_21
	s_branch .LBB24_56
.LBB24_15:                              ;   in Loop: Header=BB24_16 Depth=2
	s_wait_alu 0xfffe
	s_or_b32 exec_lo, exec_lo, s2
	s_add_nc_u64 s[26:27], s[0:1], s[26:27]
	v_mul_lo_u32 v3, v9, s28
	s_load_b32 s2, s[26:27], 0x6c
	s_add_co_i32 s25, s25, -1
	s_add_co_i32 s18, s18, -1
	s_wait_alu 0xfffe
	s_cmp_lg_u32 s25, 0
	s_delay_alu instid0(VALU_DEP_1) | instskip(SKIP_2) | instid1(VALU_DEP_2)
	v_sub_nc_u32_e32 v3, v7, v3
	v_dual_mov_b32 v7, v9 :: v_dual_mov_b32 v8, v10
	s_wait_kmcnt 0x0
	v_mad_co_u64_u32 v[4:5], null, s2, v3, v[4:5]
	s_cbranch_scc0 .LBB24_20
.LBB24_16:                              ;   Parent Loop BB24_3 Depth=1
                                        ; =>  This Inner Loop Header: Depth=2
	s_lshl_b64 s[26:27], s[18:19], 2
                                        ; implicit-def: $vgpr9_vgpr10
	s_mov_b32 s2, exec_lo
	s_wait_alu 0xfffe
	s_add_nc_u64 s[28:29], s[10:11], s[26:27]
	s_load_b32 s28, s[28:29], 0x8
	s_wait_kmcnt 0x0
	s_ashr_i32 s29, s28, 31
	s_wait_alu 0xfffe
	v_or_b32_e32 v3, s29, v8
	s_delay_alu instid0(VALU_DEP_1)
	v_cmpx_ne_u64_e32 0, v[2:3]
	s_xor_b32 s36, exec_lo, s2
	s_cbranch_execz .LBB24_18
; %bb.17:                               ;   in Loop: Header=BB24_16 Depth=2
	s_ashr_i32 s30, s29, 31
	s_mov_b32 s43, s19
	s_wait_alu 0xfffe
	s_mov_b32 s31, s30
	s_mov_b32 s47, s19
	s_wait_alu 0xfffe
	s_add_nc_u64 s[34:35], s[28:29], s[30:31]
	v_ashrrev_i32_e32 v3, 31, v8
	s_wait_alu 0xfffe
	s_xor_b64 s[34:35], s[34:35], s[30:31]
	s_wait_alu 0xfffe
	s_cvt_f32_u32 s2, s34
	s_cvt_f32_u32 s29, s35
	s_sub_nc_u64 s[40:41], 0, s[34:35]
	v_add_co_u32 v5, vcc_lo, v7, v3
	s_wait_alu 0xfffe
	s_fmamk_f32 s2, s29, 0x4f800000, s2
	s_wait_alu 0xfffd
	v_add_co_ci_u32_e64 v8, null, v8, v3, vcc_lo
	v_xor_b32_e32 v5, v5, v3
	s_wait_alu 0xfffe
	v_s_rcp_f32 s2, s2
	s_delay_alu instid0(VALU_DEP_2) | instskip(SKIP_1) | instid1(TRANS32_DEP_1)
	v_xor_b32_e32 v14, v8, v3
	v_xor_b32_e32 v3, s30, v3
	s_mul_f32 s2, s2, 0x5f7ffffc
	s_wait_alu 0xfffe
	s_delay_alu instid0(SALU_CYCLE_2) | instskip(SKIP_1) | instid1(SALU_CYCLE_2)
	s_mul_f32 s29, s2, 0x2f800000
	s_wait_alu 0xfffe
	s_trunc_f32 s29, s29
	s_wait_alu 0xfffe
	s_delay_alu instid0(SALU_CYCLE_2) | instskip(SKIP_2) | instid1(SALU_CYCLE_1)
	s_fmamk_f32 s2, s29, 0xcf800000, s2
	s_cvt_u32_f32 s39, s29
	s_wait_alu 0xfffe
	s_cvt_u32_f32 s38, s2
	s_wait_alu 0xfffe
	s_delay_alu instid0(SALU_CYCLE_2)
	s_mul_u64 s[44:45], s[40:41], s[38:39]
	s_wait_alu 0xfffe
	s_mul_hi_u32 s49, s38, s45
	s_mul_i32 s48, s38, s45
	s_mul_hi_u32 s42, s38, s44
	s_mul_i32 s29, s39, s44
	s_wait_alu 0xfffe
	s_add_nc_u64 s[42:43], s[42:43], s[48:49]
	s_mul_hi_u32 s2, s39, s44
	s_mul_hi_u32 s31, s39, s45
	s_wait_alu 0xfffe
	s_add_co_u32 s29, s42, s29
	s_add_co_ci_u32 s46, s43, s2
	s_mul_i32 s44, s39, s45
	s_add_co_ci_u32 s45, s31, 0
	s_wait_alu 0xfffe
	s_add_nc_u64 s[42:43], s[46:47], s[44:45]
	s_mov_b32 s45, s19
	s_wait_alu 0xfffe
	s_add_co_u32 s38, s38, s42
	s_cselect_b32 s2, -1, 0
	s_wait_alu 0xfffe
	s_cmp_lg_u32 s2, 0
	s_add_co_ci_u32 s39, s39, s43
	s_mov_b32 s43, s19
	s_wait_alu 0xfffe
	s_mul_u64 s[40:41], s[40:41], s[38:39]
	s_wait_alu 0xfffe
	s_mul_hi_u32 s47, s38, s41
	s_mul_i32 s46, s38, s41
	s_mul_hi_u32 s44, s38, s40
	s_mul_i32 s29, s39, s40
	s_wait_alu 0xfffe
	s_add_nc_u64 s[44:45], s[44:45], s[46:47]
	s_mul_hi_u32 s2, s39, s40
	s_mul_hi_u32 s31, s39, s41
	s_wait_alu 0xfffe
	s_add_co_u32 s29, s44, s29
	s_add_co_ci_u32 s42, s45, s2
	s_mul_i32 s40, s39, s41
	s_add_co_ci_u32 s41, s31, 0
	s_wait_alu 0xfffe
	s_add_nc_u64 s[40:41], s[42:43], s[40:41]
	s_wait_alu 0xfffe
	s_add_co_u32 s2, s38, s40
	s_cselect_b32 s29, -1, 0
	s_wait_alu 0xfffe
	v_mul_hi_u32 v15, v5, s2
	s_cmp_lg_u32 s29, 0
	v_mad_co_u64_u32 v[10:11], null, v14, s2, 0
	s_add_co_ci_u32 s29, s39, s41
	s_wait_alu 0xfffe
	v_mad_co_u64_u32 v[8:9], null, v5, s29, 0
	v_mad_co_u64_u32 v[12:13], null, v14, s29, 0
	s_delay_alu instid0(VALU_DEP_2) | instskip(SKIP_1) | instid1(VALU_DEP_3)
	v_add_co_u32 v8, vcc_lo, v15, v8
	s_wait_alu 0xfffd
	v_add_co_ci_u32_e64 v9, null, 0, v9, vcc_lo
	s_delay_alu instid0(VALU_DEP_2) | instskip(SKIP_1) | instid1(VALU_DEP_2)
	v_add_co_u32 v8, vcc_lo, v8, v10
	s_wait_alu 0xfffd
	v_add_co_ci_u32_e32 v8, vcc_lo, v9, v11, vcc_lo
	s_wait_alu 0xfffd
	v_add_co_ci_u32_e32 v9, vcc_lo, 0, v13, vcc_lo
	s_delay_alu instid0(VALU_DEP_2) | instskip(SKIP_1) | instid1(VALU_DEP_2)
	v_add_co_u32 v10, vcc_lo, v8, v12
	s_wait_alu 0xfffd
	v_add_co_ci_u32_e64 v11, null, 0, v9, vcc_lo
	s_delay_alu instid0(VALU_DEP_2) | instskip(SKIP_1) | instid1(VALU_DEP_3)
	v_mul_lo_u32 v12, s35, v10
	v_mad_co_u64_u32 v[8:9], null, s34, v10, 0
	v_mul_lo_u32 v13, s34, v11
	s_delay_alu instid0(VALU_DEP_2) | instskip(NEXT) | instid1(VALU_DEP_2)
	v_sub_co_u32 v5, vcc_lo, v5, v8
	v_add3_u32 v9, v9, v13, v12
	s_delay_alu instid0(VALU_DEP_1) | instskip(SKIP_2) | instid1(VALU_DEP_2)
	v_sub_nc_u32_e32 v12, v14, v9
	s_wait_alu 0xfffd
	v_sub_co_ci_u32_e64 v9, null, v14, v9, vcc_lo
	v_subrev_co_ci_u32_e64 v8, null, s35, v12, vcc_lo
	v_add_co_u32 v12, s2, v10, 2
	s_wait_alu 0xf1ff
	v_add_co_ci_u32_e64 v13, null, 0, v11, s2
	v_sub_co_u32 v15, s2, v5, s34
	s_wait_alu 0xf1ff
	v_subrev_co_ci_u32_e64 v8, null, 0, v8, s2
	s_delay_alu instid0(VALU_DEP_2) | instskip(SKIP_2) | instid1(VALU_DEP_3)
	v_cmp_le_u32_e32 vcc_lo, s34, v15
	s_wait_alu 0xfffd
	v_cndmask_b32_e64 v14, 0, -1, vcc_lo
	v_cmp_le_u32_e32 vcc_lo, s35, v8
	s_wait_alu 0xfffd
	v_cndmask_b32_e64 v15, 0, -1, vcc_lo
	;; [unrolled: 3-line block ×4, first 2 shown]
	v_cmp_eq_u32_e32 vcc_lo, s35, v8
	s_wait_alu 0xfffd
	v_cndmask_b32_e32 v8, v15, v14, vcc_lo
	v_add_co_u32 v14, vcc_lo, v10, 1
	s_wait_alu 0xfffd
	v_add_co_ci_u32_e64 v15, null, 0, v11, vcc_lo
	v_cmp_eq_u32_e32 vcc_lo, s35, v9
	s_wait_alu 0xfffd
	v_cndmask_b32_e32 v5, v16, v5, vcc_lo
	v_cmp_ne_u32_e32 vcc_lo, 0, v8
	s_delay_alu instid0(VALU_DEP_2) | instskip(SKIP_3) | instid1(VALU_DEP_1)
	v_cmp_ne_u32_e64 s2, 0, v5
	s_wait_alu 0xfffd
	v_dual_cndmask_b32 v8, v15, v13 :: v_dual_cndmask_b32 v5, v14, v12
	s_wait_alu 0xf1ff
	v_cndmask_b32_e64 v8, v11, v8, s2
	s_delay_alu instid0(VALU_DEP_2) | instskip(NEXT) | instid1(VALU_DEP_2)
	v_cndmask_b32_e64 v5, v10, v5, s2
	v_xor_b32_e32 v8, v8, v3
	s_delay_alu instid0(VALU_DEP_2) | instskip(NEXT) | instid1(VALU_DEP_1)
	v_xor_b32_e32 v5, v5, v3
	v_sub_co_u32 v9, vcc_lo, v5, v3
	s_wait_alu 0xfffd
	s_delay_alu instid0(VALU_DEP_3)
	v_sub_co_ci_u32_e64 v10, null, v8, v3, vcc_lo
.LBB24_18:                              ;   in Loop: Header=BB24_16 Depth=2
	s_wait_alu 0xfffe
	s_and_not1_saveexec_b32 s2, s36
	s_cbranch_execz .LBB24_15
; %bb.19:                               ;   in Loop: Header=BB24_16 Depth=2
	v_cvt_f32_u32_e32 v3, s28
	s_sub_co_i32 s29, 0, s28
	v_mov_b32_e32 v10, v2
	s_delay_alu instid0(VALU_DEP_2) | instskip(NEXT) | instid1(TRANS32_DEP_1)
	v_rcp_iflag_f32_e32 v3, v3
	v_mul_f32_e32 v3, 0x4f7ffffe, v3
	s_delay_alu instid0(VALU_DEP_1) | instskip(SKIP_1) | instid1(VALU_DEP_1)
	v_cvt_u32_f32_e32 v3, v3
	s_wait_alu 0xfffe
	v_mul_lo_u32 v5, s29, v3
	s_delay_alu instid0(VALU_DEP_1) | instskip(NEXT) | instid1(VALU_DEP_1)
	v_mul_hi_u32 v5, v3, v5
	v_add_nc_u32_e32 v3, v3, v5
	s_delay_alu instid0(VALU_DEP_1) | instskip(NEXT) | instid1(VALU_DEP_1)
	v_mul_hi_u32 v3, v7, v3
	v_mul_lo_u32 v5, v3, s28
	s_delay_alu instid0(VALU_DEP_1) | instskip(NEXT) | instid1(VALU_DEP_1)
	v_sub_nc_u32_e32 v5, v7, v5
	v_subrev_nc_u32_e32 v9, s28, v5
	v_cmp_le_u32_e32 vcc_lo, s28, v5
	s_wait_alu 0xfffd
	s_delay_alu instid0(VALU_DEP_2) | instskip(NEXT) | instid1(VALU_DEP_1)
	v_dual_cndmask_b32 v5, v5, v9 :: v_dual_add_nc_u32 v8, 1, v3
	v_cndmask_b32_e32 v3, v3, v8, vcc_lo
	s_delay_alu instid0(VALU_DEP_2) | instskip(NEXT) | instid1(VALU_DEP_2)
	v_cmp_le_u32_e32 vcc_lo, s28, v5
	v_add_nc_u32_e32 v8, 1, v3
	s_wait_alu 0xfffd
	s_delay_alu instid0(VALU_DEP_1)
	v_cndmask_b32_e32 v9, v3, v8, vcc_lo
	s_branch .LBB24_15
.LBB24_20:                              ;   in Loop: Header=BB24_3 Depth=1
	s_mov_b32 s2, s18
	s_and_not1_b32 vcc_lo, exec_lo, s55
	s_wait_alu 0xfffe
	s_cbranch_vccnz .LBB24_56
.LBB24_21:                              ;   in Loop: Header=BB24_3 Depth=1
	s_add_co_i32 s26, s2, -7
.LBB24_22:                              ;   Parent Loop BB24_3 Depth=1
                                        ; =>  This Inner Loop Header: Depth=2
	s_wait_alu 0xfffe
	s_add_co_i32 s18, s26, 7
                                        ; implicit-def: $vgpr9_vgpr10
	s_mov_b32 s2, exec_lo
	s_wait_alu 0xfffe
	s_lshl_b64 s[34:35], s[18:19], 2
	s_wait_alu 0xfffe
	s_add_nc_u64 s[28:29], s[10:11], s[34:35]
	s_load_b32 s28, s[28:29], 0x8
	s_wait_kmcnt 0x0
	s_ashr_i32 s29, s28, 31
	s_wait_alu 0xfffe
	v_or_b32_e32 v3, s29, v8
	s_delay_alu instid0(VALU_DEP_1)
	v_cmpx_ne_u64_e32 0, v[2:3]
	s_xor_b32 s25, exec_lo, s2
	s_cbranch_execz .LBB24_24
; %bb.23:                               ;   in Loop: Header=BB24_22 Depth=2
	s_ashr_i32 s30, s29, 31
	v_ashrrev_i32_e32 v3, 31, v8
	s_wait_alu 0xfffe
	s_mov_b32 s31, s30
	s_wait_alu 0xfffe
	s_add_nc_u64 s[36:37], s[28:29], s[30:31]
	v_add_co_u32 v5, vcc_lo, v7, v3
	s_wait_alu 0xfffe
	s_xor_b64 s[36:37], s[36:37], s[30:31]
	s_wait_alu 0xfffd
	v_add_co_ci_u32_e64 v8, null, v8, v3, vcc_lo
	s_wait_alu 0xfffe
	s_cvt_f32_u32 s2, s36
	s_cvt_f32_u32 s18, s37
	s_sub_nc_u64 s[40:41], 0, s[36:37]
	v_xor_b32_e32 v5, v5, v3
	v_xor_b32_e32 v14, v8, v3
	s_wait_alu 0xfffe
	s_fmamk_f32 s2, s18, 0x4f800000, s2
	v_xor_b32_e32 v3, s30, v3
	s_wait_alu 0xfffe
	s_delay_alu instid0(SALU_CYCLE_1) | instskip(NEXT) | instid1(TRANS32_DEP_1)
	v_s_rcp_f32 s2, s2
	s_mul_f32 s2, s2, 0x5f7ffffc
	s_wait_alu 0xfffe
	s_delay_alu instid0(SALU_CYCLE_2) | instskip(SKIP_1) | instid1(SALU_CYCLE_2)
	s_mul_f32 s18, s2, 0x2f800000
	s_wait_alu 0xfffe
	s_trunc_f32 s18, s18
	s_wait_alu 0xfffe
	s_delay_alu instid0(SALU_CYCLE_2) | instskip(SKIP_2) | instid1(SALU_CYCLE_1)
	s_fmamk_f32 s2, s18, 0xcf800000, s2
	s_cvt_u32_f32 s39, s18
	s_wait_alu 0xfffe
	s_cvt_u32_f32 s38, s2
	s_wait_alu 0xfffe
	s_delay_alu instid0(SALU_CYCLE_2)
	s_mul_u64 s[42:43], s[40:41], s[38:39]
	s_wait_alu 0xfffe
	s_mul_hi_u32 s45, s38, s43
	s_mul_i32 s44, s38, s43
	s_mul_hi_u32 s18, s38, s42
	s_mul_i32 s27, s39, s42
	s_wait_alu 0xfffe
	s_add_nc_u64 s[44:45], s[18:19], s[44:45]
	s_mul_hi_u32 s2, s39, s42
	s_mul_hi_u32 s29, s39, s43
	s_wait_alu 0xfffe
	s_add_co_u32 s18, s44, s27
	s_add_co_ci_u32 s18, s45, s2
	s_mul_i32 s42, s39, s43
	s_add_co_ci_u32 s43, s29, 0
	s_wait_alu 0xfffe
	s_add_nc_u64 s[42:43], s[18:19], s[42:43]
	s_wait_alu 0xfffe
	s_add_co_u32 s38, s38, s42
	s_cselect_b32 s2, -1, 0
	s_wait_alu 0xfffe
	s_cmp_lg_u32 s2, 0
	s_add_co_ci_u32 s39, s39, s43
	s_wait_alu 0xfffe
	s_mul_u64 s[40:41], s[40:41], s[38:39]
	s_wait_alu 0xfffe
	s_mul_hi_u32 s43, s38, s41
	s_mul_i32 s42, s38, s41
	s_mul_hi_u32 s18, s38, s40
	s_mul_i32 s27, s39, s40
	s_wait_alu 0xfffe
	s_add_nc_u64 s[42:43], s[18:19], s[42:43]
	s_mul_hi_u32 s2, s39, s40
	s_mul_hi_u32 s29, s39, s41
	s_wait_alu 0xfffe
	s_add_co_u32 s18, s42, s27
	s_add_co_ci_u32 s18, s43, s2
	s_mul_i32 s40, s39, s41
	s_add_co_ci_u32 s41, s29, 0
	s_wait_alu 0xfffe
	s_add_nc_u64 s[40:41], s[18:19], s[40:41]
	s_wait_alu 0xfffe
	s_add_co_u32 s2, s38, s40
	s_cselect_b32 s18, -1, 0
	s_wait_alu 0xfffe
	v_mul_hi_u32 v15, v5, s2
	s_cmp_lg_u32 s18, 0
	v_mad_co_u64_u32 v[10:11], null, v14, s2, 0
	s_add_co_ci_u32 s18, s39, s41
	s_wait_alu 0xfffe
	v_mad_co_u64_u32 v[8:9], null, v5, s18, 0
	v_mad_co_u64_u32 v[12:13], null, v14, s18, 0
	s_delay_alu instid0(VALU_DEP_2) | instskip(SKIP_1) | instid1(VALU_DEP_3)
	v_add_co_u32 v8, vcc_lo, v15, v8
	s_wait_alu 0xfffd
	v_add_co_ci_u32_e64 v9, null, 0, v9, vcc_lo
	s_delay_alu instid0(VALU_DEP_2) | instskip(SKIP_1) | instid1(VALU_DEP_2)
	v_add_co_u32 v8, vcc_lo, v8, v10
	s_wait_alu 0xfffd
	v_add_co_ci_u32_e32 v8, vcc_lo, v9, v11, vcc_lo
	s_wait_alu 0xfffd
	v_add_co_ci_u32_e32 v9, vcc_lo, 0, v13, vcc_lo
	s_delay_alu instid0(VALU_DEP_2) | instskip(SKIP_1) | instid1(VALU_DEP_2)
	v_add_co_u32 v10, vcc_lo, v8, v12
	s_wait_alu 0xfffd
	v_add_co_ci_u32_e64 v11, null, 0, v9, vcc_lo
	s_delay_alu instid0(VALU_DEP_2) | instskip(SKIP_1) | instid1(VALU_DEP_3)
	v_mul_lo_u32 v12, s37, v10
	v_mad_co_u64_u32 v[8:9], null, s36, v10, 0
	v_mul_lo_u32 v13, s36, v11
	s_delay_alu instid0(VALU_DEP_2) | instskip(NEXT) | instid1(VALU_DEP_2)
	v_sub_co_u32 v5, vcc_lo, v5, v8
	v_add3_u32 v9, v9, v13, v12
	s_delay_alu instid0(VALU_DEP_1) | instskip(SKIP_2) | instid1(VALU_DEP_2)
	v_sub_nc_u32_e32 v12, v14, v9
	s_wait_alu 0xfffd
	v_sub_co_ci_u32_e64 v9, null, v14, v9, vcc_lo
	v_subrev_co_ci_u32_e64 v8, null, s37, v12, vcc_lo
	v_add_co_u32 v12, s2, v10, 2
	s_wait_alu 0xf1ff
	v_add_co_ci_u32_e64 v13, null, 0, v11, s2
	v_sub_co_u32 v15, s2, v5, s36
	s_wait_alu 0xf1ff
	v_subrev_co_ci_u32_e64 v8, null, 0, v8, s2
	s_delay_alu instid0(VALU_DEP_2) | instskip(SKIP_2) | instid1(VALU_DEP_3)
	v_cmp_le_u32_e32 vcc_lo, s36, v15
	s_wait_alu 0xfffd
	v_cndmask_b32_e64 v14, 0, -1, vcc_lo
	v_cmp_le_u32_e32 vcc_lo, s37, v8
	s_wait_alu 0xfffd
	v_cndmask_b32_e64 v15, 0, -1, vcc_lo
	;; [unrolled: 3-line block ×4, first 2 shown]
	v_cmp_eq_u32_e32 vcc_lo, s37, v8
	s_wait_alu 0xfffd
	v_cndmask_b32_e32 v8, v15, v14, vcc_lo
	v_add_co_u32 v14, vcc_lo, v10, 1
	s_wait_alu 0xfffd
	v_add_co_ci_u32_e64 v15, null, 0, v11, vcc_lo
	v_cmp_eq_u32_e32 vcc_lo, s37, v9
	s_wait_alu 0xfffd
	v_cndmask_b32_e32 v5, v16, v5, vcc_lo
	v_cmp_ne_u32_e32 vcc_lo, 0, v8
	s_delay_alu instid0(VALU_DEP_2) | instskip(SKIP_3) | instid1(VALU_DEP_1)
	v_cmp_ne_u32_e64 s2, 0, v5
	s_wait_alu 0xfffd
	v_dual_cndmask_b32 v8, v15, v13 :: v_dual_cndmask_b32 v5, v14, v12
	s_wait_alu 0xf1ff
	v_cndmask_b32_e64 v8, v11, v8, s2
	s_delay_alu instid0(VALU_DEP_2) | instskip(NEXT) | instid1(VALU_DEP_2)
	v_cndmask_b32_e64 v5, v10, v5, s2
	v_xor_b32_e32 v8, v8, v3
	s_delay_alu instid0(VALU_DEP_2) | instskip(NEXT) | instid1(VALU_DEP_1)
	v_xor_b32_e32 v5, v5, v3
	v_sub_co_u32 v9, vcc_lo, v5, v3
	s_wait_alu 0xfffd
	s_delay_alu instid0(VALU_DEP_3)
	v_sub_co_ci_u32_e64 v10, null, v8, v3, vcc_lo
.LBB24_24:                              ;   in Loop: Header=BB24_22 Depth=2
	s_wait_alu 0xfffe
	s_and_not1_saveexec_b32 s2, s25
	s_cbranch_execz .LBB24_26
; %bb.25:                               ;   in Loop: Header=BB24_22 Depth=2
	v_cvt_f32_u32_e32 v3, s28
	s_sub_co_i32 s18, 0, s28
	v_mov_b32_e32 v10, v2
	s_delay_alu instid0(VALU_DEP_2) | instskip(NEXT) | instid1(TRANS32_DEP_1)
	v_rcp_iflag_f32_e32 v3, v3
	v_mul_f32_e32 v3, 0x4f7ffffe, v3
	s_delay_alu instid0(VALU_DEP_1) | instskip(SKIP_1) | instid1(VALU_DEP_1)
	v_cvt_u32_f32_e32 v3, v3
	s_wait_alu 0xfffe
	v_mul_lo_u32 v5, s18, v3
	s_delay_alu instid0(VALU_DEP_1) | instskip(NEXT) | instid1(VALU_DEP_1)
	v_mul_hi_u32 v5, v3, v5
	v_add_nc_u32_e32 v3, v3, v5
	s_delay_alu instid0(VALU_DEP_1) | instskip(NEXT) | instid1(VALU_DEP_1)
	v_mul_hi_u32 v3, v7, v3
	v_mul_lo_u32 v5, v3, s28
	s_delay_alu instid0(VALU_DEP_1) | instskip(NEXT) | instid1(VALU_DEP_1)
	v_sub_nc_u32_e32 v5, v7, v5
	v_subrev_nc_u32_e32 v9, s28, v5
	v_cmp_le_u32_e32 vcc_lo, s28, v5
	s_wait_alu 0xfffd
	s_delay_alu instid0(VALU_DEP_2) | instskip(NEXT) | instid1(VALU_DEP_1)
	v_dual_cndmask_b32 v5, v5, v9 :: v_dual_add_nc_u32 v8, 1, v3
	v_cndmask_b32_e32 v3, v3, v8, vcc_lo
	s_delay_alu instid0(VALU_DEP_2) | instskip(NEXT) | instid1(VALU_DEP_2)
	v_cmp_le_u32_e32 vcc_lo, s28, v5
	v_add_nc_u32_e32 v8, 1, v3
	s_wait_alu 0xfffd
	s_delay_alu instid0(VALU_DEP_1)
	v_cndmask_b32_e32 v9, v3, v8, vcc_lo
.LBB24_26:                              ;   in Loop: Header=BB24_22 Depth=2
	s_wait_alu 0xfffe
	s_or_b32 exec_lo, exec_lo, s2
	s_add_co_i32 s18, s26, 6
	s_add_nc_u64 s[34:35], s[0:1], s[34:35]
	s_wait_alu 0xfffe
	s_lshl_b64 s[36:37], s[18:19], 2
                                        ; implicit-def: $vgpr11_vgpr12
	s_mov_b32 s2, exec_lo
	s_wait_alu 0xfffe
	s_add_nc_u64 s[30:31], s[10:11], s[36:37]
	s_clause 0x1
	s_load_b32 s25, s[34:35], 0x6c
	s_load_b32 s30, s[30:31], 0x8
	s_wait_kmcnt 0x0
	s_ashr_i32 s31, s30, 31
	s_wait_alu 0xfffe
	v_or_b32_e32 v3, s31, v10
	s_delay_alu instid0(VALU_DEP_1)
	v_cmpx_ne_u64_e32 0, v[2:3]
	s_xor_b32 s27, exec_lo, s2
	s_cbranch_execz .LBB24_28
; %bb.27:                               ;   in Loop: Header=BB24_22 Depth=2
	s_ashr_i32 s34, s31, 31
	v_ashrrev_i32_e32 v3, 31, v10
	s_wait_alu 0xfffe
	s_mov_b32 s35, s34
	s_wait_alu 0xfffe
	s_add_nc_u64 s[38:39], s[30:31], s[34:35]
	v_add_co_u32 v5, vcc_lo, v9, v3
	s_wait_alu 0xfffe
	s_xor_b64 s[38:39], s[38:39], s[34:35]
	s_wait_alu 0xfffd
	v_add_co_ci_u32_e64 v8, null, v10, v3, vcc_lo
	s_wait_alu 0xfffe
	s_cvt_f32_u32 s2, s38
	s_cvt_f32_u32 s18, s39
	s_sub_nc_u64 s[42:43], 0, s[38:39]
	v_xor_b32_e32 v5, v5, v3
	v_xor_b32_e32 v8, v8, v3
	s_wait_alu 0xfffe
	s_fmamk_f32 s2, s18, 0x4f800000, s2
	v_xor_b32_e32 v3, s34, v3
	s_wait_alu 0xfffe
	s_delay_alu instid0(SALU_CYCLE_1) | instskip(NEXT) | instid1(TRANS32_DEP_1)
	v_s_rcp_f32 s2, s2
	s_mul_f32 s2, s2, 0x5f7ffffc
	s_wait_alu 0xfffe
	s_delay_alu instid0(SALU_CYCLE_2) | instskip(SKIP_1) | instid1(SALU_CYCLE_2)
	s_mul_f32 s18, s2, 0x2f800000
	s_wait_alu 0xfffe
	s_trunc_f32 s18, s18
	s_wait_alu 0xfffe
	s_delay_alu instid0(SALU_CYCLE_2) | instskip(SKIP_2) | instid1(SALU_CYCLE_1)
	s_fmamk_f32 s2, s18, 0xcf800000, s2
	s_cvt_u32_f32 s41, s18
	s_wait_alu 0xfffe
	s_cvt_u32_f32 s40, s2
	s_wait_alu 0xfffe
	s_delay_alu instid0(SALU_CYCLE_2)
	s_mul_u64 s[44:45], s[42:43], s[40:41]
	s_wait_alu 0xfffe
	s_mul_hi_u32 s47, s40, s45
	s_mul_i32 s46, s40, s45
	s_mul_hi_u32 s18, s40, s44
	s_mul_i32 s29, s41, s44
	s_wait_alu 0xfffe
	s_add_nc_u64 s[46:47], s[18:19], s[46:47]
	s_mul_hi_u32 s2, s41, s44
	s_mul_hi_u32 s31, s41, s45
	s_wait_alu 0xfffe
	s_add_co_u32 s18, s46, s29
	s_add_co_ci_u32 s18, s47, s2
	s_mul_i32 s44, s41, s45
	s_add_co_ci_u32 s45, s31, 0
	s_wait_alu 0xfffe
	s_add_nc_u64 s[44:45], s[18:19], s[44:45]
	s_wait_alu 0xfffe
	s_add_co_u32 s40, s40, s44
	s_cselect_b32 s2, -1, 0
	s_wait_alu 0xfffe
	s_cmp_lg_u32 s2, 0
	s_add_co_ci_u32 s41, s41, s45
	s_wait_alu 0xfffe
	s_mul_u64 s[42:43], s[42:43], s[40:41]
	s_wait_alu 0xfffe
	s_mul_hi_u32 s45, s40, s43
	s_mul_i32 s44, s40, s43
	s_mul_hi_u32 s18, s40, s42
	s_mul_i32 s29, s41, s42
	s_wait_alu 0xfffe
	s_add_nc_u64 s[44:45], s[18:19], s[44:45]
	s_mul_hi_u32 s2, s41, s42
	s_mul_hi_u32 s31, s41, s43
	s_wait_alu 0xfffe
	s_add_co_u32 s18, s44, s29
	s_add_co_ci_u32 s18, s45, s2
	s_mul_i32 s42, s41, s43
	s_add_co_ci_u32 s43, s31, 0
	s_wait_alu 0xfffe
	s_add_nc_u64 s[42:43], s[18:19], s[42:43]
	s_wait_alu 0xfffe
	s_add_co_u32 s2, s40, s42
	s_cselect_b32 s18, -1, 0
	s_wait_alu 0xfffe
	v_mul_hi_u32 v16, v5, s2
	s_cmp_lg_u32 s18, 0
	v_mad_co_u64_u32 v[12:13], null, v8, s2, 0
	s_add_co_ci_u32 s18, s41, s43
	s_wait_alu 0xfffe
	v_mad_co_u64_u32 v[10:11], null, v5, s18, 0
	v_mad_co_u64_u32 v[14:15], null, v8, s18, 0
	s_delay_alu instid0(VALU_DEP_2) | instskip(SKIP_1) | instid1(VALU_DEP_3)
	v_add_co_u32 v10, vcc_lo, v16, v10
	s_wait_alu 0xfffd
	v_add_co_ci_u32_e64 v11, null, 0, v11, vcc_lo
	s_delay_alu instid0(VALU_DEP_2) | instskip(SKIP_1) | instid1(VALU_DEP_2)
	v_add_co_u32 v10, vcc_lo, v10, v12
	s_wait_alu 0xfffd
	v_add_co_ci_u32_e32 v10, vcc_lo, v11, v13, vcc_lo
	s_wait_alu 0xfffd
	v_add_co_ci_u32_e32 v11, vcc_lo, 0, v15, vcc_lo
	s_delay_alu instid0(VALU_DEP_2) | instskip(SKIP_1) | instid1(VALU_DEP_2)
	v_add_co_u32 v12, vcc_lo, v10, v14
	s_wait_alu 0xfffd
	v_add_co_ci_u32_e64 v13, null, 0, v11, vcc_lo
	s_delay_alu instid0(VALU_DEP_2) | instskip(SKIP_1) | instid1(VALU_DEP_3)
	v_mul_lo_u32 v14, s39, v12
	v_mad_co_u64_u32 v[10:11], null, s38, v12, 0
	v_mul_lo_u32 v15, s38, v13
	s_delay_alu instid0(VALU_DEP_2) | instskip(NEXT) | instid1(VALU_DEP_2)
	v_sub_co_u32 v5, vcc_lo, v5, v10
	v_add3_u32 v11, v11, v15, v14
	s_delay_alu instid0(VALU_DEP_1) | instskip(SKIP_2) | instid1(VALU_DEP_2)
	v_sub_nc_u32_e32 v14, v8, v11
	s_wait_alu 0xfffd
	v_sub_co_ci_u32_e64 v8, null, v8, v11, vcc_lo
	v_subrev_co_ci_u32_e64 v10, null, s39, v14, vcc_lo
	v_add_co_u32 v14, s2, v12, 2
	s_wait_alu 0xf1ff
	v_add_co_ci_u32_e64 v15, null, 0, v13, s2
	v_sub_co_u32 v16, s2, v5, s38
	s_wait_alu 0xf1ff
	v_subrev_co_ci_u32_e64 v10, null, 0, v10, s2
	s_delay_alu instid0(VALU_DEP_2) | instskip(SKIP_2) | instid1(VALU_DEP_3)
	v_cmp_le_u32_e32 vcc_lo, s38, v16
	s_wait_alu 0xfffd
	v_cndmask_b32_e64 v11, 0, -1, vcc_lo
	v_cmp_le_u32_e32 vcc_lo, s39, v10
	s_wait_alu 0xfffd
	v_cndmask_b32_e64 v16, 0, -1, vcc_lo
	;; [unrolled: 3-line block ×4, first 2 shown]
	v_cmp_eq_u32_e32 vcc_lo, s39, v10
	s_wait_alu 0xfffd
	v_cndmask_b32_e32 v10, v16, v11, vcc_lo
	v_add_co_u32 v11, vcc_lo, v12, 1
	s_wait_alu 0xfffd
	v_add_co_ci_u32_e64 v16, null, 0, v13, vcc_lo
	v_cmp_eq_u32_e32 vcc_lo, s39, v8
	s_wait_alu 0xfffd
	v_cndmask_b32_e32 v5, v17, v5, vcc_lo
	v_cmp_ne_u32_e32 vcc_lo, 0, v10
	s_delay_alu instid0(VALU_DEP_2) | instskip(SKIP_3) | instid1(VALU_DEP_1)
	v_cmp_ne_u32_e64 s2, 0, v5
	s_wait_alu 0xfffd
	v_dual_cndmask_b32 v8, v16, v15 :: v_dual_cndmask_b32 v5, v11, v14
	s_wait_alu 0xf1ff
	v_cndmask_b32_e64 v8, v13, v8, s2
	s_delay_alu instid0(VALU_DEP_2) | instskip(NEXT) | instid1(VALU_DEP_2)
	v_cndmask_b32_e64 v5, v12, v5, s2
	v_xor_b32_e32 v8, v8, v3
	s_delay_alu instid0(VALU_DEP_2) | instskip(NEXT) | instid1(VALU_DEP_1)
	v_xor_b32_e32 v5, v5, v3
	v_sub_co_u32 v11, vcc_lo, v5, v3
	s_wait_alu 0xfffd
	s_delay_alu instid0(VALU_DEP_3)
	v_sub_co_ci_u32_e64 v12, null, v8, v3, vcc_lo
.LBB24_28:                              ;   in Loop: Header=BB24_22 Depth=2
	s_wait_alu 0xfffe
	s_and_not1_saveexec_b32 s2, s27
	s_cbranch_execz .LBB24_30
; %bb.29:                               ;   in Loop: Header=BB24_22 Depth=2
	v_cvt_f32_u32_e32 v3, s30
	s_sub_co_i32 s18, 0, s30
	v_mov_b32_e32 v12, v2
	s_delay_alu instid0(VALU_DEP_2) | instskip(NEXT) | instid1(TRANS32_DEP_1)
	v_rcp_iflag_f32_e32 v3, v3
	v_mul_f32_e32 v3, 0x4f7ffffe, v3
	s_delay_alu instid0(VALU_DEP_1) | instskip(SKIP_1) | instid1(VALU_DEP_1)
	v_cvt_u32_f32_e32 v3, v3
	s_wait_alu 0xfffe
	v_mul_lo_u32 v5, s18, v3
	s_delay_alu instid0(VALU_DEP_1) | instskip(NEXT) | instid1(VALU_DEP_1)
	v_mul_hi_u32 v5, v3, v5
	v_add_nc_u32_e32 v3, v3, v5
	s_delay_alu instid0(VALU_DEP_1) | instskip(NEXT) | instid1(VALU_DEP_1)
	v_mul_hi_u32 v3, v9, v3
	v_mul_lo_u32 v5, v3, s30
	s_delay_alu instid0(VALU_DEP_1) | instskip(NEXT) | instid1(VALU_DEP_1)
	v_sub_nc_u32_e32 v5, v9, v5
	v_subrev_nc_u32_e32 v10, s30, v5
	v_cmp_le_u32_e32 vcc_lo, s30, v5
	s_wait_alu 0xfffd
	s_delay_alu instid0(VALU_DEP_2) | instskip(NEXT) | instid1(VALU_DEP_1)
	v_dual_cndmask_b32 v5, v5, v10 :: v_dual_add_nc_u32 v8, 1, v3
	v_cndmask_b32_e32 v3, v3, v8, vcc_lo
	s_delay_alu instid0(VALU_DEP_2) | instskip(NEXT) | instid1(VALU_DEP_2)
	v_cmp_le_u32_e32 vcc_lo, s30, v5
	v_add_nc_u32_e32 v8, 1, v3
	s_wait_alu 0xfffd
	s_delay_alu instid0(VALU_DEP_1)
	v_cndmask_b32_e32 v11, v3, v8, vcc_lo
.LBB24_30:                              ;   in Loop: Header=BB24_22 Depth=2
	s_wait_alu 0xfffe
	s_or_b32 exec_lo, exec_lo, s2
	s_add_co_i32 s18, s26, 5
	s_add_nc_u64 s[36:37], s[0:1], s[36:37]
	s_wait_alu 0xfffe
	s_lshl_b64 s[38:39], s[18:19], 2
                                        ; implicit-def: $vgpr13_vgpr14
	s_mov_b32 s2, exec_lo
	s_wait_alu 0xfffe
	s_add_nc_u64 s[34:35], s[10:11], s[38:39]
	s_clause 0x1
	s_load_b32 s29, s[36:37], 0x6c
	s_load_b32 s34, s[34:35], 0x8
	s_wait_kmcnt 0x0
	s_ashr_i32 s35, s34, 31
	s_wait_alu 0xfffe
	v_or_b32_e32 v3, s35, v12
	s_delay_alu instid0(VALU_DEP_1)
	v_cmpx_ne_u64_e32 0, v[2:3]
	s_xor_b32 s27, exec_lo, s2
	s_cbranch_execz .LBB24_32
; %bb.31:                               ;   in Loop: Header=BB24_22 Depth=2
	s_ashr_i32 s36, s35, 31
	v_ashrrev_i32_e32 v3, 31, v12
	s_wait_alu 0xfffe
	s_mov_b32 s37, s36
	s_wait_alu 0xfffe
	s_add_nc_u64 s[40:41], s[34:35], s[36:37]
	v_add_co_u32 v5, vcc_lo, v11, v3
	s_wait_alu 0xfffe
	s_xor_b64 s[40:41], s[40:41], s[36:37]
	s_wait_alu 0xfffd
	v_add_co_ci_u32_e64 v8, null, v12, v3, vcc_lo
	s_wait_alu 0xfffe
	s_cvt_f32_u32 s2, s40
	s_cvt_f32_u32 s18, s41
	s_sub_nc_u64 s[44:45], 0, s[40:41]
	v_xor_b32_e32 v5, v5, v3
	v_xor_b32_e32 v8, v8, v3
	s_wait_alu 0xfffe
	s_fmamk_f32 s2, s18, 0x4f800000, s2
	v_xor_b32_e32 v3, s36, v3
	s_wait_alu 0xfffe
	s_delay_alu instid0(SALU_CYCLE_1) | instskip(NEXT) | instid1(TRANS32_DEP_1)
	v_s_rcp_f32 s2, s2
	s_mul_f32 s2, s2, 0x5f7ffffc
	s_wait_alu 0xfffe
	s_delay_alu instid0(SALU_CYCLE_2) | instskip(SKIP_1) | instid1(SALU_CYCLE_2)
	s_mul_f32 s18, s2, 0x2f800000
	s_wait_alu 0xfffe
	s_trunc_f32 s18, s18
	s_wait_alu 0xfffe
	s_delay_alu instid0(SALU_CYCLE_2) | instskip(SKIP_2) | instid1(SALU_CYCLE_1)
	s_fmamk_f32 s2, s18, 0xcf800000, s2
	s_cvt_u32_f32 s43, s18
	s_wait_alu 0xfffe
	s_cvt_u32_f32 s42, s2
	s_wait_alu 0xfffe
	s_delay_alu instid0(SALU_CYCLE_2)
	s_mul_u64 s[46:47], s[44:45], s[42:43]
	s_wait_alu 0xfffe
	s_mul_hi_u32 s49, s42, s47
	s_mul_i32 s48, s42, s47
	s_mul_hi_u32 s18, s42, s46
	s_mul_i32 s31, s43, s46
	s_wait_alu 0xfffe
	s_add_nc_u64 s[48:49], s[18:19], s[48:49]
	s_mul_hi_u32 s2, s43, s46
	s_mul_hi_u32 s35, s43, s47
	s_wait_alu 0xfffe
	s_add_co_u32 s18, s48, s31
	s_add_co_ci_u32 s18, s49, s2
	s_mul_i32 s46, s43, s47
	s_add_co_ci_u32 s47, s35, 0
	s_wait_alu 0xfffe
	s_add_nc_u64 s[46:47], s[18:19], s[46:47]
	s_wait_alu 0xfffe
	s_add_co_u32 s42, s42, s46
	s_cselect_b32 s2, -1, 0
	s_wait_alu 0xfffe
	s_cmp_lg_u32 s2, 0
	s_add_co_ci_u32 s43, s43, s47
	s_wait_alu 0xfffe
	s_mul_u64 s[44:45], s[44:45], s[42:43]
	s_wait_alu 0xfffe
	s_mul_hi_u32 s47, s42, s45
	s_mul_i32 s46, s42, s45
	s_mul_hi_u32 s18, s42, s44
	s_mul_i32 s31, s43, s44
	s_wait_alu 0xfffe
	s_add_nc_u64 s[46:47], s[18:19], s[46:47]
	s_mul_hi_u32 s2, s43, s44
	s_mul_hi_u32 s35, s43, s45
	s_wait_alu 0xfffe
	s_add_co_u32 s18, s46, s31
	s_add_co_ci_u32 s18, s47, s2
	s_mul_i32 s44, s43, s45
	s_add_co_ci_u32 s45, s35, 0
	s_wait_alu 0xfffe
	s_add_nc_u64 s[44:45], s[18:19], s[44:45]
	s_wait_alu 0xfffe
	s_add_co_u32 s2, s42, s44
	s_cselect_b32 s18, -1, 0
	s_wait_alu 0xfffe
	v_mul_hi_u32 v10, v5, s2
	s_cmp_lg_u32 s18, 0
	v_mad_co_u64_u32 v[14:15], null, v8, s2, 0
	s_add_co_ci_u32 s18, s43, s45
	s_wait_alu 0xfffe
	v_mad_co_u64_u32 v[12:13], null, v5, s18, 0
	v_mad_co_u64_u32 v[16:17], null, v8, s18, 0
	s_delay_alu instid0(VALU_DEP_2) | instskip(SKIP_1) | instid1(VALU_DEP_3)
	v_add_co_u32 v10, vcc_lo, v10, v12
	s_wait_alu 0xfffd
	v_add_co_ci_u32_e64 v12, null, 0, v13, vcc_lo
	s_delay_alu instid0(VALU_DEP_2) | instskip(SKIP_1) | instid1(VALU_DEP_2)
	v_add_co_u32 v10, vcc_lo, v10, v14
	s_wait_alu 0xfffd
	v_add_co_ci_u32_e32 v10, vcc_lo, v12, v15, vcc_lo
	s_wait_alu 0xfffd
	v_add_co_ci_u32_e32 v12, vcc_lo, 0, v17, vcc_lo
	s_delay_alu instid0(VALU_DEP_2) | instskip(SKIP_1) | instid1(VALU_DEP_2)
	v_add_co_u32 v10, vcc_lo, v10, v16
	s_wait_alu 0xfffd
	v_add_co_ci_u32_e64 v14, null, 0, v12, vcc_lo
	s_delay_alu instid0(VALU_DEP_2) | instskip(SKIP_1) | instid1(VALU_DEP_3)
	v_mul_lo_u32 v15, s41, v10
	v_mad_co_u64_u32 v[12:13], null, s40, v10, 0
	v_mul_lo_u32 v16, s40, v14
	s_delay_alu instid0(VALU_DEP_2) | instskip(NEXT) | instid1(VALU_DEP_2)
	v_sub_co_u32 v5, vcc_lo, v5, v12
	v_add3_u32 v13, v13, v16, v15
	s_delay_alu instid0(VALU_DEP_1) | instskip(SKIP_2) | instid1(VALU_DEP_2)
	v_sub_nc_u32_e32 v15, v8, v13
	s_wait_alu 0xfffd
	v_sub_co_ci_u32_e64 v8, null, v8, v13, vcc_lo
	v_subrev_co_ci_u32_e64 v12, null, s41, v15, vcc_lo
	v_add_co_u32 v15, s2, v10, 2
	s_wait_alu 0xf1ff
	v_add_co_ci_u32_e64 v16, null, 0, v14, s2
	v_sub_co_u32 v17, s2, v5, s40
	s_wait_alu 0xf1ff
	v_subrev_co_ci_u32_e64 v12, null, 0, v12, s2
	s_delay_alu instid0(VALU_DEP_2) | instskip(SKIP_2) | instid1(VALU_DEP_3)
	v_cmp_le_u32_e32 vcc_lo, s40, v17
	s_wait_alu 0xfffd
	v_cndmask_b32_e64 v13, 0, -1, vcc_lo
	v_cmp_le_u32_e32 vcc_lo, s41, v12
	s_wait_alu 0xfffd
	v_cndmask_b32_e64 v17, 0, -1, vcc_lo
	;; [unrolled: 3-line block ×4, first 2 shown]
	v_cmp_eq_u32_e32 vcc_lo, s41, v12
	s_wait_alu 0xfffd
	v_cndmask_b32_e32 v12, v17, v13, vcc_lo
	v_add_co_u32 v13, vcc_lo, v10, 1
	s_wait_alu 0xfffd
	v_add_co_ci_u32_e64 v17, null, 0, v14, vcc_lo
	v_cmp_eq_u32_e32 vcc_lo, s41, v8
	s_wait_alu 0xfffd
	v_cndmask_b32_e32 v5, v18, v5, vcc_lo
	v_cmp_ne_u32_e32 vcc_lo, 0, v12
	s_wait_alu 0xfffd
	v_cndmask_b32_e32 v8, v17, v16, vcc_lo
	s_delay_alu instid0(VALU_DEP_3) | instskip(SKIP_2) | instid1(VALU_DEP_2)
	v_cmp_ne_u32_e64 s2, 0, v5
	v_cndmask_b32_e32 v5, v13, v15, vcc_lo
	s_wait_alu 0xf1ff
	v_cndmask_b32_e64 v8, v14, v8, s2
	s_delay_alu instid0(VALU_DEP_2) | instskip(NEXT) | instid1(VALU_DEP_2)
	v_cndmask_b32_e64 v5, v10, v5, s2
	v_xor_b32_e32 v8, v8, v3
	s_delay_alu instid0(VALU_DEP_2) | instskip(NEXT) | instid1(VALU_DEP_1)
	v_xor_b32_e32 v5, v5, v3
	v_sub_co_u32 v13, vcc_lo, v5, v3
	s_wait_alu 0xfffd
	s_delay_alu instid0(VALU_DEP_3)
	v_sub_co_ci_u32_e64 v14, null, v8, v3, vcc_lo
.LBB24_32:                              ;   in Loop: Header=BB24_22 Depth=2
	s_wait_alu 0xfffe
	s_and_not1_saveexec_b32 s2, s27
	s_cbranch_execz .LBB24_34
; %bb.33:                               ;   in Loop: Header=BB24_22 Depth=2
	v_cvt_f32_u32_e32 v3, s34
	s_sub_co_i32 s18, 0, s34
	v_mov_b32_e32 v14, v2
	s_delay_alu instid0(VALU_DEP_2) | instskip(NEXT) | instid1(TRANS32_DEP_1)
	v_rcp_iflag_f32_e32 v3, v3
	v_mul_f32_e32 v3, 0x4f7ffffe, v3
	s_delay_alu instid0(VALU_DEP_1) | instskip(SKIP_1) | instid1(VALU_DEP_1)
	v_cvt_u32_f32_e32 v3, v3
	s_wait_alu 0xfffe
	v_mul_lo_u32 v5, s18, v3
	s_delay_alu instid0(VALU_DEP_1) | instskip(NEXT) | instid1(VALU_DEP_1)
	v_mul_hi_u32 v5, v3, v5
	v_add_nc_u32_e32 v3, v3, v5
	s_delay_alu instid0(VALU_DEP_1) | instskip(NEXT) | instid1(VALU_DEP_1)
	v_mul_hi_u32 v3, v11, v3
	v_mul_lo_u32 v5, v3, s34
	s_delay_alu instid0(VALU_DEP_1) | instskip(NEXT) | instid1(VALU_DEP_1)
	v_sub_nc_u32_e32 v5, v11, v5
	v_subrev_nc_u32_e32 v10, s34, v5
	v_cmp_le_u32_e32 vcc_lo, s34, v5
	s_wait_alu 0xfffd
	s_delay_alu instid0(VALU_DEP_2) | instskip(NEXT) | instid1(VALU_DEP_1)
	v_dual_cndmask_b32 v5, v5, v10 :: v_dual_add_nc_u32 v8, 1, v3
	v_cndmask_b32_e32 v3, v3, v8, vcc_lo
	s_delay_alu instid0(VALU_DEP_2) | instskip(NEXT) | instid1(VALU_DEP_2)
	v_cmp_le_u32_e32 vcc_lo, s34, v5
	v_add_nc_u32_e32 v8, 1, v3
	s_wait_alu 0xfffd
	s_delay_alu instid0(VALU_DEP_1)
	v_cndmask_b32_e32 v13, v3, v8, vcc_lo
.LBB24_34:                              ;   in Loop: Header=BB24_22 Depth=2
	s_wait_alu 0xfffe
	s_or_b32 exec_lo, exec_lo, s2
	s_add_co_i32 s18, s26, 4
	s_add_nc_u64 s[38:39], s[0:1], s[38:39]
	s_wait_alu 0xfffe
	s_lshl_b64 s[40:41], s[18:19], 2
                                        ; implicit-def: $vgpr15_vgpr16
	s_mov_b32 s2, exec_lo
	s_wait_alu 0xfffe
	s_add_nc_u64 s[36:37], s[10:11], s[40:41]
	s_clause 0x1
	s_load_b32 s31, s[38:39], 0x6c
	s_load_b32 s36, s[36:37], 0x8
	s_wait_kmcnt 0x0
	s_ashr_i32 s37, s36, 31
	s_wait_alu 0xfffe
	v_or_b32_e32 v3, s37, v14
	s_delay_alu instid0(VALU_DEP_1)
	v_cmpx_ne_u64_e32 0, v[2:3]
	s_xor_b32 s27, exec_lo, s2
	s_cbranch_execz .LBB24_36
; %bb.35:                               ;   in Loop: Header=BB24_22 Depth=2
	s_ashr_i32 s38, s37, 31
	v_ashrrev_i32_e32 v3, 31, v14
	s_wait_alu 0xfffe
	s_mov_b32 s39, s38
	s_wait_alu 0xfffe
	s_add_nc_u64 s[42:43], s[36:37], s[38:39]
	v_add_co_u32 v5, vcc_lo, v13, v3
	s_wait_alu 0xfffe
	s_xor_b64 s[42:43], s[42:43], s[38:39]
	s_wait_alu 0xfffd
	v_add_co_ci_u32_e64 v8, null, v14, v3, vcc_lo
	s_wait_alu 0xfffe
	s_cvt_f32_u32 s2, s42
	s_cvt_f32_u32 s18, s43
	s_sub_nc_u64 s[46:47], 0, s[42:43]
	v_xor_b32_e32 v5, v5, v3
	v_xor_b32_e32 v8, v8, v3
	s_wait_alu 0xfffe
	s_fmamk_f32 s2, s18, 0x4f800000, s2
	v_xor_b32_e32 v3, s38, v3
	s_wait_alu 0xfffe
	s_delay_alu instid0(SALU_CYCLE_1) | instskip(NEXT) | instid1(TRANS32_DEP_1)
	v_s_rcp_f32 s2, s2
	s_mul_f32 s2, s2, 0x5f7ffffc
	s_wait_alu 0xfffe
	s_delay_alu instid0(SALU_CYCLE_2) | instskip(SKIP_1) | instid1(SALU_CYCLE_2)
	s_mul_f32 s18, s2, 0x2f800000
	s_wait_alu 0xfffe
	s_trunc_f32 s18, s18
	s_wait_alu 0xfffe
	s_delay_alu instid0(SALU_CYCLE_2) | instskip(SKIP_2) | instid1(SALU_CYCLE_1)
	s_fmamk_f32 s2, s18, 0xcf800000, s2
	s_cvt_u32_f32 s45, s18
	s_wait_alu 0xfffe
	s_cvt_u32_f32 s44, s2
	s_wait_alu 0xfffe
	s_delay_alu instid0(SALU_CYCLE_2)
	s_mul_u64 s[48:49], s[46:47], s[44:45]
	s_wait_alu 0xfffe
	s_mul_hi_u32 s51, s44, s49
	s_mul_i32 s50, s44, s49
	s_mul_hi_u32 s18, s44, s48
	s_mul_i32 s35, s45, s48
	s_wait_alu 0xfffe
	s_add_nc_u64 s[50:51], s[18:19], s[50:51]
	s_mul_hi_u32 s2, s45, s48
	s_mul_hi_u32 s37, s45, s49
	s_wait_alu 0xfffe
	s_add_co_u32 s18, s50, s35
	s_add_co_ci_u32 s18, s51, s2
	s_mul_i32 s48, s45, s49
	s_add_co_ci_u32 s49, s37, 0
	s_wait_alu 0xfffe
	s_add_nc_u64 s[48:49], s[18:19], s[48:49]
	s_wait_alu 0xfffe
	s_add_co_u32 s44, s44, s48
	s_cselect_b32 s2, -1, 0
	s_wait_alu 0xfffe
	s_cmp_lg_u32 s2, 0
	s_add_co_ci_u32 s45, s45, s49
	s_wait_alu 0xfffe
	s_mul_u64 s[46:47], s[46:47], s[44:45]
	s_wait_alu 0xfffe
	s_mul_hi_u32 s49, s44, s47
	s_mul_i32 s48, s44, s47
	s_mul_hi_u32 s18, s44, s46
	s_mul_i32 s35, s45, s46
	s_wait_alu 0xfffe
	s_add_nc_u64 s[48:49], s[18:19], s[48:49]
	s_mul_hi_u32 s2, s45, s46
	s_mul_hi_u32 s37, s45, s47
	s_wait_alu 0xfffe
	s_add_co_u32 s18, s48, s35
	s_add_co_ci_u32 s18, s49, s2
	s_mul_i32 s46, s45, s47
	s_add_co_ci_u32 s47, s37, 0
	s_wait_alu 0xfffe
	s_add_nc_u64 s[46:47], s[18:19], s[46:47]
	s_wait_alu 0xfffe
	s_add_co_u32 s2, s44, s46
	s_cselect_b32 s18, -1, 0
	s_wait_alu 0xfffe
	v_mul_hi_u32 v10, v5, s2
	s_cmp_lg_u32 s18, 0
	v_mad_co_u64_u32 v[16:17], null, v8, s2, 0
	s_add_co_ci_u32 s18, s45, s47
	s_wait_alu 0xfffe
	v_mad_co_u64_u32 v[14:15], null, v5, s18, 0
	v_mad_co_u64_u32 v[18:19], null, v8, s18, 0
	s_delay_alu instid0(VALU_DEP_2) | instskip(SKIP_1) | instid1(VALU_DEP_3)
	v_add_co_u32 v10, vcc_lo, v10, v14
	s_wait_alu 0xfffd
	v_add_co_ci_u32_e64 v12, null, 0, v15, vcc_lo
	s_delay_alu instid0(VALU_DEP_2) | instskip(SKIP_1) | instid1(VALU_DEP_2)
	v_add_co_u32 v10, vcc_lo, v10, v16
	s_wait_alu 0xfffd
	v_add_co_ci_u32_e32 v10, vcc_lo, v12, v17, vcc_lo
	s_wait_alu 0xfffd
	v_add_co_ci_u32_e32 v12, vcc_lo, 0, v19, vcc_lo
	s_delay_alu instid0(VALU_DEP_2) | instskip(SKIP_1) | instid1(VALU_DEP_2)
	v_add_co_u32 v10, vcc_lo, v10, v18
	s_wait_alu 0xfffd
	v_add_co_ci_u32_e64 v12, null, 0, v12, vcc_lo
	s_delay_alu instid0(VALU_DEP_2) | instskip(SKIP_1) | instid1(VALU_DEP_3)
	v_mul_lo_u32 v16, s43, v10
	v_mad_co_u64_u32 v[14:15], null, s42, v10, 0
	v_mul_lo_u32 v17, s42, v12
	s_delay_alu instid0(VALU_DEP_2) | instskip(NEXT) | instid1(VALU_DEP_2)
	v_sub_co_u32 v5, vcc_lo, v5, v14
	v_add3_u32 v15, v15, v17, v16
	s_delay_alu instid0(VALU_DEP_1) | instskip(SKIP_2) | instid1(VALU_DEP_2)
	v_sub_nc_u32_e32 v16, v8, v15
	s_wait_alu 0xfffd
	v_sub_co_ci_u32_e64 v8, null, v8, v15, vcc_lo
	v_subrev_co_ci_u32_e64 v14, null, s43, v16, vcc_lo
	v_add_co_u32 v16, s2, v10, 2
	s_wait_alu 0xf1ff
	v_add_co_ci_u32_e64 v17, null, 0, v12, s2
	v_sub_co_u32 v18, s2, v5, s42
	s_wait_alu 0xf1ff
	v_subrev_co_ci_u32_e64 v14, null, 0, v14, s2
	s_delay_alu instid0(VALU_DEP_2) | instskip(SKIP_2) | instid1(VALU_DEP_3)
	v_cmp_le_u32_e32 vcc_lo, s42, v18
	s_wait_alu 0xfffd
	v_cndmask_b32_e64 v15, 0, -1, vcc_lo
	v_cmp_le_u32_e32 vcc_lo, s43, v14
	s_wait_alu 0xfffd
	v_cndmask_b32_e64 v18, 0, -1, vcc_lo
	;; [unrolled: 3-line block ×4, first 2 shown]
	v_cmp_eq_u32_e32 vcc_lo, s43, v14
	s_wait_alu 0xfffd
	v_cndmask_b32_e32 v14, v18, v15, vcc_lo
	v_add_co_u32 v15, vcc_lo, v10, 1
	s_wait_alu 0xfffd
	v_add_co_ci_u32_e64 v18, null, 0, v12, vcc_lo
	v_cmp_eq_u32_e32 vcc_lo, s43, v8
	s_wait_alu 0xfffd
	v_cndmask_b32_e32 v5, v19, v5, vcc_lo
	v_cmp_ne_u32_e32 vcc_lo, 0, v14
	s_delay_alu instid0(VALU_DEP_2) | instskip(SKIP_3) | instid1(VALU_DEP_1)
	v_cmp_ne_u32_e64 s2, 0, v5
	s_wait_alu 0xfffd
	v_dual_cndmask_b32 v8, v18, v17 :: v_dual_cndmask_b32 v5, v15, v16
	s_wait_alu 0xf1ff
	v_cndmask_b32_e64 v8, v12, v8, s2
	s_delay_alu instid0(VALU_DEP_2) | instskip(NEXT) | instid1(VALU_DEP_2)
	v_cndmask_b32_e64 v5, v10, v5, s2
	v_xor_b32_e32 v8, v8, v3
	s_delay_alu instid0(VALU_DEP_2) | instskip(NEXT) | instid1(VALU_DEP_1)
	v_xor_b32_e32 v5, v5, v3
	v_sub_co_u32 v15, vcc_lo, v5, v3
	s_wait_alu 0xfffd
	s_delay_alu instid0(VALU_DEP_3)
	v_sub_co_ci_u32_e64 v16, null, v8, v3, vcc_lo
.LBB24_36:                              ;   in Loop: Header=BB24_22 Depth=2
	s_wait_alu 0xfffe
	s_and_not1_saveexec_b32 s2, s27
	s_cbranch_execz .LBB24_38
; %bb.37:                               ;   in Loop: Header=BB24_22 Depth=2
	v_cvt_f32_u32_e32 v3, s36
	s_sub_co_i32 s18, 0, s36
	v_mov_b32_e32 v16, v2
	s_delay_alu instid0(VALU_DEP_2) | instskip(NEXT) | instid1(TRANS32_DEP_1)
	v_rcp_iflag_f32_e32 v3, v3
	v_mul_f32_e32 v3, 0x4f7ffffe, v3
	s_delay_alu instid0(VALU_DEP_1) | instskip(SKIP_1) | instid1(VALU_DEP_1)
	v_cvt_u32_f32_e32 v3, v3
	s_wait_alu 0xfffe
	v_mul_lo_u32 v5, s18, v3
	s_delay_alu instid0(VALU_DEP_1) | instskip(NEXT) | instid1(VALU_DEP_1)
	v_mul_hi_u32 v5, v3, v5
	v_add_nc_u32_e32 v3, v3, v5
	s_delay_alu instid0(VALU_DEP_1) | instskip(NEXT) | instid1(VALU_DEP_1)
	v_mul_hi_u32 v3, v13, v3
	v_mul_lo_u32 v5, v3, s36
	s_delay_alu instid0(VALU_DEP_1) | instskip(NEXT) | instid1(VALU_DEP_1)
	v_sub_nc_u32_e32 v5, v13, v5
	v_subrev_nc_u32_e32 v10, s36, v5
	v_cmp_le_u32_e32 vcc_lo, s36, v5
	s_wait_alu 0xfffd
	s_delay_alu instid0(VALU_DEP_2) | instskip(NEXT) | instid1(VALU_DEP_1)
	v_dual_cndmask_b32 v5, v5, v10 :: v_dual_add_nc_u32 v8, 1, v3
	v_cndmask_b32_e32 v3, v3, v8, vcc_lo
	s_delay_alu instid0(VALU_DEP_2) | instskip(NEXT) | instid1(VALU_DEP_2)
	v_cmp_le_u32_e32 vcc_lo, s36, v5
	v_add_nc_u32_e32 v8, 1, v3
	s_wait_alu 0xfffd
	s_delay_alu instid0(VALU_DEP_1)
	v_cndmask_b32_e32 v15, v3, v8, vcc_lo
.LBB24_38:                              ;   in Loop: Header=BB24_22 Depth=2
	s_wait_alu 0xfffe
	s_or_b32 exec_lo, exec_lo, s2
	s_add_co_i32 s18, s26, 3
	s_add_nc_u64 s[40:41], s[0:1], s[40:41]
	s_wait_alu 0xfffe
	s_lshl_b64 s[42:43], s[18:19], 2
                                        ; implicit-def: $vgpr17_vgpr18
	s_mov_b32 s2, exec_lo
	s_wait_alu 0xfffe
	s_add_nc_u64 s[38:39], s[10:11], s[42:43]
	s_clause 0x1
	s_load_b32 s35, s[40:41], 0x6c
	s_load_b32 s38, s[38:39], 0x8
	s_wait_kmcnt 0x0
	s_ashr_i32 s39, s38, 31
	s_wait_alu 0xfffe
	v_or_b32_e32 v3, s39, v16
	s_delay_alu instid0(VALU_DEP_1)
	v_cmpx_ne_u64_e32 0, v[2:3]
	s_xor_b32 s27, exec_lo, s2
	s_cbranch_execz .LBB24_40
; %bb.39:                               ;   in Loop: Header=BB24_22 Depth=2
	s_ashr_i32 s40, s39, 31
	v_ashrrev_i32_e32 v3, 31, v16
	s_wait_alu 0xfffe
	s_mov_b32 s41, s40
	s_wait_alu 0xfffe
	s_add_nc_u64 s[44:45], s[38:39], s[40:41]
	v_add_co_u32 v5, vcc_lo, v15, v3
	s_wait_alu 0xfffe
	s_xor_b64 s[44:45], s[44:45], s[40:41]
	s_wait_alu 0xfffd
	v_add_co_ci_u32_e64 v8, null, v16, v3, vcc_lo
	s_wait_alu 0xfffe
	s_cvt_f32_u32 s2, s44
	s_cvt_f32_u32 s18, s45
	s_sub_nc_u64 s[48:49], 0, s[44:45]
	v_xor_b32_e32 v5, v5, v3
	v_xor_b32_e32 v8, v8, v3
	s_wait_alu 0xfffe
	s_fmamk_f32 s2, s18, 0x4f800000, s2
	v_xor_b32_e32 v3, s40, v3
	s_wait_alu 0xfffe
	s_delay_alu instid0(SALU_CYCLE_1) | instskip(NEXT) | instid1(TRANS32_DEP_1)
	v_s_rcp_f32 s2, s2
	s_mul_f32 s2, s2, 0x5f7ffffc
	s_wait_alu 0xfffe
	s_delay_alu instid0(SALU_CYCLE_2) | instskip(SKIP_1) | instid1(SALU_CYCLE_2)
	s_mul_f32 s18, s2, 0x2f800000
	s_wait_alu 0xfffe
	s_trunc_f32 s18, s18
	s_wait_alu 0xfffe
	s_delay_alu instid0(SALU_CYCLE_2) | instskip(SKIP_2) | instid1(SALU_CYCLE_1)
	s_fmamk_f32 s2, s18, 0xcf800000, s2
	s_cvt_u32_f32 s47, s18
	s_wait_alu 0xfffe
	s_cvt_u32_f32 s46, s2
	s_wait_alu 0xfffe
	s_delay_alu instid0(SALU_CYCLE_2)
	s_mul_u64 s[50:51], s[48:49], s[46:47]
	s_wait_alu 0xfffe
	s_mul_hi_u32 s59, s46, s51
	s_mul_i32 s58, s46, s51
	s_mul_hi_u32 s18, s46, s50
	s_mul_i32 s37, s47, s50
	s_wait_alu 0xfffe
	s_add_nc_u64 s[58:59], s[18:19], s[58:59]
	s_mul_hi_u32 s2, s47, s50
	s_mul_hi_u32 s39, s47, s51
	s_add_co_u32 s18, s58, s37
	s_wait_alu 0xfffe
	s_add_co_ci_u32 s18, s59, s2
	s_mul_i32 s50, s47, s51
	s_add_co_ci_u32 s51, s39, 0
	s_wait_alu 0xfffe
	s_add_nc_u64 s[50:51], s[18:19], s[50:51]
	s_wait_alu 0xfffe
	s_add_co_u32 s46, s46, s50
	s_cselect_b32 s2, -1, 0
	s_wait_alu 0xfffe
	s_cmp_lg_u32 s2, 0
	s_add_co_ci_u32 s47, s47, s51
	s_wait_alu 0xfffe
	s_mul_u64 s[48:49], s[48:49], s[46:47]
	s_wait_alu 0xfffe
	s_mul_hi_u32 s51, s46, s49
	s_mul_i32 s50, s46, s49
	s_mul_hi_u32 s18, s46, s48
	s_mul_i32 s37, s47, s48
	s_wait_alu 0xfffe
	s_add_nc_u64 s[50:51], s[18:19], s[50:51]
	s_mul_hi_u32 s2, s47, s48
	s_mul_hi_u32 s39, s47, s49
	s_wait_alu 0xfffe
	s_add_co_u32 s18, s50, s37
	s_add_co_ci_u32 s18, s51, s2
	s_mul_i32 s48, s47, s49
	s_add_co_ci_u32 s49, s39, 0
	s_wait_alu 0xfffe
	s_add_nc_u64 s[48:49], s[18:19], s[48:49]
	s_wait_alu 0xfffe
	s_add_co_u32 s2, s46, s48
	s_cselect_b32 s18, -1, 0
	s_wait_alu 0xfffe
	v_mul_hi_u32 v10, v5, s2
	s_cmp_lg_u32 s18, 0
	v_mad_co_u64_u32 v[18:19], null, v8, s2, 0
	s_add_co_ci_u32 s18, s47, s49
	s_wait_alu 0xfffe
	v_mad_co_u64_u32 v[16:17], null, v5, s18, 0
	v_mad_co_u64_u32 v[20:21], null, v8, s18, 0
	s_delay_alu instid0(VALU_DEP_2) | instskip(SKIP_1) | instid1(VALU_DEP_3)
	v_add_co_u32 v10, vcc_lo, v10, v16
	s_wait_alu 0xfffd
	v_add_co_ci_u32_e64 v12, null, 0, v17, vcc_lo
	s_delay_alu instid0(VALU_DEP_2) | instskip(SKIP_1) | instid1(VALU_DEP_2)
	v_add_co_u32 v10, vcc_lo, v10, v18
	s_wait_alu 0xfffd
	v_add_co_ci_u32_e32 v10, vcc_lo, v12, v19, vcc_lo
	s_wait_alu 0xfffd
	v_add_co_ci_u32_e32 v12, vcc_lo, 0, v21, vcc_lo
	s_delay_alu instid0(VALU_DEP_2) | instskip(SKIP_1) | instid1(VALU_DEP_2)
	v_add_co_u32 v10, vcc_lo, v10, v20
	s_wait_alu 0xfffd
	v_add_co_ci_u32_e64 v12, null, 0, v12, vcc_lo
	s_delay_alu instid0(VALU_DEP_2) | instskip(SKIP_1) | instid1(VALU_DEP_3)
	v_mul_lo_u32 v14, s45, v10
	v_mad_co_u64_u32 v[16:17], null, s44, v10, 0
	v_mul_lo_u32 v18, s44, v12
	s_delay_alu instid0(VALU_DEP_2) | instskip(NEXT) | instid1(VALU_DEP_2)
	v_sub_co_u32 v5, vcc_lo, v5, v16
	v_add3_u32 v14, v17, v18, v14
	s_delay_alu instid0(VALU_DEP_1) | instskip(SKIP_2) | instid1(VALU_DEP_2)
	v_sub_nc_u32_e32 v17, v8, v14
	s_wait_alu 0xfffd
	v_sub_co_ci_u32_e64 v8, null, v8, v14, vcc_lo
	v_subrev_co_ci_u32_e64 v16, null, s45, v17, vcc_lo
	v_add_co_u32 v17, s2, v10, 2
	s_wait_alu 0xf1ff
	v_add_co_ci_u32_e64 v18, null, 0, v12, s2
	v_sub_co_u32 v19, s2, v5, s44
	s_wait_alu 0xf1ff
	v_subrev_co_ci_u32_e64 v16, null, 0, v16, s2
	s_delay_alu instid0(VALU_DEP_2) | instskip(SKIP_2) | instid1(VALU_DEP_3)
	v_cmp_le_u32_e32 vcc_lo, s44, v19
	s_wait_alu 0xfffd
	v_cndmask_b32_e64 v14, 0, -1, vcc_lo
	v_cmp_le_u32_e32 vcc_lo, s45, v16
	s_wait_alu 0xfffd
	v_cndmask_b32_e64 v19, 0, -1, vcc_lo
	;; [unrolled: 3-line block ×4, first 2 shown]
	v_cmp_eq_u32_e32 vcc_lo, s45, v16
	s_wait_alu 0xfffd
	v_cndmask_b32_e32 v14, v19, v14, vcc_lo
	v_add_co_u32 v16, vcc_lo, v10, 1
	s_wait_alu 0xfffd
	v_add_co_ci_u32_e64 v19, null, 0, v12, vcc_lo
	v_cmp_eq_u32_e32 vcc_lo, s45, v8
	s_wait_alu 0xfffd
	v_cndmask_b32_e32 v5, v20, v5, vcc_lo
	v_cmp_ne_u32_e32 vcc_lo, 0, v14
	s_delay_alu instid0(VALU_DEP_2) | instskip(SKIP_3) | instid1(VALU_DEP_1)
	v_cmp_ne_u32_e64 s2, 0, v5
	s_wait_alu 0xfffd
	v_dual_cndmask_b32 v8, v19, v18 :: v_dual_cndmask_b32 v5, v16, v17
	s_wait_alu 0xf1ff
	v_cndmask_b32_e64 v8, v12, v8, s2
	s_delay_alu instid0(VALU_DEP_2) | instskip(NEXT) | instid1(VALU_DEP_2)
	v_cndmask_b32_e64 v5, v10, v5, s2
	v_xor_b32_e32 v8, v8, v3
	s_delay_alu instid0(VALU_DEP_2) | instskip(NEXT) | instid1(VALU_DEP_1)
	v_xor_b32_e32 v5, v5, v3
	v_sub_co_u32 v17, vcc_lo, v5, v3
	s_wait_alu 0xfffd
	s_delay_alu instid0(VALU_DEP_3)
	v_sub_co_ci_u32_e64 v18, null, v8, v3, vcc_lo
.LBB24_40:                              ;   in Loop: Header=BB24_22 Depth=2
	s_wait_alu 0xfffe
	s_and_not1_saveexec_b32 s2, s27
	s_cbranch_execz .LBB24_42
; %bb.41:                               ;   in Loop: Header=BB24_22 Depth=2
	v_cvt_f32_u32_e32 v3, s38
	s_sub_co_i32 s18, 0, s38
	v_mov_b32_e32 v18, v2
	s_delay_alu instid0(VALU_DEP_2) | instskip(NEXT) | instid1(TRANS32_DEP_1)
	v_rcp_iflag_f32_e32 v3, v3
	v_mul_f32_e32 v3, 0x4f7ffffe, v3
	s_delay_alu instid0(VALU_DEP_1) | instskip(SKIP_1) | instid1(VALU_DEP_1)
	v_cvt_u32_f32_e32 v3, v3
	s_wait_alu 0xfffe
	v_mul_lo_u32 v5, s18, v3
	s_delay_alu instid0(VALU_DEP_1) | instskip(NEXT) | instid1(VALU_DEP_1)
	v_mul_hi_u32 v5, v3, v5
	v_add_nc_u32_e32 v3, v3, v5
	s_delay_alu instid0(VALU_DEP_1) | instskip(NEXT) | instid1(VALU_DEP_1)
	v_mul_hi_u32 v3, v15, v3
	v_mul_lo_u32 v5, v3, s38
	s_delay_alu instid0(VALU_DEP_1) | instskip(NEXT) | instid1(VALU_DEP_1)
	v_sub_nc_u32_e32 v5, v15, v5
	v_subrev_nc_u32_e32 v10, s38, v5
	v_cmp_le_u32_e32 vcc_lo, s38, v5
	s_wait_alu 0xfffd
	s_delay_alu instid0(VALU_DEP_2) | instskip(NEXT) | instid1(VALU_DEP_1)
	v_dual_cndmask_b32 v5, v5, v10 :: v_dual_add_nc_u32 v8, 1, v3
	v_cndmask_b32_e32 v3, v3, v8, vcc_lo
	s_delay_alu instid0(VALU_DEP_2) | instskip(NEXT) | instid1(VALU_DEP_2)
	v_cmp_le_u32_e32 vcc_lo, s38, v5
	v_add_nc_u32_e32 v8, 1, v3
	s_wait_alu 0xfffd
	s_delay_alu instid0(VALU_DEP_1)
	v_cndmask_b32_e32 v17, v3, v8, vcc_lo
.LBB24_42:                              ;   in Loop: Header=BB24_22 Depth=2
	s_wait_alu 0xfffe
	s_or_b32 exec_lo, exec_lo, s2
	s_add_co_i32 s18, s26, 2
	s_add_nc_u64 s[42:43], s[0:1], s[42:43]
	s_wait_alu 0xfffe
	s_lshl_b64 s[44:45], s[18:19], 2
                                        ; implicit-def: $vgpr19_vgpr20
	s_mov_b32 s2, exec_lo
	s_wait_alu 0xfffe
	s_add_nc_u64 s[40:41], s[10:11], s[44:45]
	s_clause 0x1
	s_load_b32 s37, s[42:43], 0x6c
	s_load_b32 s40, s[40:41], 0x8
	s_wait_kmcnt 0x0
	s_ashr_i32 s41, s40, 31
	s_wait_alu 0xfffe
	v_or_b32_e32 v3, s41, v18
	s_delay_alu instid0(VALU_DEP_1)
	v_cmpx_ne_u64_e32 0, v[2:3]
	s_xor_b32 s27, exec_lo, s2
	s_cbranch_execz .LBB24_44
; %bb.43:                               ;   in Loop: Header=BB24_22 Depth=2
	s_ashr_i32 s42, s41, 31
	v_ashrrev_i32_e32 v3, 31, v18
	s_wait_alu 0xfffe
	s_mov_b32 s43, s42
	s_wait_alu 0xfffe
	s_add_nc_u64 s[46:47], s[40:41], s[42:43]
	v_add_co_u32 v5, vcc_lo, v17, v3
	s_wait_alu 0xfffe
	s_xor_b64 s[46:47], s[46:47], s[42:43]
	s_wait_alu 0xfffd
	v_add_co_ci_u32_e64 v8, null, v18, v3, vcc_lo
	s_wait_alu 0xfffe
	s_cvt_f32_u32 s2, s46
	s_cvt_f32_u32 s18, s47
	s_sub_nc_u64 s[50:51], 0, s[46:47]
	v_xor_b32_e32 v5, v5, v3
	v_xor_b32_e32 v8, v8, v3
	s_wait_alu 0xfffe
	s_fmamk_f32 s2, s18, 0x4f800000, s2
	v_xor_b32_e32 v3, s42, v3
	s_wait_alu 0xfffe
	s_delay_alu instid0(SALU_CYCLE_1) | instskip(NEXT) | instid1(TRANS32_DEP_1)
	v_s_rcp_f32 s2, s2
	s_mul_f32 s2, s2, 0x5f7ffffc
	s_wait_alu 0xfffe
	s_delay_alu instid0(SALU_CYCLE_2) | instskip(SKIP_1) | instid1(SALU_CYCLE_2)
	s_mul_f32 s18, s2, 0x2f800000
	s_wait_alu 0xfffe
	s_trunc_f32 s18, s18
	s_wait_alu 0xfffe
	s_delay_alu instid0(SALU_CYCLE_2) | instskip(SKIP_2) | instid1(SALU_CYCLE_1)
	s_fmamk_f32 s2, s18, 0xcf800000, s2
	s_cvt_u32_f32 s49, s18
	s_wait_alu 0xfffe
	s_cvt_u32_f32 s48, s2
	s_wait_alu 0xfffe
	s_delay_alu instid0(SALU_CYCLE_2) | instskip(NEXT) | instid1(SALU_CYCLE_1)
	s_mul_u64 s[58:59], s[50:51], s[48:49]
	s_mul_hi_u32 s61, s48, s59
	s_mul_i32 s60, s48, s59
	s_mul_hi_u32 s18, s48, s58
	s_mul_i32 s39, s49, s58
	s_wait_alu 0xfffe
	s_add_nc_u64 s[60:61], s[18:19], s[60:61]
	s_mul_hi_u32 s2, s49, s58
	s_mul_hi_u32 s41, s49, s59
	s_add_co_u32 s18, s60, s39
	s_wait_alu 0xfffe
	s_add_co_ci_u32 s18, s61, s2
	s_mul_i32 s58, s49, s59
	s_add_co_ci_u32 s59, s41, 0
	s_wait_alu 0xfffe
	s_add_nc_u64 s[58:59], s[18:19], s[58:59]
	s_delay_alu instid0(SALU_CYCLE_1)
	s_add_co_u32 s48, s48, s58
	s_cselect_b32 s2, -1, 0
	s_wait_alu 0xfffe
	s_cmp_lg_u32 s2, 0
	s_add_co_ci_u32 s49, s49, s59
	s_wait_alu 0xfffe
	s_mul_u64 s[50:51], s[50:51], s[48:49]
	s_wait_alu 0xfffe
	s_mul_hi_u32 s59, s48, s51
	s_mul_i32 s58, s48, s51
	s_mul_hi_u32 s18, s48, s50
	s_mul_i32 s39, s49, s50
	s_wait_alu 0xfffe
	s_add_nc_u64 s[58:59], s[18:19], s[58:59]
	s_mul_hi_u32 s2, s49, s50
	s_mul_hi_u32 s41, s49, s51
	s_add_co_u32 s18, s58, s39
	s_wait_alu 0xfffe
	s_add_co_ci_u32 s18, s59, s2
	s_mul_i32 s50, s49, s51
	s_add_co_ci_u32 s51, s41, 0
	s_wait_alu 0xfffe
	s_add_nc_u64 s[50:51], s[18:19], s[50:51]
	s_wait_alu 0xfffe
	s_add_co_u32 s2, s48, s50
	s_cselect_b32 s18, -1, 0
	s_wait_alu 0xfffe
	v_mul_hi_u32 v10, v5, s2
	s_cmp_lg_u32 s18, 0
	v_mad_co_u64_u32 v[20:21], null, v8, s2, 0
	s_add_co_ci_u32 s18, s49, s51
	s_wait_alu 0xfffe
	v_mad_co_u64_u32 v[18:19], null, v5, s18, 0
	v_mad_co_u64_u32 v[22:23], null, v8, s18, 0
	s_delay_alu instid0(VALU_DEP_2) | instskip(SKIP_1) | instid1(VALU_DEP_3)
	v_add_co_u32 v10, vcc_lo, v10, v18
	s_wait_alu 0xfffd
	v_add_co_ci_u32_e64 v12, null, 0, v19, vcc_lo
	s_delay_alu instid0(VALU_DEP_2) | instskip(SKIP_1) | instid1(VALU_DEP_2)
	v_add_co_u32 v10, vcc_lo, v10, v20
	s_wait_alu 0xfffd
	v_add_co_ci_u32_e32 v10, vcc_lo, v12, v21, vcc_lo
	s_wait_alu 0xfffd
	v_add_co_ci_u32_e32 v12, vcc_lo, 0, v23, vcc_lo
	s_delay_alu instid0(VALU_DEP_2) | instskip(SKIP_1) | instid1(VALU_DEP_2)
	v_add_co_u32 v10, vcc_lo, v10, v22
	s_wait_alu 0xfffd
	v_add_co_ci_u32_e64 v12, null, 0, v12, vcc_lo
	s_delay_alu instid0(VALU_DEP_2) | instskip(SKIP_1) | instid1(VALU_DEP_3)
	v_mul_lo_u32 v14, s47, v10
	v_mad_co_u64_u32 v[18:19], null, s46, v10, 0
	v_mul_lo_u32 v16, s46, v12
	s_delay_alu instid0(VALU_DEP_2) | instskip(NEXT) | instid1(VALU_DEP_2)
	v_sub_co_u32 v5, vcc_lo, v5, v18
	v_add3_u32 v14, v19, v16, v14
	v_add_co_u32 v18, s2, v10, 2
	s_wait_alu 0xf1ff
	v_add_co_ci_u32_e64 v19, null, 0, v12, s2
	s_delay_alu instid0(VALU_DEP_3) | instskip(SKIP_3) | instid1(VALU_DEP_3)
	v_sub_nc_u32_e32 v16, v8, v14
	v_sub_co_u32 v20, s2, v5, s46
	s_wait_alu 0xfffd
	v_sub_co_ci_u32_e64 v8, null, v8, v14, vcc_lo
	v_subrev_co_ci_u32_e64 v16, null, s47, v16, vcc_lo
	s_delay_alu instid0(VALU_DEP_3) | instskip(SKIP_1) | instid1(VALU_DEP_2)
	v_cmp_le_u32_e32 vcc_lo, s46, v20
	s_wait_alu 0xf1ff
	v_subrev_co_ci_u32_e64 v16, null, 0, v16, s2
	s_wait_alu 0xfffd
	v_cndmask_b32_e64 v14, 0, -1, vcc_lo
	s_delay_alu instid0(VALU_DEP_2)
	v_cmp_le_u32_e32 vcc_lo, s47, v16
	s_wait_alu 0xfffd
	v_cndmask_b32_e64 v20, 0, -1, vcc_lo
	v_cmp_le_u32_e32 vcc_lo, s46, v5
	s_wait_alu 0xfffd
	v_cndmask_b32_e64 v5, 0, -1, vcc_lo
	;; [unrolled: 3-line block ×3, first 2 shown]
	v_cmp_eq_u32_e32 vcc_lo, s47, v16
	s_wait_alu 0xfffd
	v_cndmask_b32_e32 v14, v20, v14, vcc_lo
	v_add_co_u32 v16, vcc_lo, v10, 1
	s_wait_alu 0xfffd
	v_add_co_ci_u32_e64 v20, null, 0, v12, vcc_lo
	v_cmp_eq_u32_e32 vcc_lo, s47, v8
	s_wait_alu 0xfffd
	v_cndmask_b32_e32 v5, v21, v5, vcc_lo
	v_cmp_ne_u32_e32 vcc_lo, 0, v14
	s_delay_alu instid0(VALU_DEP_2) | instskip(SKIP_4) | instid1(VALU_DEP_2)
	v_cmp_ne_u32_e64 s2, 0, v5
	s_wait_alu 0xfffd
	v_cndmask_b32_e32 v5, v16, v18, vcc_lo
	v_cndmask_b32_e32 v8, v20, v19, vcc_lo
	s_wait_alu 0xf1ff
	v_cndmask_b32_e64 v5, v10, v5, s2
	s_delay_alu instid0(VALU_DEP_2) | instskip(NEXT) | instid1(VALU_DEP_2)
	v_cndmask_b32_e64 v8, v12, v8, s2
	v_xor_b32_e32 v5, v5, v3
	s_delay_alu instid0(VALU_DEP_2) | instskip(NEXT) | instid1(VALU_DEP_2)
	v_xor_b32_e32 v8, v8, v3
	v_sub_co_u32 v19, vcc_lo, v5, v3
	s_wait_alu 0xfffd
	s_delay_alu instid0(VALU_DEP_2)
	v_sub_co_ci_u32_e64 v20, null, v8, v3, vcc_lo
.LBB24_44:                              ;   in Loop: Header=BB24_22 Depth=2
	s_wait_alu 0xfffe
	s_and_not1_saveexec_b32 s2, s27
	s_cbranch_execz .LBB24_46
; %bb.45:                               ;   in Loop: Header=BB24_22 Depth=2
	v_cvt_f32_u32_e32 v3, s40
	s_sub_co_i32 s18, 0, s40
	v_mov_b32_e32 v20, v2
	s_delay_alu instid0(VALU_DEP_2) | instskip(NEXT) | instid1(TRANS32_DEP_1)
	v_rcp_iflag_f32_e32 v3, v3
	v_mul_f32_e32 v3, 0x4f7ffffe, v3
	s_delay_alu instid0(VALU_DEP_1) | instskip(SKIP_1) | instid1(VALU_DEP_1)
	v_cvt_u32_f32_e32 v3, v3
	s_wait_alu 0xfffe
	v_mul_lo_u32 v5, s18, v3
	s_delay_alu instid0(VALU_DEP_1) | instskip(NEXT) | instid1(VALU_DEP_1)
	v_mul_hi_u32 v5, v3, v5
	v_add_nc_u32_e32 v3, v3, v5
	s_delay_alu instid0(VALU_DEP_1) | instskip(NEXT) | instid1(VALU_DEP_1)
	v_mul_hi_u32 v3, v17, v3
	v_mul_lo_u32 v5, v3, s40
	s_delay_alu instid0(VALU_DEP_1) | instskip(NEXT) | instid1(VALU_DEP_1)
	v_sub_nc_u32_e32 v5, v17, v5
	v_subrev_nc_u32_e32 v10, s40, v5
	v_cmp_le_u32_e32 vcc_lo, s40, v5
	s_wait_alu 0xfffd
	s_delay_alu instid0(VALU_DEP_2) | instskip(NEXT) | instid1(VALU_DEP_1)
	v_dual_cndmask_b32 v5, v5, v10 :: v_dual_add_nc_u32 v8, 1, v3
	v_cndmask_b32_e32 v3, v3, v8, vcc_lo
	s_delay_alu instid0(VALU_DEP_2) | instskip(NEXT) | instid1(VALU_DEP_2)
	v_cmp_le_u32_e32 vcc_lo, s40, v5
	v_add_nc_u32_e32 v8, 1, v3
	s_wait_alu 0xfffd
	s_delay_alu instid0(VALU_DEP_1)
	v_cndmask_b32_e32 v19, v3, v8, vcc_lo
.LBB24_46:                              ;   in Loop: Header=BB24_22 Depth=2
	s_wait_alu 0xfffe
	s_or_b32 exec_lo, exec_lo, s2
	s_add_co_i32 s18, s26, 1
	s_add_nc_u64 s[44:45], s[0:1], s[44:45]
	s_wait_alu 0xfffe
	s_lshl_b64 s[48:49], s[18:19], 2
                                        ; implicit-def: $vgpr21_vgpr22
	s_mov_b32 s2, exec_lo
	s_wait_alu 0xfffe
	s_add_nc_u64 s[42:43], s[10:11], s[48:49]
	s_clause 0x1
	s_load_b32 s39, s[44:45], 0x6c
	s_load_b32 s42, s[42:43], 0x8
	s_wait_kmcnt 0x0
	s_ashr_i32 s43, s42, 31
	s_wait_alu 0xfffe
	v_or_b32_e32 v3, s43, v20
	s_delay_alu instid0(VALU_DEP_1)
	v_cmpx_ne_u64_e32 0, v[2:3]
	s_xor_b32 s27, exec_lo, s2
	s_cbranch_execz .LBB24_48
; %bb.47:                               ;   in Loop: Header=BB24_22 Depth=2
	s_ashr_i32 s44, s43, 31
	v_ashrrev_i32_e32 v3, 31, v20
	s_wait_alu 0xfffe
	s_mov_b32 s45, s44
	s_wait_alu 0xfffe
	s_add_nc_u64 s[46:47], s[42:43], s[44:45]
	v_add_co_u32 v5, vcc_lo, v19, v3
	s_wait_alu 0xfffe
	s_xor_b64 s[46:47], s[46:47], s[44:45]
	s_wait_alu 0xfffd
	v_add_co_ci_u32_e64 v8, null, v20, v3, vcc_lo
	s_wait_alu 0xfffe
	s_cvt_f32_u32 s2, s46
	s_cvt_f32_u32 s18, s47
	s_sub_nc_u64 s[58:59], 0, s[46:47]
	v_xor_b32_e32 v5, v5, v3
	v_xor_b32_e32 v8, v8, v3
	s_wait_alu 0xfffe
	s_fmamk_f32 s2, s18, 0x4f800000, s2
	v_xor_b32_e32 v3, s44, v3
	s_wait_alu 0xfffe
	s_delay_alu instid0(SALU_CYCLE_1) | instskip(NEXT) | instid1(TRANS32_DEP_1)
	v_s_rcp_f32 s2, s2
	s_mul_f32 s2, s2, 0x5f7ffffc
	s_wait_alu 0xfffe
	s_delay_alu instid0(SALU_CYCLE_2) | instskip(SKIP_1) | instid1(SALU_CYCLE_2)
	s_mul_f32 s18, s2, 0x2f800000
	s_wait_alu 0xfffe
	s_trunc_f32 s18, s18
	s_wait_alu 0xfffe
	s_delay_alu instid0(SALU_CYCLE_2) | instskip(SKIP_2) | instid1(SALU_CYCLE_1)
	s_fmamk_f32 s2, s18, 0xcf800000, s2
	s_cvt_u32_f32 s51, s18
	s_wait_alu 0xfffe
	s_cvt_u32_f32 s50, s2
	s_wait_alu 0xfffe
	s_delay_alu instid0(SALU_CYCLE_2) | instskip(NEXT) | instid1(SALU_CYCLE_1)
	s_mul_u64 s[60:61], s[58:59], s[50:51]
	s_mul_hi_u32 s63, s50, s61
	s_mul_i32 s62, s50, s61
	s_mul_hi_u32 s18, s50, s60
	s_mul_i32 s41, s51, s60
	s_wait_alu 0xfffe
	s_add_nc_u64 s[62:63], s[18:19], s[62:63]
	s_mul_hi_u32 s2, s51, s60
	s_mul_hi_u32 s43, s51, s61
	s_add_co_u32 s18, s62, s41
	s_wait_alu 0xfffe
	s_add_co_ci_u32 s18, s63, s2
	s_mul_i32 s60, s51, s61
	s_add_co_ci_u32 s61, s43, 0
	s_wait_alu 0xfffe
	s_add_nc_u64 s[60:61], s[18:19], s[60:61]
	s_delay_alu instid0(SALU_CYCLE_1)
	s_add_co_u32 s50, s50, s60
	s_cselect_b32 s2, -1, 0
	s_wait_alu 0xfffe
	s_cmp_lg_u32 s2, 0
	s_add_co_ci_u32 s51, s51, s61
	s_wait_alu 0xfffe
	s_mul_u64 s[58:59], s[58:59], s[50:51]
	s_delay_alu instid0(SALU_CYCLE_1)
	s_mul_hi_u32 s61, s50, s59
	s_mul_i32 s60, s50, s59
	s_mul_hi_u32 s18, s50, s58
	s_mul_i32 s41, s51, s58
	s_wait_alu 0xfffe
	s_add_nc_u64 s[60:61], s[18:19], s[60:61]
	s_mul_hi_u32 s2, s51, s58
	s_mul_hi_u32 s43, s51, s59
	s_add_co_u32 s18, s60, s41
	s_wait_alu 0xfffe
	s_add_co_ci_u32 s18, s61, s2
	s_mul_i32 s58, s51, s59
	s_add_co_ci_u32 s59, s43, 0
	s_wait_alu 0xfffe
	s_add_nc_u64 s[58:59], s[18:19], s[58:59]
	s_delay_alu instid0(SALU_CYCLE_1)
	s_add_co_u32 s2, s50, s58
	s_cselect_b32 s18, -1, 0
	s_wait_alu 0xfffe
	v_mul_hi_u32 v10, v5, s2
	s_cmp_lg_u32 s18, 0
	v_mad_co_u64_u32 v[22:23], null, v8, s2, 0
	s_add_co_ci_u32 s18, s51, s59
	s_wait_alu 0xfffe
	v_mad_co_u64_u32 v[20:21], null, v5, s18, 0
	v_mad_co_u64_u32 v[29:30], null, v8, s18, 0
	s_delay_alu instid0(VALU_DEP_2) | instskip(SKIP_1) | instid1(VALU_DEP_3)
	v_add_co_u32 v10, vcc_lo, v10, v20
	s_wait_alu 0xfffd
	v_add_co_ci_u32_e64 v12, null, 0, v21, vcc_lo
	s_delay_alu instid0(VALU_DEP_2) | instskip(SKIP_1) | instid1(VALU_DEP_2)
	v_add_co_u32 v10, vcc_lo, v10, v22
	s_wait_alu 0xfffd
	v_add_co_ci_u32_e32 v10, vcc_lo, v12, v23, vcc_lo
	s_wait_alu 0xfffd
	v_add_co_ci_u32_e32 v12, vcc_lo, 0, v30, vcc_lo
	s_delay_alu instid0(VALU_DEP_2) | instskip(SKIP_1) | instid1(VALU_DEP_2)
	v_add_co_u32 v10, vcc_lo, v10, v29
	s_wait_alu 0xfffd
	v_add_co_ci_u32_e64 v12, null, 0, v12, vcc_lo
	s_delay_alu instid0(VALU_DEP_2) | instskip(SKIP_1) | instid1(VALU_DEP_3)
	v_mul_lo_u32 v14, s47, v10
	v_mad_co_u64_u32 v[20:21], null, s46, v10, 0
	v_mul_lo_u32 v16, s46, v12
	v_add_co_u32 v18, s2, v10, 2
	s_delay_alu instid0(VALU_DEP_3) | instskip(NEXT) | instid1(VALU_DEP_3)
	v_sub_co_u32 v5, vcc_lo, v5, v20
	v_add3_u32 v14, v21, v16, v14
	s_wait_alu 0xf1ff
	v_add_co_ci_u32_e64 v20, null, 0, v12, s2
	s_delay_alu instid0(VALU_DEP_3) | instskip(NEXT) | instid1(VALU_DEP_3)
	v_sub_co_u32 v21, s2, v5, s46
	v_sub_nc_u32_e32 v16, v8, v14
	s_wait_alu 0xfffd
	v_sub_co_ci_u32_e64 v8, null, v8, v14, vcc_lo
	s_delay_alu instid0(VALU_DEP_2) | instskip(SKIP_2) | instid1(VALU_DEP_2)
	v_subrev_co_ci_u32_e64 v16, null, s47, v16, vcc_lo
	v_cmp_le_u32_e32 vcc_lo, s46, v21
	s_wait_alu 0xf1ff
	v_subrev_co_ci_u32_e64 v16, null, 0, v16, s2
	s_wait_alu 0xfffd
	v_cndmask_b32_e64 v14, 0, -1, vcc_lo
	s_delay_alu instid0(VALU_DEP_2)
	v_cmp_le_u32_e32 vcc_lo, s47, v16
	s_wait_alu 0xfffd
	v_cndmask_b32_e64 v21, 0, -1, vcc_lo
	v_cmp_le_u32_e32 vcc_lo, s46, v5
	s_wait_alu 0xfffd
	v_cndmask_b32_e64 v5, 0, -1, vcc_lo
	;; [unrolled: 3-line block ×3, first 2 shown]
	v_cmp_eq_u32_e32 vcc_lo, s47, v16
	s_wait_alu 0xfffd
	v_cndmask_b32_e32 v14, v21, v14, vcc_lo
	v_add_co_u32 v16, vcc_lo, v10, 1
	s_wait_alu 0xfffd
	v_add_co_ci_u32_e64 v21, null, 0, v12, vcc_lo
	v_cmp_eq_u32_e32 vcc_lo, s47, v8
	s_wait_alu 0xfffd
	v_cndmask_b32_e32 v5, v22, v5, vcc_lo
	v_cmp_ne_u32_e32 vcc_lo, 0, v14
	s_delay_alu instid0(VALU_DEP_2) | instskip(SKIP_3) | instid1(VALU_DEP_1)
	v_cmp_ne_u32_e64 s2, 0, v5
	s_wait_alu 0xfffd
	v_dual_cndmask_b32 v8, v21, v20 :: v_dual_cndmask_b32 v5, v16, v18
	s_wait_alu 0xf1ff
	v_cndmask_b32_e64 v8, v12, v8, s2
	s_delay_alu instid0(VALU_DEP_2) | instskip(NEXT) | instid1(VALU_DEP_2)
	v_cndmask_b32_e64 v5, v10, v5, s2
	v_xor_b32_e32 v8, v8, v3
	s_delay_alu instid0(VALU_DEP_2) | instskip(NEXT) | instid1(VALU_DEP_1)
	v_xor_b32_e32 v5, v5, v3
	v_sub_co_u32 v21, vcc_lo, v5, v3
	s_wait_alu 0xfffd
	s_delay_alu instid0(VALU_DEP_3)
	v_sub_co_ci_u32_e64 v22, null, v8, v3, vcc_lo
.LBB24_48:                              ;   in Loop: Header=BB24_22 Depth=2
	s_wait_alu 0xfffe
	s_and_not1_saveexec_b32 s2, s27
	s_cbranch_execz .LBB24_50
; %bb.49:                               ;   in Loop: Header=BB24_22 Depth=2
	v_cvt_f32_u32_e32 v3, s42
	s_sub_co_i32 s18, 0, s42
	v_mov_b32_e32 v22, v2
	s_delay_alu instid0(VALU_DEP_2) | instskip(NEXT) | instid1(TRANS32_DEP_1)
	v_rcp_iflag_f32_e32 v3, v3
	v_mul_f32_e32 v3, 0x4f7ffffe, v3
	s_delay_alu instid0(VALU_DEP_1) | instskip(SKIP_1) | instid1(VALU_DEP_1)
	v_cvt_u32_f32_e32 v3, v3
	s_wait_alu 0xfffe
	v_mul_lo_u32 v5, s18, v3
	s_delay_alu instid0(VALU_DEP_1) | instskip(NEXT) | instid1(VALU_DEP_1)
	v_mul_hi_u32 v5, v3, v5
	v_add_nc_u32_e32 v3, v3, v5
	s_delay_alu instid0(VALU_DEP_1) | instskip(NEXT) | instid1(VALU_DEP_1)
	v_mul_hi_u32 v3, v19, v3
	v_mul_lo_u32 v5, v3, s42
	s_delay_alu instid0(VALU_DEP_1) | instskip(NEXT) | instid1(VALU_DEP_1)
	v_sub_nc_u32_e32 v5, v19, v5
	v_subrev_nc_u32_e32 v10, s42, v5
	v_cmp_le_u32_e32 vcc_lo, s42, v5
	s_wait_alu 0xfffd
	s_delay_alu instid0(VALU_DEP_2) | instskip(NEXT) | instid1(VALU_DEP_1)
	v_dual_cndmask_b32 v5, v5, v10 :: v_dual_add_nc_u32 v8, 1, v3
	v_cndmask_b32_e32 v3, v3, v8, vcc_lo
	s_delay_alu instid0(VALU_DEP_2) | instskip(NEXT) | instid1(VALU_DEP_2)
	v_cmp_le_u32_e32 vcc_lo, s42, v5
	v_add_nc_u32_e32 v8, 1, v3
	s_wait_alu 0xfffd
	s_delay_alu instid0(VALU_DEP_1)
	v_cndmask_b32_e32 v21, v3, v8, vcc_lo
.LBB24_50:                              ;   in Loop: Header=BB24_22 Depth=2
	s_wait_alu 0xfffe
	s_or_b32 exec_lo, exec_lo, s2
	s_mov_b32 s27, s19
	s_add_nc_u64 s[48:49], s[0:1], s[48:49]
	s_wait_alu 0xfffe
	s_lshl_b64 s[46:47], s[26:27], 2
                                        ; implicit-def: $vgpr23_vgpr24
	s_mov_b32 s2, exec_lo
	s_wait_alu 0xfffe
	s_add_nc_u64 s[44:45], s[10:11], s[46:47]
	s_clause 0x1
	s_load_b32 s27, s[48:49], 0x6c
	s_load_b32 s44, s[44:45], 0x8
	s_wait_kmcnt 0x0
	s_ashr_i32 s45, s44, 31
	s_wait_alu 0xfffe
	v_or_b32_e32 v3, s45, v22
	s_delay_alu instid0(VALU_DEP_1)
	v_cmpx_ne_u64_e32 0, v[2:3]
	s_xor_b32 s41, exec_lo, s2
	s_cbranch_execz .LBB24_52
; %bb.51:                               ;   in Loop: Header=BB24_22 Depth=2
	s_ashr_i32 s48, s45, 31
	v_ashrrev_i32_e32 v3, 31, v22
	s_wait_alu 0xfffe
	s_mov_b32 s49, s48
	s_wait_alu 0xfffe
	s_add_nc_u64 s[50:51], s[44:45], s[48:49]
	v_add_co_u32 v5, vcc_lo, v21, v3
	s_wait_alu 0xfffe
	s_xor_b64 s[50:51], s[50:51], s[48:49]
	s_wait_alu 0xfffd
	v_add_co_ci_u32_e64 v8, null, v22, v3, vcc_lo
	s_wait_alu 0xfffe
	s_cvt_f32_u32 s2, s50
	s_cvt_f32_u32 s18, s51
	s_sub_nc_u64 s[60:61], 0, s[50:51]
	v_xor_b32_e32 v5, v5, v3
	v_xor_b32_e32 v8, v8, v3
	s_wait_alu 0xfffe
	s_fmamk_f32 s2, s18, 0x4f800000, s2
	v_xor_b32_e32 v3, s48, v3
	s_wait_alu 0xfffe
	s_delay_alu instid0(SALU_CYCLE_1) | instskip(NEXT) | instid1(TRANS32_DEP_1)
	v_s_rcp_f32 s2, s2
	s_mul_f32 s2, s2, 0x5f7ffffc
	s_wait_alu 0xfffe
	s_delay_alu instid0(SALU_CYCLE_2) | instskip(SKIP_1) | instid1(SALU_CYCLE_2)
	s_mul_f32 s18, s2, 0x2f800000
	s_wait_alu 0xfffe
	s_trunc_f32 s18, s18
	s_wait_alu 0xfffe
	s_delay_alu instid0(SALU_CYCLE_2) | instskip(SKIP_2) | instid1(SALU_CYCLE_1)
	s_fmamk_f32 s2, s18, 0xcf800000, s2
	s_cvt_u32_f32 s59, s18
	s_wait_alu 0xfffe
	s_cvt_u32_f32 s58, s2
	s_delay_alu instid0(SALU_CYCLE_3) | instskip(NEXT) | instid1(SALU_CYCLE_1)
	s_mul_u64 s[62:63], s[60:61], s[58:59]
	s_mul_hi_u32 s65, s58, s63
	s_mul_i32 s64, s58, s63
	s_mul_hi_u32 s18, s58, s62
	s_mul_i32 s43, s59, s62
	s_wait_alu 0xfffe
	s_add_nc_u64 s[64:65], s[18:19], s[64:65]
	s_mul_hi_u32 s2, s59, s62
	s_mul_hi_u32 s45, s59, s63
	s_add_co_u32 s18, s64, s43
	s_wait_alu 0xfffe
	s_add_co_ci_u32 s18, s65, s2
	s_mul_i32 s62, s59, s63
	s_add_co_ci_u32 s63, s45, 0
	s_wait_alu 0xfffe
	s_add_nc_u64 s[62:63], s[18:19], s[62:63]
	s_delay_alu instid0(SALU_CYCLE_1) | instskip(SKIP_4) | instid1(SALU_CYCLE_1)
	s_add_co_u32 s58, s58, s62
	s_cselect_b32 s2, -1, 0
	s_wait_alu 0xfffe
	s_cmp_lg_u32 s2, 0
	s_add_co_ci_u32 s59, s59, s63
	s_mul_u64 s[60:61], s[60:61], s[58:59]
	s_delay_alu instid0(SALU_CYCLE_1)
	s_mul_hi_u32 s63, s58, s61
	s_mul_i32 s62, s58, s61
	s_mul_hi_u32 s18, s58, s60
	s_mul_i32 s43, s59, s60
	s_wait_alu 0xfffe
	s_add_nc_u64 s[62:63], s[18:19], s[62:63]
	s_mul_hi_u32 s2, s59, s60
	s_mul_hi_u32 s45, s59, s61
	s_add_co_u32 s18, s62, s43
	s_wait_alu 0xfffe
	s_add_co_ci_u32 s18, s63, s2
	s_mul_i32 s60, s59, s61
	s_add_co_ci_u32 s61, s45, 0
	s_wait_alu 0xfffe
	s_add_nc_u64 s[60:61], s[18:19], s[60:61]
	s_delay_alu instid0(SALU_CYCLE_1)
	s_add_co_u32 s2, s58, s60
	s_cselect_b32 s18, -1, 0
	s_wait_alu 0xfffe
	v_mul_hi_u32 v10, v5, s2
	s_cmp_lg_u32 s18, 0
	v_mad_co_u64_u32 v[29:30], null, v8, s2, 0
	s_add_co_ci_u32 s18, s59, s61
	s_wait_alu 0xfffe
	v_mad_co_u64_u32 v[22:23], null, v5, s18, 0
	v_mad_co_u64_u32 v[31:32], null, v8, s18, 0
	s_delay_alu instid0(VALU_DEP_2) | instskip(SKIP_1) | instid1(VALU_DEP_3)
	v_add_co_u32 v10, vcc_lo, v10, v22
	s_wait_alu 0xfffd
	v_add_co_ci_u32_e64 v12, null, 0, v23, vcc_lo
	s_delay_alu instid0(VALU_DEP_2) | instskip(SKIP_1) | instid1(VALU_DEP_2)
	v_add_co_u32 v10, vcc_lo, v10, v29
	s_wait_alu 0xfffd
	v_add_co_ci_u32_e32 v10, vcc_lo, v12, v30, vcc_lo
	s_wait_alu 0xfffd
	v_add_co_ci_u32_e32 v12, vcc_lo, 0, v32, vcc_lo
	s_delay_alu instid0(VALU_DEP_2) | instskip(SKIP_1) | instid1(VALU_DEP_2)
	v_add_co_u32 v10, vcc_lo, v10, v31
	s_wait_alu 0xfffd
	v_add_co_ci_u32_e64 v12, null, 0, v12, vcc_lo
	s_delay_alu instid0(VALU_DEP_2) | instskip(SKIP_1) | instid1(VALU_DEP_3)
	v_mul_lo_u32 v14, s51, v10
	v_mad_co_u64_u32 v[22:23], null, s50, v10, 0
	v_mul_lo_u32 v16, s50, v12
	v_add_co_u32 v18, s2, v10, 2
	s_wait_alu 0xf1ff
	v_add_co_ci_u32_e64 v20, null, 0, v12, s2
	s_delay_alu instid0(VALU_DEP_4) | instskip(NEXT) | instid1(VALU_DEP_4)
	v_sub_co_u32 v5, vcc_lo, v5, v22
	v_add3_u32 v14, v23, v16, v14
	s_delay_alu instid0(VALU_DEP_2) | instskip(NEXT) | instid1(VALU_DEP_2)
	v_sub_co_u32 v22, s2, v5, s50
	v_sub_nc_u32_e32 v16, v8, v14
	s_wait_alu 0xfffd
	v_sub_co_ci_u32_e64 v8, null, v8, v14, vcc_lo
	s_delay_alu instid0(VALU_DEP_2) | instskip(SKIP_2) | instid1(VALU_DEP_2)
	v_subrev_co_ci_u32_e64 v16, null, s51, v16, vcc_lo
	v_cmp_le_u32_e32 vcc_lo, s50, v22
	s_wait_alu 0xf1ff
	v_subrev_co_ci_u32_e64 v16, null, 0, v16, s2
	s_wait_alu 0xfffd
	v_cndmask_b32_e64 v14, 0, -1, vcc_lo
	s_delay_alu instid0(VALU_DEP_2)
	v_cmp_le_u32_e32 vcc_lo, s51, v16
	s_wait_alu 0xfffd
	v_cndmask_b32_e64 v22, 0, -1, vcc_lo
	v_cmp_le_u32_e32 vcc_lo, s50, v5
	s_wait_alu 0xfffd
	v_cndmask_b32_e64 v5, 0, -1, vcc_lo
	v_cmp_le_u32_e32 vcc_lo, s51, v8
	s_wait_alu 0xfffd
	v_cndmask_b32_e64 v23, 0, -1, vcc_lo
	v_cmp_eq_u32_e32 vcc_lo, s51, v16
	s_wait_alu 0xfffd
	v_cndmask_b32_e32 v14, v22, v14, vcc_lo
	v_add_co_u32 v16, vcc_lo, v10, 1
	s_wait_alu 0xfffd
	v_add_co_ci_u32_e64 v22, null, 0, v12, vcc_lo
	v_cmp_eq_u32_e32 vcc_lo, s51, v8
	s_wait_alu 0xfffd
	v_cndmask_b32_e32 v5, v23, v5, vcc_lo
	v_cmp_ne_u32_e32 vcc_lo, 0, v14
	s_delay_alu instid0(VALU_DEP_2) | instskip(SKIP_3) | instid1(VALU_DEP_1)
	v_cmp_ne_u32_e64 s2, 0, v5
	s_wait_alu 0xfffd
	v_dual_cndmask_b32 v8, v22, v20 :: v_dual_cndmask_b32 v5, v16, v18
	s_wait_alu 0xf1ff
	v_cndmask_b32_e64 v8, v12, v8, s2
	s_delay_alu instid0(VALU_DEP_2) | instskip(NEXT) | instid1(VALU_DEP_2)
	v_cndmask_b32_e64 v5, v10, v5, s2
	v_xor_b32_e32 v8, v8, v3
	s_delay_alu instid0(VALU_DEP_2) | instskip(NEXT) | instid1(VALU_DEP_1)
	v_xor_b32_e32 v5, v5, v3
	v_sub_co_u32 v23, vcc_lo, v5, v3
	s_wait_alu 0xfffd
	s_delay_alu instid0(VALU_DEP_3)
	v_sub_co_ci_u32_e64 v24, null, v8, v3, vcc_lo
.LBB24_52:                              ;   in Loop: Header=BB24_22 Depth=2
	s_wait_alu 0xfffe
	s_and_not1_saveexec_b32 s2, s41
	s_cbranch_execz .LBB24_54
; %bb.53:                               ;   in Loop: Header=BB24_22 Depth=2
	v_cvt_f32_u32_e32 v3, s44
	s_sub_co_i32 s18, 0, s44
	v_mov_b32_e32 v24, v2
	s_delay_alu instid0(VALU_DEP_2) | instskip(NEXT) | instid1(TRANS32_DEP_1)
	v_rcp_iflag_f32_e32 v3, v3
	v_mul_f32_e32 v3, 0x4f7ffffe, v3
	s_delay_alu instid0(VALU_DEP_1) | instskip(SKIP_1) | instid1(VALU_DEP_1)
	v_cvt_u32_f32_e32 v3, v3
	s_wait_alu 0xfffe
	v_mul_lo_u32 v5, s18, v3
	s_delay_alu instid0(VALU_DEP_1) | instskip(NEXT) | instid1(VALU_DEP_1)
	v_mul_hi_u32 v5, v3, v5
	v_add_nc_u32_e32 v3, v3, v5
	s_delay_alu instid0(VALU_DEP_1) | instskip(NEXT) | instid1(VALU_DEP_1)
	v_mul_hi_u32 v3, v21, v3
	v_mul_lo_u32 v5, v3, s44
	s_delay_alu instid0(VALU_DEP_1) | instskip(NEXT) | instid1(VALU_DEP_1)
	v_sub_nc_u32_e32 v5, v21, v5
	v_subrev_nc_u32_e32 v10, s44, v5
	v_cmp_le_u32_e32 vcc_lo, s44, v5
	s_wait_alu 0xfffd
	s_delay_alu instid0(VALU_DEP_2) | instskip(NEXT) | instid1(VALU_DEP_1)
	v_dual_cndmask_b32 v5, v5, v10 :: v_dual_add_nc_u32 v8, 1, v3
	v_cndmask_b32_e32 v3, v3, v8, vcc_lo
	s_delay_alu instid0(VALU_DEP_2) | instskip(NEXT) | instid1(VALU_DEP_2)
	v_cmp_le_u32_e32 vcc_lo, s44, v5
	v_add_nc_u32_e32 v8, 1, v3
	s_wait_alu 0xfffd
	s_delay_alu instid0(VALU_DEP_1)
	v_cndmask_b32_e32 v23, v3, v8, vcc_lo
.LBB24_54:                              ;   in Loop: Header=BB24_22 Depth=2
	s_wait_alu 0xfffe
	s_or_b32 exec_lo, exec_lo, s2
	v_mul_lo_u32 v3, v9, s28
	v_mul_lo_u32 v5, v11, s30
	;; [unrolled: 1-line block ×5, first 2 shown]
	s_add_nc_u64 s[40:41], s[0:1], s[46:47]
	v_mul_lo_u32 v12, v17, s38
	s_load_b32 s2, s[40:41], 0x6c
	v_sub_nc_u32_e32 v3, v7, v3
	v_sub_nc_u32_e32 v5, v9, v5
	;; [unrolled: 1-line block ×4, first 2 shown]
	v_mul_lo_u32 v9, v21, s42
	v_mul_lo_u32 v3, s25, v3
	;; [unrolled: 1-line block ×4, first 2 shown]
	v_sub_nc_u32_e32 v11, v15, v12
	v_sub_nc_u32_e32 v12, v17, v14
	v_mul_lo_u32 v7, s31, v7
	v_mul_lo_u32 v8, s35, v8
	s_add_co_i32 s26, s26, -8
	v_mul_lo_u32 v11, s37, v11
	v_add3_u32 v3, v3, v4, v5
	v_sub_nc_u32_e32 v4, v19, v9
	v_sub_nc_u32_e32 v5, v21, v10
	v_mul_lo_u32 v9, s39, v12
	s_wait_alu 0xfffe
	s_cmp_eq_u32 s26, -8
	v_add3_u32 v3, v7, v3, v8
	v_mul_lo_u32 v4, s27, v4
	s_wait_kmcnt 0x0
	v_mul_lo_u32 v5, s2, v5
	s_delay_alu instid0(VALU_DEP_3) | instskip(NEXT) | instid1(VALU_DEP_1)
	v_add3_u32 v3, v11, v3, v9
	v_add3_u32 v4, v4, v3, v5
	s_cbranch_scc1 .LBB24_56
; %bb.55:                               ;   in Loop: Header=BB24_22 Depth=2
	v_dual_mov_b32 v7, v23 :: v_dual_mov_b32 v8, v24
	s_branch .LBB24_22
.LBB24_56:                              ;   in Loop: Header=BB24_3 Depth=1
	s_load_b32 s2, s[12:13], 0x4
	s_wait_kmcnt 0x0
	v_cmp_gt_i32_e32 vcc_lo, s2, v28
	s_and_b32 exec_lo, exec_lo, vcc_lo
	s_cbranch_execz .LBB24_2
; %bb.57:                               ;   in Loop: Header=BB24_3 Depth=1
	v_ashrrev_i32_e32 v7, 31, v6
	s_mov_b32 s18, exec_lo
	s_delay_alu instid0(VALU_DEP_1)
	v_cmpx_lt_i64_e64 s[4:5], v[6:7]
	s_cbranch_execz .LBB24_59
; %bb.58:                               ;   in Loop: Header=BB24_3 Depth=1
	v_ashrrev_i32_e32 v5, 31, v4
	s_delay_alu instid0(VALU_DEP_1) | instskip(NEXT) | instid1(VALU_DEP_1)
	v_lshlrev_b64_e32 v[5:6], 2, v[4:5]
	v_add_co_u32 v5, vcc_lo, s16, v5
	s_wait_alu 0xfffd
	s_delay_alu instid0(VALU_DEP_2)
	v_add_co_ci_u32_e64 v6, null, s17, v6, vcc_lo
	global_store_b32 v[5:6], v2, off
.LBB24_59:                              ;   in Loop: Header=BB24_3 Depth=1
	s_wait_alu 0xfffe
	s_or_b32 exec_lo, exec_lo, s18
	v_add_nc_u32_e32 v3, 1, v28
	s_delay_alu instid0(VALU_DEP_1)
	v_cmp_gt_i32_e32 vcc_lo, s2, v3
	s_and_b32 exec_lo, exec_lo, vcc_lo
	s_cbranch_execz .LBB24_2
; %bb.60:                               ;   in Loop: Header=BB24_3 Depth=1
	v_sub_nc_u32_e32 v5, v3, v27
	s_delay_alu instid0(VALU_DEP_1) | instskip(NEXT) | instid1(VALU_DEP_1)
	v_ashrrev_i32_e32 v6, 31, v5
	v_cmp_lt_i64_e32 vcc_lo, s[4:5], v[5:6]
	s_and_b32 exec_lo, exec_lo, vcc_lo
	s_cbranch_execz .LBB24_2
; %bb.61:                               ;   in Loop: Header=BB24_3 Depth=1
	v_add_nc_u32_e32 v3, s3, v4
	s_delay_alu instid0(VALU_DEP_1) | instskip(NEXT) | instid1(VALU_DEP_1)
	v_ashrrev_i32_e32 v4, 31, v3
	v_lshlrev_b64_e32 v[3:4], 2, v[3:4]
	s_delay_alu instid0(VALU_DEP_1) | instskip(SKIP_1) | instid1(VALU_DEP_2)
	v_add_co_u32 v3, vcc_lo, s16, v3
	s_wait_alu 0xfffd
	v_add_co_ci_u32_e64 v4, null, s17, v4, vcc_lo
	global_store_b32 v[3:4], v2, off
	s_branch .LBB24_2
.LBB24_62:
	s_endpgm
	.section	.rodata,"a",@progbits
	.p2align	6, 0x0
	.amdhsa_kernel _ZN2at6native16triu_tril_kernelIfiLb0ELi2ELb1EEEvNS_4cuda6detail10TensorInfoIT_T0_EENS4_IKS5_S6_EEllS6_
		.amdhsa_group_segment_fixed_size 0
		.amdhsa_private_segment_fixed_size 0
		.amdhsa_kernarg_size 712
		.amdhsa_user_sgpr_count 2
		.amdhsa_user_sgpr_dispatch_ptr 0
		.amdhsa_user_sgpr_queue_ptr 0
		.amdhsa_user_sgpr_kernarg_segment_ptr 1
		.amdhsa_user_sgpr_dispatch_id 0
		.amdhsa_user_sgpr_private_segment_size 0
		.amdhsa_wavefront_size32 1
		.amdhsa_uses_dynamic_stack 0
		.amdhsa_enable_private_segment 0
		.amdhsa_system_sgpr_workgroup_id_x 1
		.amdhsa_system_sgpr_workgroup_id_y 0
		.amdhsa_system_sgpr_workgroup_id_z 0
		.amdhsa_system_sgpr_workgroup_info 0
		.amdhsa_system_vgpr_workitem_id 0
		.amdhsa_next_free_vgpr 33
		.amdhsa_next_free_sgpr 66
		.amdhsa_reserve_vcc 1
		.amdhsa_float_round_mode_32 0
		.amdhsa_float_round_mode_16_64 0
		.amdhsa_float_denorm_mode_32 3
		.amdhsa_float_denorm_mode_16_64 3
		.amdhsa_fp16_overflow 0
		.amdhsa_workgroup_processor_mode 1
		.amdhsa_memory_ordered 1
		.amdhsa_forward_progress 1
		.amdhsa_inst_pref_size 96
		.amdhsa_round_robin_scheduling 0
		.amdhsa_exception_fp_ieee_invalid_op 0
		.amdhsa_exception_fp_denorm_src 0
		.amdhsa_exception_fp_ieee_div_zero 0
		.amdhsa_exception_fp_ieee_overflow 0
		.amdhsa_exception_fp_ieee_underflow 0
		.amdhsa_exception_fp_ieee_inexact 0
		.amdhsa_exception_int_div_zero 0
	.end_amdhsa_kernel
	.section	.text._ZN2at6native16triu_tril_kernelIfiLb0ELi2ELb1EEEvNS_4cuda6detail10TensorInfoIT_T0_EENS4_IKS5_S6_EEllS6_,"axG",@progbits,_ZN2at6native16triu_tril_kernelIfiLb0ELi2ELb1EEEvNS_4cuda6detail10TensorInfoIT_T0_EENS4_IKS5_S6_EEllS6_,comdat
.Lfunc_end24:
	.size	_ZN2at6native16triu_tril_kernelIfiLb0ELi2ELb1EEEvNS_4cuda6detail10TensorInfoIT_T0_EENS4_IKS5_S6_EEllS6_, .Lfunc_end24-_ZN2at6native16triu_tril_kernelIfiLb0ELi2ELb1EEEvNS_4cuda6detail10TensorInfoIT_T0_EENS4_IKS5_S6_EEllS6_
                                        ; -- End function
	.set _ZN2at6native16triu_tril_kernelIfiLb0ELi2ELb1EEEvNS_4cuda6detail10TensorInfoIT_T0_EENS4_IKS5_S6_EEllS6_.num_vgpr, 33
	.set _ZN2at6native16triu_tril_kernelIfiLb0ELi2ELb1EEEvNS_4cuda6detail10TensorInfoIT_T0_EENS4_IKS5_S6_EEllS6_.num_agpr, 0
	.set _ZN2at6native16triu_tril_kernelIfiLb0ELi2ELb1EEEvNS_4cuda6detail10TensorInfoIT_T0_EENS4_IKS5_S6_EEllS6_.numbered_sgpr, 66
	.set _ZN2at6native16triu_tril_kernelIfiLb0ELi2ELb1EEEvNS_4cuda6detail10TensorInfoIT_T0_EENS4_IKS5_S6_EEllS6_.num_named_barrier, 0
	.set _ZN2at6native16triu_tril_kernelIfiLb0ELi2ELb1EEEvNS_4cuda6detail10TensorInfoIT_T0_EENS4_IKS5_S6_EEllS6_.private_seg_size, 0
	.set _ZN2at6native16triu_tril_kernelIfiLb0ELi2ELb1EEEvNS_4cuda6detail10TensorInfoIT_T0_EENS4_IKS5_S6_EEllS6_.uses_vcc, 1
	.set _ZN2at6native16triu_tril_kernelIfiLb0ELi2ELb1EEEvNS_4cuda6detail10TensorInfoIT_T0_EENS4_IKS5_S6_EEllS6_.uses_flat_scratch, 0
	.set _ZN2at6native16triu_tril_kernelIfiLb0ELi2ELb1EEEvNS_4cuda6detail10TensorInfoIT_T0_EENS4_IKS5_S6_EEllS6_.has_dyn_sized_stack, 0
	.set _ZN2at6native16triu_tril_kernelIfiLb0ELi2ELb1EEEvNS_4cuda6detail10TensorInfoIT_T0_EENS4_IKS5_S6_EEllS6_.has_recursion, 0
	.set _ZN2at6native16triu_tril_kernelIfiLb0ELi2ELb1EEEvNS_4cuda6detail10TensorInfoIT_T0_EENS4_IKS5_S6_EEllS6_.has_indirect_call, 0
	.section	.AMDGPU.csdata,"",@progbits
; Kernel info:
; codeLenInByte = 12228
; TotalNumSgprs: 68
; NumVgprs: 33
; ScratchSize: 0
; MemoryBound: 0
; FloatMode: 240
; IeeeMode: 1
; LDSByteSize: 0 bytes/workgroup (compile time only)
; SGPRBlocks: 0
; VGPRBlocks: 4
; NumSGPRsForWavesPerEU: 68
; NumVGPRsForWavesPerEU: 33
; Occupancy: 16
; WaveLimiterHint : 0
; COMPUTE_PGM_RSRC2:SCRATCH_EN: 0
; COMPUTE_PGM_RSRC2:USER_SGPR: 2
; COMPUTE_PGM_RSRC2:TRAP_HANDLER: 0
; COMPUTE_PGM_RSRC2:TGID_X_EN: 1
; COMPUTE_PGM_RSRC2:TGID_Y_EN: 0
; COMPUTE_PGM_RSRC2:TGID_Z_EN: 0
; COMPUTE_PGM_RSRC2:TIDIG_COMP_CNT: 0
	.section	.text._ZN2at6native16triu_tril_kernelIfiLb0ELi2ELb0EEEvNS_4cuda6detail10TensorInfoIT_T0_EENS4_IKS5_S6_EEllS6_,"axG",@progbits,_ZN2at6native16triu_tril_kernelIfiLb0ELi2ELb0EEEvNS_4cuda6detail10TensorInfoIT_T0_EENS4_IKS5_S6_EEllS6_,comdat
	.protected	_ZN2at6native16triu_tril_kernelIfiLb0ELi2ELb0EEEvNS_4cuda6detail10TensorInfoIT_T0_EENS4_IKS5_S6_EEllS6_ ; -- Begin function _ZN2at6native16triu_tril_kernelIfiLb0ELi2ELb0EEEvNS_4cuda6detail10TensorInfoIT_T0_EENS4_IKS5_S6_EEllS6_
	.globl	_ZN2at6native16triu_tril_kernelIfiLb0ELi2ELb0EEEvNS_4cuda6detail10TensorInfoIT_T0_EENS4_IKS5_S6_EEllS6_
	.p2align	8
	.type	_ZN2at6native16triu_tril_kernelIfiLb0ELi2ELb0EEEvNS_4cuda6detail10TensorInfoIT_T0_EENS4_IKS5_S6_EEllS6_,@function
_ZN2at6native16triu_tril_kernelIfiLb0ELi2ELb0EEEvNS_4cuda6detail10TensorInfoIT_T0_EENS4_IKS5_S6_EEllS6_: ; @_ZN2at6native16triu_tril_kernelIfiLb0ELi2ELb0EEEvNS_4cuda6detail10TensorInfoIT_T0_EENS4_IKS5_S6_EEllS6_
; %bb.0:
	s_clause 0x1
	s_load_b32 s2, s[0:1], 0x1d4
	s_load_b128 s[4:7], s[0:1], 0x1b0
	v_mov_b32_e32 v2, 0
	s_delay_alu instid0(VALU_DEP_1) | instskip(SKIP_3) | instid1(VALU_DEP_1)
	v_mov_b32_e32 v1, v2
	s_wait_kmcnt 0x0
	s_and_b32 s21, s2, 0xffff
	s_mov_b32 s2, exec_lo
	v_mad_co_u64_u32 v[0:1], null, s21, ttmp9, v[0:1]
	s_delay_alu instid0(VALU_DEP_1) | instskip(NEXT) | instid1(VALU_DEP_1)
	v_lshlrev_b64_e32 v[0:1], 1, v[0:1]
	v_cmpx_gt_i64_e64 s[6:7], v[0:1]
	s_cbranch_execz .LBB25_47
; %bb.1:
	s_clause 0x2
	s_load_b32 s24, s[0:1], 0x1a8
	s_load_b32 s8, s[0:1], 0x1c0
	s_load_b64 s[10:11], s[0:1], 0xd8
	s_add_nc_u64 s[12:13], s[0:1], 0xd8
	s_add_nc_u64 s[14:15], s[0:1], 0x1c8
	s_load_b32 s26, s[14:15], 0x0
	s_load_b64 s[14:15], s[0:1], 0x0
	s_wait_kmcnt 0x0
	s_ashr_i32 s25, s24, 31
	v_cvt_f32_u32_e32 v3, s8
	s_lshl_b64 s[16:17], s[24:25], 2
	s_and_b32 s48, s24, 3
	s_add_nc_u64 s[18:19], s[12:13], s[16:17]
	s_add_nc_u64 s[22:23], s[0:1], s[16:17]
	s_load_b64 s[2:3], s[18:19], 0x0
	v_rcp_iflag_f32_e32 v3, v3
	s_clause 0x1
	s_load_b64 s[16:17], s[18:19], 0x64
	s_load_b64 s[18:19], s[22:23], 0x64
	s_mul_i32 s26, s26, s21
	s_ashr_i32 s9, s8, 31
	s_add_co_i32 s33, s24, -3
	s_lshl_b32 s50, s26, 1
	v_cmp_gt_i64_e64 s49, s[24:25], 2
	s_mov_b32 s23, 0
	v_mul_f32_e32 v3, 0x4f7ffffe, v3
	s_delay_alu instid0(VALU_DEP_1)
	v_cvt_u32_f32_e32 v18, v3
	s_wait_kmcnt 0x0
	s_mov_b32 s20, s2
	s_ashr_i32 s21, s2, 31
	s_wait_alu 0xfffe
	v_cvt_f32_u32_e32 v4, s20
	s_cmp_lg_u32 s48, 2
	s_mov_b32 s24, s17
	s_cselect_b32 s51, -1, 0
	s_cmp_gt_u32 s33, 2
	v_rcp_iflag_f32_e32 v4, v4
	s_cselect_b32 s52, -1, 0
	s_ashr_i32 s25, s17, 31
	s_ashr_i32 s27, s19, 31
	s_mov_b32 s26, s19
	s_ashr_i32 s28, s9, 31
	s_mov_b32 s17, 0
	s_delay_alu instid0(TRANS32_DEP_1) | instskip(NEXT) | instid1(VALU_DEP_1)
	v_mul_f32_e32 v3, 0x4f7ffffe, v4
	v_cvt_u32_f32_e32 v19, v3
	s_branch .LBB25_3
.LBB25_2:                               ;   in Loop: Header=BB25_3 Depth=1
	s_wait_alu 0xfffe
	s_or_b32 exec_lo, exec_lo, s2
	v_add_co_u32 v0, vcc_lo, v0, s50
	s_wait_alu 0xfffd
	v_add_co_ci_u32_e64 v1, null, 0, v1, vcc_lo
	s_delay_alu instid0(VALU_DEP_1)
	v_cmp_le_i64_e32 vcc_lo, s[6:7], v[0:1]
	s_or_b32 s17, vcc_lo, s17
	s_wait_alu 0xfffe
	s_and_not1_b32 exec_lo, exec_lo, s17
	s_cbranch_execz .LBB25_47
.LBB25_3:                               ; =>This Loop Header: Depth=1
                                        ;     Child Loop BB25_15 Depth 2
                                        ;     Child Loop BB25_20 Depth 2
	v_or_b32_e32 v3, s9, v1
                                        ; implicit-def: $vgpr4_vgpr5
	s_mov_b32 s2, exec_lo
	s_delay_alu instid0(VALU_DEP_1)
	v_cmpx_ne_u64_e32 0, v[2:3]
	s_wait_alu 0xfffe
	s_xor_b32 s19, exec_lo, s2
	s_cbranch_execz .LBB25_5
; %bb.4:                                ;   in Loop: Header=BB25_3 Depth=1
	s_mov_b32 s29, s28
	v_ashrrev_i32_e32 v9, 31, v1
	s_wait_alu 0xfffe
	s_add_nc_u64 s[30:31], s[8:9], s[28:29]
	s_wait_alu 0xfffe
	s_xor_b64 s[30:31], s[30:31], s[28:29]
	v_add_co_u32 v3, vcc_lo, v0, v9
	s_wait_alu 0xfffe
	s_cvt_f32_u32 s2, s30
	s_cvt_f32_u32 s22, s31
	s_sub_nc_u64 s[36:37], 0, s[30:31]
	s_wait_alu 0xfffd
	v_add_co_ci_u32_e64 v4, null, v1, v9, vcc_lo
	s_wait_alu 0xfffe
	s_fmamk_f32 s2, s22, 0x4f800000, s2
	v_xor_b32_e32 v10, v3, v9
	s_delay_alu instid0(VALU_DEP_2) | instskip(SKIP_2) | instid1(TRANS32_DEP_1)
	v_xor_b32_e32 v11, v4, v9
	s_wait_alu 0xfffe
	v_s_rcp_f32 s2, s2
	s_mul_f32 s2, s2, 0x5f7ffffc
	s_wait_alu 0xfffe
	s_delay_alu instid0(SALU_CYCLE_2) | instskip(SKIP_1) | instid1(SALU_CYCLE_2)
	s_mul_f32 s22, s2, 0x2f800000
	s_wait_alu 0xfffe
	s_trunc_f32 s22, s22
	s_wait_alu 0xfffe
	s_delay_alu instid0(SALU_CYCLE_2) | instskip(SKIP_2) | instid1(SALU_CYCLE_1)
	s_fmamk_f32 s2, s22, 0xcf800000, s2
	s_cvt_u32_f32 s35, s22
	s_wait_alu 0xfffe
	s_cvt_u32_f32 s34, s2
	s_wait_alu 0xfffe
	s_delay_alu instid0(SALU_CYCLE_2)
	s_mul_u64 s[38:39], s[36:37], s[34:35]
	s_wait_alu 0xfffe
	s_mul_hi_u32 s41, s34, s39
	s_mul_i32 s40, s34, s39
	s_mul_hi_u32 s22, s34, s38
	s_mul_i32 s29, s35, s38
	s_wait_alu 0xfffe
	s_add_nc_u64 s[40:41], s[22:23], s[40:41]
	s_mul_hi_u32 s2, s35, s38
	s_mul_hi_u32 s42, s35, s39
	s_wait_alu 0xfffe
	s_add_co_u32 s22, s40, s29
	s_add_co_ci_u32 s22, s41, s2
	s_mul_i32 s38, s35, s39
	s_add_co_ci_u32 s39, s42, 0
	s_wait_alu 0xfffe
	s_add_nc_u64 s[38:39], s[22:23], s[38:39]
	s_wait_alu 0xfffe
	s_add_co_u32 s34, s34, s38
	s_cselect_b32 s2, -1, 0
	s_wait_alu 0xfffe
	s_cmp_lg_u32 s2, 0
	s_add_co_ci_u32 s35, s35, s39
	s_wait_alu 0xfffe
	s_mul_u64 s[36:37], s[36:37], s[34:35]
	s_wait_alu 0xfffe
	s_mul_hi_u32 s39, s34, s37
	s_mul_i32 s38, s34, s37
	s_mul_hi_u32 s22, s34, s36
	s_mul_i32 s29, s35, s36
	s_wait_alu 0xfffe
	s_add_nc_u64 s[38:39], s[22:23], s[38:39]
	s_mul_hi_u32 s2, s35, s36
	s_mul_hi_u32 s40, s35, s37
	s_wait_alu 0xfffe
	s_add_co_u32 s22, s38, s29
	s_add_co_ci_u32 s22, s39, s2
	s_mul_i32 s36, s35, s37
	s_add_co_ci_u32 s37, s40, 0
	s_wait_alu 0xfffe
	s_add_nc_u64 s[36:37], s[22:23], s[36:37]
	s_wait_alu 0xfffe
	s_add_co_u32 s2, s34, s36
	s_cselect_b32 s22, -1, 0
	s_wait_alu 0xfffe
	v_mul_hi_u32 v12, v10, s2
	s_cmp_lg_u32 s22, 0
	v_mad_co_u64_u32 v[5:6], null, v11, s2, 0
	s_add_co_ci_u32 s22, s35, s37
	s_wait_alu 0xfffe
	v_mad_co_u64_u32 v[3:4], null, v10, s22, 0
	v_mad_co_u64_u32 v[7:8], null, v11, s22, 0
	s_delay_alu instid0(VALU_DEP_2) | instskip(SKIP_1) | instid1(VALU_DEP_3)
	v_add_co_u32 v3, vcc_lo, v12, v3
	s_wait_alu 0xfffd
	v_add_co_ci_u32_e64 v4, null, 0, v4, vcc_lo
	s_delay_alu instid0(VALU_DEP_2) | instskip(SKIP_1) | instid1(VALU_DEP_2)
	v_add_co_u32 v3, vcc_lo, v3, v5
	s_wait_alu 0xfffd
	v_add_co_ci_u32_e32 v3, vcc_lo, v4, v6, vcc_lo
	s_wait_alu 0xfffd
	v_add_co_ci_u32_e32 v4, vcc_lo, 0, v8, vcc_lo
	s_delay_alu instid0(VALU_DEP_2) | instskip(SKIP_1) | instid1(VALU_DEP_2)
	v_add_co_u32 v5, vcc_lo, v3, v7
	s_wait_alu 0xfffd
	v_add_co_ci_u32_e64 v6, null, 0, v4, vcc_lo
	s_delay_alu instid0(VALU_DEP_2) | instskip(SKIP_1) | instid1(VALU_DEP_3)
	v_mul_lo_u32 v7, s31, v5
	v_mad_co_u64_u32 v[3:4], null, s30, v5, 0
	v_mul_lo_u32 v8, s30, v6
	s_delay_alu instid0(VALU_DEP_2) | instskip(NEXT) | instid1(VALU_DEP_2)
	v_sub_co_u32 v3, vcc_lo, v10, v3
	v_add3_u32 v4, v4, v8, v7
	v_add_co_u32 v8, s2, v5, 2
	s_wait_alu 0xf1ff
	v_add_co_ci_u32_e64 v10, null, 0, v6, s2
	s_delay_alu instid0(VALU_DEP_3) | instskip(SKIP_3) | instid1(VALU_DEP_3)
	v_sub_nc_u32_e32 v7, v11, v4
	v_sub_co_u32 v12, s2, v3, s30
	s_wait_alu 0xfffd
	v_sub_co_ci_u32_e64 v4, null, v11, v4, vcc_lo
	v_subrev_co_ci_u32_e64 v7, null, s31, v7, vcc_lo
	s_delay_alu instid0(VALU_DEP_3) | instskip(SKIP_1) | instid1(VALU_DEP_2)
	v_cmp_le_u32_e32 vcc_lo, s30, v12
	s_wait_alu 0xf1ff
	v_subrev_co_ci_u32_e64 v7, null, 0, v7, s2
	s_wait_alu 0xfffd
	v_cndmask_b32_e64 v11, 0, -1, vcc_lo
	s_delay_alu instid0(VALU_DEP_2)
	v_cmp_le_u32_e32 vcc_lo, s31, v7
	s_wait_alu 0xfffd
	v_cndmask_b32_e64 v12, 0, -1, vcc_lo
	v_cmp_le_u32_e32 vcc_lo, s30, v3
	s_wait_alu 0xfffd
	v_cndmask_b32_e64 v3, 0, -1, vcc_lo
	;; [unrolled: 3-line block ×3, first 2 shown]
	v_cmp_eq_u32_e32 vcc_lo, s31, v7
	s_wait_alu 0xfffd
	v_cndmask_b32_e32 v7, v12, v11, vcc_lo
	v_add_co_u32 v11, vcc_lo, v5, 1
	s_wait_alu 0xfffd
	v_add_co_ci_u32_e64 v12, null, 0, v6, vcc_lo
	v_cmp_eq_u32_e32 vcc_lo, s31, v4
	s_wait_alu 0xfffd
	v_cndmask_b32_e32 v3, v13, v3, vcc_lo
	v_cmp_ne_u32_e32 vcc_lo, 0, v7
	v_xor_b32_e32 v7, s28, v9
	s_wait_alu 0xfffd
	v_cndmask_b32_e32 v4, v12, v10, vcc_lo
	v_cmp_ne_u32_e64 s2, 0, v3
	v_cndmask_b32_e32 v3, v11, v8, vcc_lo
	s_wait_alu 0xf1ff
	s_delay_alu instid0(VALU_DEP_2) | instskip(NEXT) | instid1(VALU_DEP_2)
	v_cndmask_b32_e64 v4, v6, v4, s2
	v_cndmask_b32_e64 v3, v5, v3, s2
	s_delay_alu instid0(VALU_DEP_2) | instskip(NEXT) | instid1(VALU_DEP_2)
	v_xor_b32_e32 v5, v4, v7
	v_xor_b32_e32 v3, v3, v7
	s_delay_alu instid0(VALU_DEP_1) | instskip(SKIP_1) | instid1(VALU_DEP_3)
	v_sub_co_u32 v4, vcc_lo, v3, v7
	s_wait_alu 0xfffd
	v_sub_co_ci_u32_e64 v5, null, v5, v7, vcc_lo
.LBB25_5:                               ;   in Loop: Header=BB25_3 Depth=1
	s_wait_alu 0xfffe
	s_and_not1_saveexec_b32 s2, s19
	s_cbranch_execz .LBB25_7
; %bb.6:                                ;   in Loop: Header=BB25_3 Depth=1
	s_sub_co_i32 s19, 0, s8
	s_wait_alu 0xfffe
	v_mul_lo_u32 v3, s19, v18
	s_delay_alu instid0(VALU_DEP_1) | instskip(NEXT) | instid1(VALU_DEP_1)
	v_mul_hi_u32 v3, v18, v3
	v_add_nc_u32_e32 v3, v18, v3
	s_delay_alu instid0(VALU_DEP_1) | instskip(NEXT) | instid1(VALU_DEP_1)
	v_mul_hi_u32 v3, v0, v3
	v_mul_lo_u32 v4, v3, s8
	v_add_nc_u32_e32 v5, 1, v3
	s_delay_alu instid0(VALU_DEP_2) | instskip(NEXT) | instid1(VALU_DEP_1)
	v_sub_nc_u32_e32 v4, v0, v4
	v_subrev_nc_u32_e32 v6, s8, v4
	v_cmp_le_u32_e32 vcc_lo, s8, v4
	s_wait_alu 0xfffd
	s_delay_alu instid0(VALU_DEP_2) | instskip(NEXT) | instid1(VALU_DEP_1)
	v_dual_cndmask_b32 v4, v4, v6 :: v_dual_cndmask_b32 v3, v3, v5
	v_cmp_le_u32_e32 vcc_lo, s8, v4
	s_delay_alu instid0(VALU_DEP_2) | instskip(SKIP_1) | instid1(VALU_DEP_1)
	v_add_nc_u32_e32 v5, 1, v3
	s_wait_alu 0xfffd
	v_dual_cndmask_b32 v4, v3, v5 :: v_dual_mov_b32 v5, v2
.LBB25_7:                               ;   in Loop: Header=BB25_3 Depth=1
	s_wait_alu 0xfffe
	s_or_b32 exec_lo, exec_lo, s2
	s_delay_alu instid0(VALU_DEP_1) | instskip(SKIP_1) | instid1(VALU_DEP_1)
	v_or_b32_e32 v3, s21, v5
                                        ; implicit-def: $vgpr8_vgpr9
	s_mov_b32 s2, exec_lo
	v_cmpx_ne_u64_e32 0, v[2:3]
	s_wait_alu 0xfffe
	s_xor_b32 s19, exec_lo, s2
	s_cbranch_execz .LBB25_9
; %bb.8:                                ;   in Loop: Header=BB25_3 Depth=1
	s_ashr_i32 s30, s21, 31
	v_ashrrev_i32_e32 v3, 31, v5
	s_wait_alu 0xfffe
	s_mov_b32 s31, s30
	s_wait_alu 0xfffe
	s_add_nc_u64 s[34:35], s[20:21], s[30:31]
	v_add_co_u32 v6, vcc_lo, v4, v3
	s_wait_alu 0xfffe
	s_xor_b64 s[34:35], s[34:35], s[30:31]
	s_wait_alu 0xfffd
	v_add_co_ci_u32_e64 v5, null, v5, v3, vcc_lo
	s_wait_alu 0xfffe
	s_cvt_f32_u32 s2, s34
	s_cvt_f32_u32 s22, s35
	s_sub_nc_u64 s[38:39], 0, s[34:35]
	v_xor_b32_e32 v11, v6, v3
	v_xor_b32_e32 v12, v5, v3
	s_wait_alu 0xfffe
	s_fmamk_f32 s2, s22, 0x4f800000, s2
	v_xor_b32_e32 v3, s30, v3
	s_wait_alu 0xfffe
	s_delay_alu instid0(SALU_CYCLE_1) | instskip(NEXT) | instid1(TRANS32_DEP_1)
	v_s_rcp_f32 s2, s2
	s_mul_f32 s2, s2, 0x5f7ffffc
	s_wait_alu 0xfffe
	s_delay_alu instid0(SALU_CYCLE_2) | instskip(SKIP_1) | instid1(SALU_CYCLE_2)
	s_mul_f32 s22, s2, 0x2f800000
	s_wait_alu 0xfffe
	s_trunc_f32 s22, s22
	s_wait_alu 0xfffe
	s_delay_alu instid0(SALU_CYCLE_2) | instskip(SKIP_2) | instid1(SALU_CYCLE_1)
	s_fmamk_f32 s2, s22, 0xcf800000, s2
	s_cvt_u32_f32 s37, s22
	s_wait_alu 0xfffe
	s_cvt_u32_f32 s36, s2
	s_wait_alu 0xfffe
	s_delay_alu instid0(SALU_CYCLE_2)
	s_mul_u64 s[40:41], s[38:39], s[36:37]
	s_wait_alu 0xfffe
	s_mul_hi_u32 s43, s36, s41
	s_mul_i32 s42, s36, s41
	s_mul_hi_u32 s22, s36, s40
	s_mul_i32 s29, s37, s40
	s_wait_alu 0xfffe
	s_add_nc_u64 s[42:43], s[22:23], s[42:43]
	s_mul_hi_u32 s2, s37, s40
	s_mul_hi_u32 s31, s37, s41
	s_wait_alu 0xfffe
	s_add_co_u32 s22, s42, s29
	s_add_co_ci_u32 s22, s43, s2
	s_mul_i32 s40, s37, s41
	s_add_co_ci_u32 s41, s31, 0
	s_wait_alu 0xfffe
	s_add_nc_u64 s[40:41], s[22:23], s[40:41]
	s_wait_alu 0xfffe
	s_add_co_u32 s36, s36, s40
	s_cselect_b32 s2, -1, 0
	s_wait_alu 0xfffe
	s_cmp_lg_u32 s2, 0
	s_add_co_ci_u32 s37, s37, s41
	s_wait_alu 0xfffe
	s_mul_u64 s[38:39], s[38:39], s[36:37]
	s_wait_alu 0xfffe
	s_mul_hi_u32 s41, s36, s39
	s_mul_i32 s40, s36, s39
	s_mul_hi_u32 s22, s36, s38
	s_mul_i32 s29, s37, s38
	s_wait_alu 0xfffe
	s_add_nc_u64 s[40:41], s[22:23], s[40:41]
	s_mul_hi_u32 s2, s37, s38
	s_mul_hi_u32 s31, s37, s39
	s_wait_alu 0xfffe
	s_add_co_u32 s22, s40, s29
	s_add_co_ci_u32 s22, s41, s2
	s_mul_i32 s38, s37, s39
	s_add_co_ci_u32 s39, s31, 0
	s_wait_alu 0xfffe
	s_add_nc_u64 s[38:39], s[22:23], s[38:39]
	s_wait_alu 0xfffe
	s_add_co_u32 s2, s36, s38
	s_cselect_b32 s22, -1, 0
	s_wait_alu 0xfffe
	v_mul_hi_u32 v13, v11, s2
	s_cmp_lg_u32 s22, 0
	v_mad_co_u64_u32 v[7:8], null, v12, s2, 0
	s_add_co_ci_u32 s22, s37, s39
	s_wait_alu 0xfffe
	v_mad_co_u64_u32 v[5:6], null, v11, s22, 0
	v_mad_co_u64_u32 v[9:10], null, v12, s22, 0
	s_delay_alu instid0(VALU_DEP_2) | instskip(SKIP_1) | instid1(VALU_DEP_3)
	v_add_co_u32 v5, vcc_lo, v13, v5
	s_wait_alu 0xfffd
	v_add_co_ci_u32_e64 v6, null, 0, v6, vcc_lo
	s_delay_alu instid0(VALU_DEP_2) | instskip(SKIP_1) | instid1(VALU_DEP_2)
	v_add_co_u32 v5, vcc_lo, v5, v7
	s_wait_alu 0xfffd
	v_add_co_ci_u32_e32 v5, vcc_lo, v6, v8, vcc_lo
	s_wait_alu 0xfffd
	v_add_co_ci_u32_e32 v6, vcc_lo, 0, v10, vcc_lo
	s_delay_alu instid0(VALU_DEP_2) | instskip(SKIP_1) | instid1(VALU_DEP_2)
	v_add_co_u32 v7, vcc_lo, v5, v9
	s_wait_alu 0xfffd
	v_add_co_ci_u32_e64 v8, null, 0, v6, vcc_lo
	s_delay_alu instid0(VALU_DEP_2) | instskip(SKIP_1) | instid1(VALU_DEP_3)
	v_mul_lo_u32 v9, s35, v7
	v_mad_co_u64_u32 v[5:6], null, s34, v7, 0
	v_mul_lo_u32 v10, s34, v8
	s_delay_alu instid0(VALU_DEP_2) | instskip(NEXT) | instid1(VALU_DEP_2)
	v_sub_co_u32 v5, vcc_lo, v11, v5
	v_add3_u32 v6, v6, v10, v9
	v_add_co_u32 v10, s2, v7, 2
	s_wait_alu 0xf1ff
	v_add_co_ci_u32_e64 v11, null, 0, v8, s2
	s_delay_alu instid0(VALU_DEP_3) | instskip(SKIP_3) | instid1(VALU_DEP_3)
	v_sub_nc_u32_e32 v9, v12, v6
	v_sub_co_u32 v13, s2, v5, s34
	s_wait_alu 0xfffd
	v_sub_co_ci_u32_e64 v6, null, v12, v6, vcc_lo
	v_subrev_co_ci_u32_e64 v9, null, s35, v9, vcc_lo
	s_delay_alu instid0(VALU_DEP_3) | instskip(SKIP_1) | instid1(VALU_DEP_2)
	v_cmp_le_u32_e32 vcc_lo, s34, v13
	s_wait_alu 0xf1ff
	v_subrev_co_ci_u32_e64 v9, null, 0, v9, s2
	s_wait_alu 0xfffd
	v_cndmask_b32_e64 v12, 0, -1, vcc_lo
	s_delay_alu instid0(VALU_DEP_2)
	v_cmp_le_u32_e32 vcc_lo, s35, v9
	s_wait_alu 0xfffd
	v_cndmask_b32_e64 v13, 0, -1, vcc_lo
	v_cmp_le_u32_e32 vcc_lo, s34, v5
	s_wait_alu 0xfffd
	v_cndmask_b32_e64 v5, 0, -1, vcc_lo
	;; [unrolled: 3-line block ×3, first 2 shown]
	v_cmp_eq_u32_e32 vcc_lo, s35, v9
	s_wait_alu 0xfffd
	v_cndmask_b32_e32 v9, v13, v12, vcc_lo
	v_add_co_u32 v12, vcc_lo, v7, 1
	s_wait_alu 0xfffd
	v_add_co_ci_u32_e64 v13, null, 0, v8, vcc_lo
	v_cmp_eq_u32_e32 vcc_lo, s35, v6
	s_wait_alu 0xfffd
	v_cndmask_b32_e32 v5, v14, v5, vcc_lo
	v_cmp_ne_u32_e32 vcc_lo, 0, v9
	s_wait_alu 0xfffd
	v_cndmask_b32_e32 v6, v13, v11, vcc_lo
	s_delay_alu instid0(VALU_DEP_3) | instskip(SKIP_2) | instid1(VALU_DEP_2)
	v_cmp_ne_u32_e64 s2, 0, v5
	v_cndmask_b32_e32 v5, v12, v10, vcc_lo
	s_wait_alu 0xf1ff
	v_cndmask_b32_e64 v6, v8, v6, s2
	s_delay_alu instid0(VALU_DEP_2) | instskip(NEXT) | instid1(VALU_DEP_2)
	v_cndmask_b32_e64 v5, v7, v5, s2
	v_xor_b32_e32 v6, v6, v3
	s_delay_alu instid0(VALU_DEP_2) | instskip(NEXT) | instid1(VALU_DEP_1)
	v_xor_b32_e32 v5, v5, v3
	v_sub_co_u32 v8, vcc_lo, v5, v3
	s_wait_alu 0xfffd
	s_delay_alu instid0(VALU_DEP_3)
	v_sub_co_ci_u32_e64 v9, null, v6, v3, vcc_lo
.LBB25_9:                               ;   in Loop: Header=BB25_3 Depth=1
	s_wait_alu 0xfffe
	s_and_not1_saveexec_b32 s2, s19
	s_cbranch_execz .LBB25_11
; %bb.10:                               ;   in Loop: Header=BB25_3 Depth=1
	s_sub_co_i32 s19, 0, s20
	v_mov_b32_e32 v9, v2
	s_wait_alu 0xfffe
	v_mul_lo_u32 v3, s19, v19
	s_delay_alu instid0(VALU_DEP_1) | instskip(NEXT) | instid1(VALU_DEP_1)
	v_mul_hi_u32 v3, v19, v3
	v_add_nc_u32_e32 v3, v19, v3
	s_delay_alu instid0(VALU_DEP_1) | instskip(NEXT) | instid1(VALU_DEP_1)
	v_mul_hi_u32 v3, v4, v3
	v_mul_lo_u32 v5, v3, s20
	v_add_nc_u32_e32 v6, 1, v3
	s_delay_alu instid0(VALU_DEP_2) | instskip(NEXT) | instid1(VALU_DEP_1)
	v_sub_nc_u32_e32 v5, v4, v5
	v_cmp_le_u32_e32 vcc_lo, s20, v5
	v_subrev_nc_u32_e32 v7, s20, v5
	s_wait_alu 0xfffd
	v_cndmask_b32_e32 v3, v3, v6, vcc_lo
	s_delay_alu instid0(VALU_DEP_1) | instskip(NEXT) | instid1(VALU_DEP_3)
	v_add_nc_u32_e32 v6, 1, v3
	v_cndmask_b32_e32 v5, v5, v7, vcc_lo
	s_delay_alu instid0(VALU_DEP_1) | instskip(SKIP_1) | instid1(VALU_DEP_3)
	v_cmp_le_u32_e32 vcc_lo, s20, v5
	s_wait_alu 0xfffd
	v_cndmask_b32_e32 v8, v3, v6, vcc_lo
.LBB25_11:                              ;   in Loop: Header=BB25_3 Depth=1
	s_wait_alu 0xfffe
	s_or_b32 exec_lo, exec_lo, s2
	v_mad_co_u64_u32 v[5:6], null, v4, s8, 0
	s_delay_alu instid0(VALU_DEP_2) | instskip(SKIP_3) | instid1(VALU_DEP_2)
	v_mad_co_u64_u32 v[6:7], null, v8, s20, 0
	s_and_not1_b32 vcc_lo, exec_lo, s49
	v_sub_co_u32 v20, null, v0, v5
	v_sub_co_u32 v21, null, v4, v6
	v_mul_lo_u32 v3, s24, v20
	v_mul_lo_u32 v5, s26, v20
	s_delay_alu instid0(VALU_DEP_2) | instskip(NEXT) | instid1(VALU_DEP_1)
	v_mad_co_u64_u32 v[6:7], null, s16, v21, v[3:4]
	v_mad_co_u64_u32 v[4:5], null, s18, v21, v[5:6]
	s_wait_alu 0xfffe
	s_cbranch_vccnz .LBB25_38
; %bb.12:                               ;   in Loop: Header=BB25_3 Depth=1
	s_mov_b32 s19, 1
	s_and_not1_b32 vcc_lo, exec_lo, s51
	s_mov_b32 s22, s33
	s_mov_b32 s2, s33
	s_wait_alu 0xfffe
	s_cbranch_vccz .LBB25_15
; %bb.13:                               ;   in Loop: Header=BB25_3 Depth=1
	s_and_b32 vcc_lo, exec_lo, s52
	s_mov_b32 s22, s2
	s_wait_alu 0xfffe
	s_cbranch_vccnz .LBB25_20
	s_branch .LBB25_38
.LBB25_14:                              ;   in Loop: Header=BB25_15 Depth=2
	s_wait_alu 0xfffe
	s_or_b32 exec_lo, exec_lo, s2
	s_add_nc_u64 s[36:37], s[0:1], s[36:37]
	s_clause 0x1
	s_load_b32 s2, s[34:35], 0x6c
	s_load_b32 s29, s[36:37], 0x6c
	v_mul_lo_u32 v3, v10, s30
	s_add_co_i32 s22, s22, -1
	s_delay_alu instid0(VALU_DEP_1) | instskip(SKIP_2) | instid1(VALU_DEP_2)
	v_sub_nc_u32_e32 v3, v8, v3
	v_dual_mov_b32 v8, v10 :: v_dual_mov_b32 v9, v11
	s_wait_kmcnt 0x0
	v_mad_co_u64_u32 v[6:7], null, s2, v3, v[6:7]
	v_mad_co_u64_u32 v[4:5], null, s29, v3, v[4:5]
	s_xor_b32 s2, s48, s19
	s_add_co_i32 s19, s19, 1
	s_wait_alu 0xfffe
	s_cmp_lg_u32 s2, 2
	s_cbranch_scc0 .LBB25_19
.LBB25_15:                              ;   Parent Loop BB25_3 Depth=1
                                        ; =>  This Inner Loop Header: Depth=2
	s_lshl_b64 s[36:37], s[22:23], 2
                                        ; implicit-def: $vgpr10_vgpr11
	s_mov_b32 s2, exec_lo
	s_wait_alu 0xfffe
	s_add_nc_u64 s[34:35], s[12:13], s[36:37]
	s_load_b32 s30, s[34:35], 0x8
	s_wait_kmcnt 0x0
	s_ashr_i32 s31, s30, 31
	s_wait_alu 0xfffe
	v_or_b32_e32 v3, s31, v9
	s_delay_alu instid0(VALU_DEP_1)
	v_cmpx_ne_u64_e32 0, v[2:3]
	s_xor_b32 s29, exec_lo, s2
	s_cbranch_execz .LBB25_17
; %bb.16:                               ;   in Loop: Header=BB25_15 Depth=2
	s_ashr_i32 s38, s31, 31
	s_mov_b32 s47, s23
	s_wait_alu 0xfffe
	s_mov_b32 s39, s38
	s_mov_b32 s57, s23
	s_wait_alu 0xfffe
	s_add_nc_u64 s[40:41], s[30:31], s[38:39]
	v_ashrrev_i32_e32 v3, 31, v9
	s_wait_alu 0xfffe
	s_xor_b64 s[40:41], s[40:41], s[38:39]
	s_wait_alu 0xfffe
	s_cvt_f32_u32 s2, s40
	s_cvt_f32_u32 s31, s41
	s_sub_nc_u64 s[44:45], 0, s[40:41]
	v_add_co_u32 v5, vcc_lo, v8, v3
	s_wait_alu 0xfffe
	s_fmamk_f32 s2, s31, 0x4f800000, s2
	s_wait_alu 0xfffd
	v_add_co_ci_u32_e64 v7, null, v9, v3, vcc_lo
	v_xor_b32_e32 v5, v5, v3
	s_wait_alu 0xfffe
	v_s_rcp_f32 s2, s2
	s_delay_alu instid0(VALU_DEP_2) | instskip(SKIP_1) | instid1(TRANS32_DEP_1)
	v_xor_b32_e32 v7, v7, v3
	v_xor_b32_e32 v3, s38, v3
	s_mul_f32 s2, s2, 0x5f7ffffc
	s_wait_alu 0xfffe
	s_delay_alu instid0(SALU_CYCLE_2) | instskip(SKIP_1) | instid1(SALU_CYCLE_2)
	s_mul_f32 s31, s2, 0x2f800000
	s_wait_alu 0xfffe
	s_trunc_f32 s31, s31
	s_wait_alu 0xfffe
	s_delay_alu instid0(SALU_CYCLE_2) | instskip(SKIP_2) | instid1(SALU_CYCLE_1)
	s_fmamk_f32 s2, s31, 0xcf800000, s2
	s_cvt_u32_f32 s43, s31
	s_wait_alu 0xfffe
	s_cvt_u32_f32 s42, s2
	s_wait_alu 0xfffe
	s_delay_alu instid0(SALU_CYCLE_2) | instskip(NEXT) | instid1(SALU_CYCLE_1)
	s_mul_u64 s[54:55], s[44:45], s[42:43]
	s_mul_hi_u32 s59, s42, s55
	s_mul_i32 s58, s42, s55
	s_mul_hi_u32 s46, s42, s54
	s_mul_i32 s31, s43, s54
	s_wait_alu 0xfffe
	s_add_nc_u64 s[46:47], s[46:47], s[58:59]
	s_mul_hi_u32 s2, s43, s54
	s_mul_hi_u32 s39, s43, s55
	s_wait_alu 0xfffe
	s_add_co_u32 s31, s46, s31
	s_add_co_ci_u32 s56, s47, s2
	s_mul_i32 s54, s43, s55
	s_add_co_ci_u32 s55, s39, 0
	s_delay_alu instid0(SALU_CYCLE_1)
	s_add_nc_u64 s[46:47], s[56:57], s[54:55]
	s_mov_b32 s55, s23
	s_wait_alu 0xfffe
	s_add_co_u32 s42, s42, s46
	s_cselect_b32 s2, -1, 0
	s_wait_alu 0xfffe
	s_cmp_lg_u32 s2, 0
	s_add_co_ci_u32 s43, s43, s47
	s_mov_b32 s47, s23
	s_wait_alu 0xfffe
	s_mul_u64 s[44:45], s[44:45], s[42:43]
	s_wait_alu 0xfffe
	s_mul_hi_u32 s57, s42, s45
	s_mul_i32 s56, s42, s45
	s_mul_hi_u32 s54, s42, s44
	s_mul_i32 s31, s43, s44
	s_add_nc_u64 s[54:55], s[54:55], s[56:57]
	s_mul_hi_u32 s2, s43, s44
	s_mul_hi_u32 s39, s43, s45
	s_wait_alu 0xfffe
	s_add_co_u32 s31, s54, s31
	s_add_co_ci_u32 s46, s55, s2
	s_mul_i32 s44, s43, s45
	s_add_co_ci_u32 s45, s39, 0
	s_wait_alu 0xfffe
	s_add_nc_u64 s[44:45], s[46:47], s[44:45]
	s_wait_alu 0xfffe
	s_add_co_u32 s2, s42, s44
	s_cselect_b32 s31, -1, 0
	s_wait_alu 0xfffe
	v_mul_hi_u32 v15, v5, s2
	s_cmp_lg_u32 s31, 0
	v_mad_co_u64_u32 v[11:12], null, v7, s2, 0
	s_add_co_ci_u32 s31, s43, s45
	s_wait_alu 0xfffe
	v_mad_co_u64_u32 v[9:10], null, v5, s31, 0
	v_mad_co_u64_u32 v[13:14], null, v7, s31, 0
	s_delay_alu instid0(VALU_DEP_2) | instskip(SKIP_1) | instid1(VALU_DEP_3)
	v_add_co_u32 v9, vcc_lo, v15, v9
	s_wait_alu 0xfffd
	v_add_co_ci_u32_e64 v10, null, 0, v10, vcc_lo
	s_delay_alu instid0(VALU_DEP_2) | instskip(SKIP_1) | instid1(VALU_DEP_2)
	v_add_co_u32 v9, vcc_lo, v9, v11
	s_wait_alu 0xfffd
	v_add_co_ci_u32_e32 v9, vcc_lo, v10, v12, vcc_lo
	s_wait_alu 0xfffd
	v_add_co_ci_u32_e32 v10, vcc_lo, 0, v14, vcc_lo
	s_delay_alu instid0(VALU_DEP_2) | instskip(SKIP_1) | instid1(VALU_DEP_2)
	v_add_co_u32 v11, vcc_lo, v9, v13
	s_wait_alu 0xfffd
	v_add_co_ci_u32_e64 v12, null, 0, v10, vcc_lo
	s_delay_alu instid0(VALU_DEP_2) | instskip(SKIP_1) | instid1(VALU_DEP_3)
	v_mul_lo_u32 v13, s41, v11
	v_mad_co_u64_u32 v[9:10], null, s40, v11, 0
	v_mul_lo_u32 v14, s40, v12
	s_delay_alu instid0(VALU_DEP_2) | instskip(NEXT) | instid1(VALU_DEP_2)
	v_sub_co_u32 v5, vcc_lo, v5, v9
	v_add3_u32 v10, v10, v14, v13
	s_delay_alu instid0(VALU_DEP_1) | instskip(SKIP_2) | instid1(VALU_DEP_2)
	v_sub_nc_u32_e32 v13, v7, v10
	s_wait_alu 0xfffd
	v_sub_co_ci_u32_e64 v7, null, v7, v10, vcc_lo
	v_subrev_co_ci_u32_e64 v9, null, s41, v13, vcc_lo
	v_add_co_u32 v13, s2, v11, 2
	s_wait_alu 0xf1ff
	v_add_co_ci_u32_e64 v14, null, 0, v12, s2
	v_sub_co_u32 v15, s2, v5, s40
	s_wait_alu 0xf1ff
	v_subrev_co_ci_u32_e64 v9, null, 0, v9, s2
	s_delay_alu instid0(VALU_DEP_2) | instskip(SKIP_2) | instid1(VALU_DEP_3)
	v_cmp_le_u32_e32 vcc_lo, s40, v15
	s_wait_alu 0xfffd
	v_cndmask_b32_e64 v10, 0, -1, vcc_lo
	v_cmp_le_u32_e32 vcc_lo, s41, v9
	s_wait_alu 0xfffd
	v_cndmask_b32_e64 v15, 0, -1, vcc_lo
	;; [unrolled: 3-line block ×4, first 2 shown]
	v_cmp_eq_u32_e32 vcc_lo, s41, v9
	s_wait_alu 0xfffd
	v_cndmask_b32_e32 v9, v15, v10, vcc_lo
	v_add_co_u32 v10, vcc_lo, v11, 1
	s_wait_alu 0xfffd
	v_add_co_ci_u32_e64 v15, null, 0, v12, vcc_lo
	v_cmp_eq_u32_e32 vcc_lo, s41, v7
	s_wait_alu 0xfffd
	v_cndmask_b32_e32 v5, v16, v5, vcc_lo
	v_cmp_ne_u32_e32 vcc_lo, 0, v9
	s_delay_alu instid0(VALU_DEP_2) | instskip(SKIP_4) | instid1(VALU_DEP_2)
	v_cmp_ne_u32_e64 s2, 0, v5
	s_wait_alu 0xfffd
	v_cndmask_b32_e32 v5, v10, v13, vcc_lo
	v_cndmask_b32_e32 v7, v15, v14, vcc_lo
	s_wait_alu 0xf1ff
	v_cndmask_b32_e64 v5, v11, v5, s2
	s_delay_alu instid0(VALU_DEP_2) | instskip(NEXT) | instid1(VALU_DEP_2)
	v_cndmask_b32_e64 v7, v12, v7, s2
	v_xor_b32_e32 v5, v5, v3
	s_delay_alu instid0(VALU_DEP_2) | instskip(NEXT) | instid1(VALU_DEP_2)
	v_xor_b32_e32 v7, v7, v3
	v_sub_co_u32 v10, vcc_lo, v5, v3
	s_wait_alu 0xfffd
	s_delay_alu instid0(VALU_DEP_2)
	v_sub_co_ci_u32_e64 v11, null, v7, v3, vcc_lo
.LBB25_17:                              ;   in Loop: Header=BB25_15 Depth=2
	s_wait_alu 0xfffe
	s_and_not1_saveexec_b32 s2, s29
	s_cbranch_execz .LBB25_14
; %bb.18:                               ;   in Loop: Header=BB25_15 Depth=2
	v_cvt_f32_u32_e32 v3, s30
	s_sub_co_i32 s29, 0, s30
	v_mov_b32_e32 v11, v2
	s_delay_alu instid0(VALU_DEP_2) | instskip(NEXT) | instid1(TRANS32_DEP_1)
	v_rcp_iflag_f32_e32 v3, v3
	v_mul_f32_e32 v3, 0x4f7ffffe, v3
	s_delay_alu instid0(VALU_DEP_1) | instskip(SKIP_1) | instid1(VALU_DEP_1)
	v_cvt_u32_f32_e32 v3, v3
	s_wait_alu 0xfffe
	v_mul_lo_u32 v5, s29, v3
	s_delay_alu instid0(VALU_DEP_1) | instskip(NEXT) | instid1(VALU_DEP_1)
	v_mul_hi_u32 v5, v3, v5
	v_add_nc_u32_e32 v3, v3, v5
	s_delay_alu instid0(VALU_DEP_1) | instskip(NEXT) | instid1(VALU_DEP_1)
	v_mul_hi_u32 v3, v8, v3
	v_mul_lo_u32 v5, v3, s30
	v_add_nc_u32_e32 v7, 1, v3
	s_delay_alu instid0(VALU_DEP_2) | instskip(NEXT) | instid1(VALU_DEP_1)
	v_sub_nc_u32_e32 v5, v8, v5
	v_cmp_le_u32_e32 vcc_lo, s30, v5
	v_subrev_nc_u32_e32 v9, s30, v5
	s_wait_alu 0xfffd
	v_cndmask_b32_e32 v3, v3, v7, vcc_lo
	s_delay_alu instid0(VALU_DEP_1) | instskip(NEXT) | instid1(VALU_DEP_3)
	v_add_nc_u32_e32 v7, 1, v3
	v_cndmask_b32_e32 v5, v5, v9, vcc_lo
	s_delay_alu instid0(VALU_DEP_1) | instskip(SKIP_1) | instid1(VALU_DEP_3)
	v_cmp_le_u32_e32 vcc_lo, s30, v5
	s_wait_alu 0xfffd
	v_cndmask_b32_e32 v10, v3, v7, vcc_lo
	s_branch .LBB25_14
.LBB25_19:                              ;   in Loop: Header=BB25_3 Depth=1
	s_mov_b32 s2, s22
	s_and_b32 vcc_lo, exec_lo, s52
	s_wait_alu 0xfffe
	s_mov_b32 s22, s2
	s_cbranch_vccz .LBB25_38
.LBB25_20:                              ;   Parent Loop BB25_3 Depth=1
                                        ; =>  This Inner Loop Header: Depth=2
	s_wait_alu 0xfffe
	s_lshl_b64 s[42:43], s[22:23], 2
                                        ; implicit-def: $vgpr10_vgpr11
	s_mov_b32 s2, exec_lo
	s_wait_alu 0xfffe
	s_add_nc_u64 s[36:37], s[12:13], s[42:43]
	s_load_b32 s30, s[36:37], 0x8
	s_wait_kmcnt 0x0
	s_ashr_i32 s31, s30, 31
	s_wait_alu 0xfffe
	v_or_b32_e32 v3, s31, v9
	s_delay_alu instid0(VALU_DEP_1)
	v_cmpx_ne_u64_e32 0, v[2:3]
	s_xor_b32 s19, exec_lo, s2
	s_cbranch_execz .LBB25_22
; %bb.21:                               ;   in Loop: Header=BB25_20 Depth=2
	s_ashr_i32 s34, s31, 31
	s_mov_b32 s47, s23
	s_wait_alu 0xfffe
	s_mov_b32 s35, s34
	s_mov_b32 s57, s23
	s_wait_alu 0xfffe
	s_add_nc_u64 s[38:39], s[30:31], s[34:35]
	v_ashrrev_i32_e32 v3, 31, v9
	s_wait_alu 0xfffe
	s_xor_b64 s[38:39], s[38:39], s[34:35]
	s_wait_alu 0xfffe
	s_cvt_f32_u32 s2, s38
	s_cvt_f32_u32 s29, s39
	s_sub_nc_u64 s[44:45], 0, s[38:39]
	v_add_co_u32 v5, vcc_lo, v8, v3
	s_wait_alu 0xfffe
	s_fmamk_f32 s2, s29, 0x4f800000, s2
	s_wait_alu 0xfffd
	v_add_co_ci_u32_e64 v7, null, v9, v3, vcc_lo
	v_xor_b32_e32 v5, v5, v3
	s_wait_alu 0xfffe
	v_s_rcp_f32 s2, s2
	s_delay_alu instid0(VALU_DEP_2) | instskip(SKIP_1) | instid1(TRANS32_DEP_1)
	v_xor_b32_e32 v7, v7, v3
	v_xor_b32_e32 v3, s34, v3
	s_mul_f32 s2, s2, 0x5f7ffffc
	s_wait_alu 0xfffe
	s_delay_alu instid0(SALU_CYCLE_2) | instskip(SKIP_1) | instid1(SALU_CYCLE_2)
	s_mul_f32 s29, s2, 0x2f800000
	s_wait_alu 0xfffe
	s_trunc_f32 s29, s29
	s_wait_alu 0xfffe
	s_delay_alu instid0(SALU_CYCLE_2) | instskip(SKIP_2) | instid1(SALU_CYCLE_1)
	s_fmamk_f32 s2, s29, 0xcf800000, s2
	s_cvt_u32_f32 s41, s29
	s_wait_alu 0xfffe
	s_cvt_u32_f32 s40, s2
	s_wait_alu 0xfffe
	s_delay_alu instid0(SALU_CYCLE_2) | instskip(NEXT) | instid1(SALU_CYCLE_1)
	s_mul_u64 s[54:55], s[44:45], s[40:41]
	s_mul_hi_u32 s59, s40, s55
	s_mul_i32 s58, s40, s55
	s_mul_hi_u32 s46, s40, s54
	s_mul_i32 s29, s41, s54
	s_wait_alu 0xfffe
	s_add_nc_u64 s[46:47], s[46:47], s[58:59]
	s_mul_hi_u32 s2, s41, s54
	s_mul_hi_u32 s31, s41, s55
	s_wait_alu 0xfffe
	s_add_co_u32 s29, s46, s29
	s_add_co_ci_u32 s56, s47, s2
	s_mul_i32 s54, s41, s55
	s_add_co_ci_u32 s55, s31, 0
	s_delay_alu instid0(SALU_CYCLE_1)
	s_add_nc_u64 s[46:47], s[56:57], s[54:55]
	s_mov_b32 s55, s23
	s_wait_alu 0xfffe
	s_add_co_u32 s40, s40, s46
	s_cselect_b32 s2, -1, 0
	s_wait_alu 0xfffe
	s_cmp_lg_u32 s2, 0
	s_add_co_ci_u32 s41, s41, s47
	s_mov_b32 s47, s23
	s_wait_alu 0xfffe
	s_mul_u64 s[44:45], s[44:45], s[40:41]
	s_wait_alu 0xfffe
	s_mul_hi_u32 s57, s40, s45
	s_mul_i32 s56, s40, s45
	s_mul_hi_u32 s54, s40, s44
	s_mul_i32 s29, s41, s44
	s_add_nc_u64 s[54:55], s[54:55], s[56:57]
	s_mul_hi_u32 s2, s41, s44
	s_mul_hi_u32 s31, s41, s45
	s_wait_alu 0xfffe
	s_add_co_u32 s29, s54, s29
	s_add_co_ci_u32 s46, s55, s2
	s_mul_i32 s44, s41, s45
	s_add_co_ci_u32 s45, s31, 0
	s_wait_alu 0xfffe
	s_add_nc_u64 s[44:45], s[46:47], s[44:45]
	s_wait_alu 0xfffe
	s_add_co_u32 s2, s40, s44
	s_cselect_b32 s29, -1, 0
	s_wait_alu 0xfffe
	v_mul_hi_u32 v15, v5, s2
	s_cmp_lg_u32 s29, 0
	v_mad_co_u64_u32 v[11:12], null, v7, s2, 0
	s_add_co_ci_u32 s29, s41, s45
	s_wait_alu 0xfffe
	v_mad_co_u64_u32 v[9:10], null, v5, s29, 0
	v_mad_co_u64_u32 v[13:14], null, v7, s29, 0
	s_delay_alu instid0(VALU_DEP_2) | instskip(SKIP_1) | instid1(VALU_DEP_3)
	v_add_co_u32 v9, vcc_lo, v15, v9
	s_wait_alu 0xfffd
	v_add_co_ci_u32_e64 v10, null, 0, v10, vcc_lo
	s_delay_alu instid0(VALU_DEP_2) | instskip(SKIP_1) | instid1(VALU_DEP_2)
	v_add_co_u32 v9, vcc_lo, v9, v11
	s_wait_alu 0xfffd
	v_add_co_ci_u32_e32 v9, vcc_lo, v10, v12, vcc_lo
	s_wait_alu 0xfffd
	v_add_co_ci_u32_e32 v10, vcc_lo, 0, v14, vcc_lo
	s_delay_alu instid0(VALU_DEP_2) | instskip(SKIP_1) | instid1(VALU_DEP_2)
	v_add_co_u32 v11, vcc_lo, v9, v13
	s_wait_alu 0xfffd
	v_add_co_ci_u32_e64 v12, null, 0, v10, vcc_lo
	s_delay_alu instid0(VALU_DEP_2) | instskip(SKIP_1) | instid1(VALU_DEP_3)
	v_mul_lo_u32 v13, s39, v11
	v_mad_co_u64_u32 v[9:10], null, s38, v11, 0
	v_mul_lo_u32 v14, s38, v12
	s_delay_alu instid0(VALU_DEP_2) | instskip(NEXT) | instid1(VALU_DEP_2)
	v_sub_co_u32 v5, vcc_lo, v5, v9
	v_add3_u32 v10, v10, v14, v13
	s_delay_alu instid0(VALU_DEP_1) | instskip(SKIP_2) | instid1(VALU_DEP_2)
	v_sub_nc_u32_e32 v13, v7, v10
	s_wait_alu 0xfffd
	v_sub_co_ci_u32_e64 v7, null, v7, v10, vcc_lo
	v_subrev_co_ci_u32_e64 v9, null, s39, v13, vcc_lo
	v_add_co_u32 v13, s2, v11, 2
	s_wait_alu 0xf1ff
	v_add_co_ci_u32_e64 v14, null, 0, v12, s2
	v_sub_co_u32 v15, s2, v5, s38
	s_wait_alu 0xf1ff
	v_subrev_co_ci_u32_e64 v9, null, 0, v9, s2
	s_delay_alu instid0(VALU_DEP_2) | instskip(SKIP_2) | instid1(VALU_DEP_3)
	v_cmp_le_u32_e32 vcc_lo, s38, v15
	s_wait_alu 0xfffd
	v_cndmask_b32_e64 v10, 0, -1, vcc_lo
	v_cmp_le_u32_e32 vcc_lo, s39, v9
	s_wait_alu 0xfffd
	v_cndmask_b32_e64 v15, 0, -1, vcc_lo
	;; [unrolled: 3-line block ×4, first 2 shown]
	v_cmp_eq_u32_e32 vcc_lo, s39, v9
	s_wait_alu 0xfffd
	v_cndmask_b32_e32 v9, v15, v10, vcc_lo
	v_add_co_u32 v10, vcc_lo, v11, 1
	s_wait_alu 0xfffd
	v_add_co_ci_u32_e64 v15, null, 0, v12, vcc_lo
	v_cmp_eq_u32_e32 vcc_lo, s39, v7
	s_wait_alu 0xfffd
	v_cndmask_b32_e32 v5, v16, v5, vcc_lo
	v_cmp_ne_u32_e32 vcc_lo, 0, v9
	s_delay_alu instid0(VALU_DEP_2) | instskip(SKIP_4) | instid1(VALU_DEP_2)
	v_cmp_ne_u32_e64 s2, 0, v5
	s_wait_alu 0xfffd
	v_cndmask_b32_e32 v5, v10, v13, vcc_lo
	v_cndmask_b32_e32 v7, v15, v14, vcc_lo
	s_wait_alu 0xf1ff
	v_cndmask_b32_e64 v5, v11, v5, s2
	s_delay_alu instid0(VALU_DEP_2) | instskip(NEXT) | instid1(VALU_DEP_2)
	v_cndmask_b32_e64 v7, v12, v7, s2
	v_xor_b32_e32 v5, v5, v3
	s_delay_alu instid0(VALU_DEP_2) | instskip(NEXT) | instid1(VALU_DEP_2)
	v_xor_b32_e32 v7, v7, v3
	v_sub_co_u32 v10, vcc_lo, v5, v3
	s_wait_alu 0xfffd
	s_delay_alu instid0(VALU_DEP_2)
	v_sub_co_ci_u32_e64 v11, null, v7, v3, vcc_lo
.LBB25_22:                              ;   in Loop: Header=BB25_20 Depth=2
	s_wait_alu 0xfffe
	s_and_not1_saveexec_b32 s2, s19
	s_cbranch_execz .LBB25_24
; %bb.23:                               ;   in Loop: Header=BB25_20 Depth=2
	v_cvt_f32_u32_e32 v3, s30
	s_sub_co_i32 s19, 0, s30
	v_mov_b32_e32 v11, v2
	s_delay_alu instid0(VALU_DEP_2) | instskip(NEXT) | instid1(TRANS32_DEP_1)
	v_rcp_iflag_f32_e32 v3, v3
	v_mul_f32_e32 v3, 0x4f7ffffe, v3
	s_delay_alu instid0(VALU_DEP_1) | instskip(SKIP_1) | instid1(VALU_DEP_1)
	v_cvt_u32_f32_e32 v3, v3
	s_wait_alu 0xfffe
	v_mul_lo_u32 v5, s19, v3
	s_delay_alu instid0(VALU_DEP_1) | instskip(NEXT) | instid1(VALU_DEP_1)
	v_mul_hi_u32 v5, v3, v5
	v_add_nc_u32_e32 v3, v3, v5
	s_delay_alu instid0(VALU_DEP_1) | instskip(NEXT) | instid1(VALU_DEP_1)
	v_mul_hi_u32 v3, v8, v3
	v_mul_lo_u32 v5, v3, s30
	v_add_nc_u32_e32 v7, 1, v3
	s_delay_alu instid0(VALU_DEP_2) | instskip(NEXT) | instid1(VALU_DEP_1)
	v_sub_nc_u32_e32 v5, v8, v5
	v_cmp_le_u32_e32 vcc_lo, s30, v5
	v_subrev_nc_u32_e32 v9, s30, v5
	s_wait_alu 0xfffd
	v_cndmask_b32_e32 v3, v3, v7, vcc_lo
	s_delay_alu instid0(VALU_DEP_1) | instskip(NEXT) | instid1(VALU_DEP_3)
	v_add_nc_u32_e32 v7, 1, v3
	v_cndmask_b32_e32 v5, v5, v9, vcc_lo
	s_delay_alu instid0(VALU_DEP_1) | instskip(SKIP_1) | instid1(VALU_DEP_3)
	v_cmp_le_u32_e32 vcc_lo, s30, v5
	s_wait_alu 0xfffd
	v_cndmask_b32_e32 v10, v3, v7, vcc_lo
.LBB25_24:                              ;   in Loop: Header=BB25_20 Depth=2
	s_wait_alu 0xfffe
	s_or_b32 exec_lo, exec_lo, s2
	s_add_co_i32 s34, s22, -1
	s_mov_b32 s35, s23
	s_add_nc_u64 s[42:43], s[0:1], s[42:43]
	s_wait_alu 0xfffe
	s_lshl_b64 s[40:41], s[34:35], 2
                                        ; implicit-def: $vgpr12_vgpr13
	s_mov_b32 s2, exec_lo
	s_wait_alu 0xfffe
	s_add_nc_u64 s[38:39], s[12:13], s[40:41]
	s_clause 0x2
	s_load_b32 s34, s[38:39], 0x8
	s_load_b32 s19, s[36:37], 0x6c
	;; [unrolled: 1-line block ×3, first 2 shown]
	s_wait_kmcnt 0x0
	s_ashr_i32 s35, s34, 31
	s_wait_alu 0xfffe
	v_or_b32_e32 v3, s35, v11
	s_delay_alu instid0(VALU_DEP_1)
	v_cmpx_ne_u64_e32 0, v[2:3]
	s_xor_b32 s31, exec_lo, s2
	s_cbranch_execz .LBB25_26
; %bb.25:                               ;   in Loop: Header=BB25_20 Depth=2
	s_ashr_i32 s36, s35, 31
	s_mov_b32 s55, s23
	s_wait_alu 0xfffe
	s_mov_b32 s37, s36
	s_mov_b32 s59, s23
	s_wait_alu 0xfffe
	s_add_nc_u64 s[42:43], s[34:35], s[36:37]
	v_ashrrev_i32_e32 v3, 31, v11
	s_wait_alu 0xfffe
	s_xor_b64 s[42:43], s[42:43], s[36:37]
	s_wait_alu 0xfffe
	s_cvt_f32_u32 s2, s42
	s_cvt_f32_u32 s35, s43
	s_sub_nc_u64 s[46:47], 0, s[42:43]
	v_add_co_u32 v5, vcc_lo, v10, v3
	s_wait_alu 0xfffe
	s_fmamk_f32 s2, s35, 0x4f800000, s2
	s_wait_alu 0xfffd
	v_add_co_ci_u32_e64 v7, null, v11, v3, vcc_lo
	v_xor_b32_e32 v5, v5, v3
	s_wait_alu 0xfffe
	v_s_rcp_f32 s2, s2
	s_delay_alu instid0(VALU_DEP_2) | instskip(SKIP_1) | instid1(TRANS32_DEP_1)
	v_xor_b32_e32 v7, v7, v3
	v_xor_b32_e32 v3, s36, v3
	s_mul_f32 s2, s2, 0x5f7ffffc
	s_wait_alu 0xfffe
	s_delay_alu instid0(SALU_CYCLE_2) | instskip(SKIP_1) | instid1(SALU_CYCLE_2)
	s_mul_f32 s35, s2, 0x2f800000
	s_wait_alu 0xfffe
	s_trunc_f32 s35, s35
	s_wait_alu 0xfffe
	s_delay_alu instid0(SALU_CYCLE_2) | instskip(SKIP_2) | instid1(SALU_CYCLE_1)
	s_fmamk_f32 s2, s35, 0xcf800000, s2
	s_cvt_u32_f32 s45, s35
	s_wait_alu 0xfffe
	s_cvt_u32_f32 s44, s2
	s_wait_alu 0xfffe
	s_delay_alu instid0(SALU_CYCLE_2) | instskip(NEXT) | instid1(SALU_CYCLE_1)
	s_mul_u64 s[56:57], s[46:47], s[44:45]
	s_mul_hi_u32 s61, s44, s57
	s_mul_i32 s60, s44, s57
	s_mul_hi_u32 s54, s44, s56
	s_mul_i32 s35, s45, s56
	s_add_nc_u64 s[54:55], s[54:55], s[60:61]
	s_mul_hi_u32 s2, s45, s56
	s_mul_hi_u32 s37, s45, s57
	s_wait_alu 0xfffe
	s_add_co_u32 s35, s54, s35
	s_add_co_ci_u32 s58, s55, s2
	s_mul_i32 s56, s45, s57
	s_add_co_ci_u32 s57, s37, 0
	s_delay_alu instid0(SALU_CYCLE_1)
	s_add_nc_u64 s[54:55], s[58:59], s[56:57]
	s_mov_b32 s57, s23
	s_add_co_u32 s44, s44, s54
	s_cselect_b32 s2, -1, 0
	s_wait_alu 0xfffe
	s_cmp_lg_u32 s2, 0
	s_add_co_ci_u32 s45, s45, s55
	s_mov_b32 s55, s23
	s_wait_alu 0xfffe
	s_mul_u64 s[46:47], s[46:47], s[44:45]
	s_wait_alu 0xfffe
	s_mul_hi_u32 s59, s44, s47
	s_mul_i32 s58, s44, s47
	s_mul_hi_u32 s56, s44, s46
	s_mul_i32 s35, s45, s46
	s_add_nc_u64 s[56:57], s[56:57], s[58:59]
	s_mul_hi_u32 s2, s45, s46
	s_mul_hi_u32 s37, s45, s47
	s_wait_alu 0xfffe
	s_add_co_u32 s35, s56, s35
	s_add_co_ci_u32 s54, s57, s2
	s_mul_i32 s46, s45, s47
	s_add_co_ci_u32 s47, s37, 0
	s_wait_alu 0xfffe
	s_add_nc_u64 s[46:47], s[54:55], s[46:47]
	s_wait_alu 0xfffe
	s_add_co_u32 s2, s44, s46
	s_cselect_b32 s35, -1, 0
	s_wait_alu 0xfffe
	v_mul_hi_u32 v9, v5, s2
	s_cmp_lg_u32 s35, 0
	v_mad_co_u64_u32 v[13:14], null, v7, s2, 0
	s_add_co_ci_u32 s35, s45, s47
	s_wait_alu 0xfffe
	v_mad_co_u64_u32 v[11:12], null, v5, s35, 0
	v_mad_co_u64_u32 v[15:16], null, v7, s35, 0
	s_delay_alu instid0(VALU_DEP_2) | instskip(SKIP_1) | instid1(VALU_DEP_3)
	v_add_co_u32 v9, vcc_lo, v9, v11
	s_wait_alu 0xfffd
	v_add_co_ci_u32_e64 v11, null, 0, v12, vcc_lo
	s_delay_alu instid0(VALU_DEP_2) | instskip(SKIP_1) | instid1(VALU_DEP_2)
	v_add_co_u32 v9, vcc_lo, v9, v13
	s_wait_alu 0xfffd
	v_add_co_ci_u32_e32 v9, vcc_lo, v11, v14, vcc_lo
	s_wait_alu 0xfffd
	v_add_co_ci_u32_e32 v11, vcc_lo, 0, v16, vcc_lo
	s_delay_alu instid0(VALU_DEP_2) | instskip(SKIP_1) | instid1(VALU_DEP_2)
	v_add_co_u32 v9, vcc_lo, v9, v15
	s_wait_alu 0xfffd
	v_add_co_ci_u32_e64 v13, null, 0, v11, vcc_lo
	s_delay_alu instid0(VALU_DEP_2) | instskip(SKIP_1) | instid1(VALU_DEP_3)
	v_mul_lo_u32 v14, s43, v9
	v_mad_co_u64_u32 v[11:12], null, s42, v9, 0
	v_mul_lo_u32 v15, s42, v13
	s_delay_alu instid0(VALU_DEP_2) | instskip(NEXT) | instid1(VALU_DEP_2)
	v_sub_co_u32 v5, vcc_lo, v5, v11
	v_add3_u32 v12, v12, v15, v14
	s_delay_alu instid0(VALU_DEP_1) | instskip(SKIP_2) | instid1(VALU_DEP_2)
	v_sub_nc_u32_e32 v14, v7, v12
	s_wait_alu 0xfffd
	v_sub_co_ci_u32_e64 v7, null, v7, v12, vcc_lo
	v_subrev_co_ci_u32_e64 v11, null, s43, v14, vcc_lo
	v_add_co_u32 v14, s2, v9, 2
	s_wait_alu 0xf1ff
	v_add_co_ci_u32_e64 v15, null, 0, v13, s2
	v_sub_co_u32 v16, s2, v5, s42
	s_wait_alu 0xf1ff
	v_subrev_co_ci_u32_e64 v11, null, 0, v11, s2
	s_delay_alu instid0(VALU_DEP_2) | instskip(SKIP_2) | instid1(VALU_DEP_3)
	v_cmp_le_u32_e32 vcc_lo, s42, v16
	s_wait_alu 0xfffd
	v_cndmask_b32_e64 v12, 0, -1, vcc_lo
	v_cmp_le_u32_e32 vcc_lo, s43, v11
	s_wait_alu 0xfffd
	v_cndmask_b32_e64 v16, 0, -1, vcc_lo
	;; [unrolled: 3-line block ×4, first 2 shown]
	v_cmp_eq_u32_e32 vcc_lo, s43, v11
	s_wait_alu 0xfffd
	v_cndmask_b32_e32 v11, v16, v12, vcc_lo
	v_add_co_u32 v12, vcc_lo, v9, 1
	s_wait_alu 0xfffd
	v_add_co_ci_u32_e64 v16, null, 0, v13, vcc_lo
	v_cmp_eq_u32_e32 vcc_lo, s43, v7
	s_wait_alu 0xfffd
	v_cndmask_b32_e32 v5, v17, v5, vcc_lo
	v_cmp_ne_u32_e32 vcc_lo, 0, v11
	s_delay_alu instid0(VALU_DEP_2) | instskip(SKIP_4) | instid1(VALU_DEP_2)
	v_cmp_ne_u32_e64 s2, 0, v5
	s_wait_alu 0xfffd
	v_cndmask_b32_e32 v5, v12, v14, vcc_lo
	v_cndmask_b32_e32 v7, v16, v15, vcc_lo
	s_wait_alu 0xf1ff
	v_cndmask_b32_e64 v5, v9, v5, s2
	s_delay_alu instid0(VALU_DEP_2) | instskip(NEXT) | instid1(VALU_DEP_2)
	v_cndmask_b32_e64 v7, v13, v7, s2
	v_xor_b32_e32 v5, v5, v3
	s_delay_alu instid0(VALU_DEP_2) | instskip(NEXT) | instid1(VALU_DEP_2)
	v_xor_b32_e32 v7, v7, v3
	v_sub_co_u32 v12, vcc_lo, v5, v3
	s_wait_alu 0xfffd
	s_delay_alu instid0(VALU_DEP_2)
	v_sub_co_ci_u32_e64 v13, null, v7, v3, vcc_lo
.LBB25_26:                              ;   in Loop: Header=BB25_20 Depth=2
	s_wait_alu 0xfffe
	s_and_not1_saveexec_b32 s2, s31
	s_cbranch_execz .LBB25_28
; %bb.27:                               ;   in Loop: Header=BB25_20 Depth=2
	v_cvt_f32_u32_e32 v3, s34
	s_sub_co_i32 s31, 0, s34
	v_mov_b32_e32 v13, v2
	s_delay_alu instid0(VALU_DEP_2) | instskip(NEXT) | instid1(TRANS32_DEP_1)
	v_rcp_iflag_f32_e32 v3, v3
	v_mul_f32_e32 v3, 0x4f7ffffe, v3
	s_delay_alu instid0(VALU_DEP_1) | instskip(SKIP_1) | instid1(VALU_DEP_1)
	v_cvt_u32_f32_e32 v3, v3
	s_wait_alu 0xfffe
	v_mul_lo_u32 v5, s31, v3
	s_delay_alu instid0(VALU_DEP_1) | instskip(NEXT) | instid1(VALU_DEP_1)
	v_mul_hi_u32 v5, v3, v5
	v_add_nc_u32_e32 v3, v3, v5
	s_delay_alu instid0(VALU_DEP_1) | instskip(NEXT) | instid1(VALU_DEP_1)
	v_mul_hi_u32 v3, v10, v3
	v_mul_lo_u32 v5, v3, s34
	v_add_nc_u32_e32 v7, 1, v3
	s_delay_alu instid0(VALU_DEP_2) | instskip(NEXT) | instid1(VALU_DEP_1)
	v_sub_nc_u32_e32 v5, v10, v5
	v_cmp_le_u32_e32 vcc_lo, s34, v5
	v_subrev_nc_u32_e32 v9, s34, v5
	s_wait_alu 0xfffd
	v_cndmask_b32_e32 v3, v3, v7, vcc_lo
	s_delay_alu instid0(VALU_DEP_1) | instskip(NEXT) | instid1(VALU_DEP_3)
	v_add_nc_u32_e32 v7, 1, v3
	v_cndmask_b32_e32 v5, v5, v9, vcc_lo
	s_delay_alu instid0(VALU_DEP_1) | instskip(SKIP_1) | instid1(VALU_DEP_3)
	v_cmp_le_u32_e32 vcc_lo, s34, v5
	s_wait_alu 0xfffd
	v_cndmask_b32_e32 v12, v3, v7, vcc_lo
.LBB25_28:                              ;   in Loop: Header=BB25_20 Depth=2
	s_wait_alu 0xfffe
	s_or_b32 exec_lo, exec_lo, s2
	s_add_co_i32 s36, s22, -2
	s_mov_b32 s37, s23
	s_add_nc_u64 s[40:41], s[0:1], s[40:41]
	s_wait_alu 0xfffe
	s_lshl_b64 s[46:47], s[36:37], 2
                                        ; implicit-def: $vgpr14_vgpr15
	s_mov_b32 s2, exec_lo
	s_wait_alu 0xfffe
	s_add_nc_u64 s[44:45], s[12:13], s[46:47]
	s_clause 0x2
	s_load_b32 s36, s[44:45], 0x8
	s_load_b32 s31, s[38:39], 0x6c
	;; [unrolled: 1-line block ×3, first 2 shown]
	s_wait_kmcnt 0x0
	s_ashr_i32 s37, s36, 31
	s_wait_alu 0xfffe
	v_or_b32_e32 v3, s37, v13
	s_delay_alu instid0(VALU_DEP_1)
	v_cmpx_ne_u64_e32 0, v[2:3]
	s_xor_b32 s42, exec_lo, s2
	s_cbranch_execz .LBB25_30
; %bb.29:                               ;   in Loop: Header=BB25_20 Depth=2
	s_ashr_i32 s38, s37, 31
	s_mov_b32 s59, s23
	s_wait_alu 0xfffe
	s_mov_b32 s39, s38
	s_mov_b32 s63, s23
	s_wait_alu 0xfffe
	s_add_nc_u64 s[40:41], s[36:37], s[38:39]
	v_ashrrev_i32_e32 v3, 31, v13
	s_wait_alu 0xfffe
	s_xor_b64 s[40:41], s[40:41], s[38:39]
	s_wait_alu 0xfffe
	s_cvt_f32_u32 s2, s40
	s_cvt_f32_u32 s37, s41
	s_sub_nc_u64 s[56:57], 0, s[40:41]
	v_add_co_u32 v5, vcc_lo, v12, v3
	s_wait_alu 0xfffe
	s_fmamk_f32 s2, s37, 0x4f800000, s2
	s_wait_alu 0xfffd
	v_add_co_ci_u32_e64 v7, null, v13, v3, vcc_lo
	v_xor_b32_e32 v5, v5, v3
	s_wait_alu 0xfffe
	v_s_rcp_f32 s2, s2
	s_delay_alu instid0(VALU_DEP_2) | instskip(SKIP_1) | instid1(TRANS32_DEP_1)
	v_xor_b32_e32 v7, v7, v3
	v_xor_b32_e32 v3, s38, v3
	s_mul_f32 s2, s2, 0x5f7ffffc
	s_wait_alu 0xfffe
	s_delay_alu instid0(SALU_CYCLE_2) | instskip(SKIP_1) | instid1(SALU_CYCLE_2)
	s_mul_f32 s37, s2, 0x2f800000
	s_wait_alu 0xfffe
	s_trunc_f32 s37, s37
	s_wait_alu 0xfffe
	s_delay_alu instid0(SALU_CYCLE_2) | instskip(SKIP_2) | instid1(SALU_CYCLE_1)
	s_fmamk_f32 s2, s37, 0xcf800000, s2
	s_cvt_u32_f32 s55, s37
	s_wait_alu 0xfffe
	s_cvt_u32_f32 s54, s2
	s_delay_alu instid0(SALU_CYCLE_3) | instskip(NEXT) | instid1(SALU_CYCLE_1)
	s_mul_u64 s[60:61], s[56:57], s[54:55]
	s_mul_hi_u32 s65, s54, s61
	s_mul_i32 s64, s54, s61
	s_mul_hi_u32 s58, s54, s60
	s_mul_i32 s37, s55, s60
	s_add_nc_u64 s[58:59], s[58:59], s[64:65]
	s_mul_hi_u32 s2, s55, s60
	s_mul_hi_u32 s39, s55, s61
	s_wait_alu 0xfffe
	s_add_co_u32 s37, s58, s37
	s_add_co_ci_u32 s62, s59, s2
	s_mul_i32 s60, s55, s61
	s_add_co_ci_u32 s61, s39, 0
	s_delay_alu instid0(SALU_CYCLE_1)
	s_add_nc_u64 s[58:59], s[62:63], s[60:61]
	s_mov_b32 s61, s23
	s_add_co_u32 s54, s54, s58
	s_cselect_b32 s2, -1, 0
	s_wait_alu 0xfffe
	s_cmp_lg_u32 s2, 0
	s_add_co_ci_u32 s55, s55, s59
	s_mov_b32 s59, s23
	s_mul_u64 s[56:57], s[56:57], s[54:55]
	s_delay_alu instid0(SALU_CYCLE_1)
	s_mul_hi_u32 s63, s54, s57
	s_mul_i32 s62, s54, s57
	s_mul_hi_u32 s60, s54, s56
	s_mul_i32 s37, s55, s56
	s_add_nc_u64 s[60:61], s[60:61], s[62:63]
	s_mul_hi_u32 s2, s55, s56
	s_mul_hi_u32 s39, s55, s57
	s_wait_alu 0xfffe
	s_add_co_u32 s37, s60, s37
	s_add_co_ci_u32 s58, s61, s2
	s_mul_i32 s56, s55, s57
	s_add_co_ci_u32 s57, s39, 0
	s_delay_alu instid0(SALU_CYCLE_1) | instskip(NEXT) | instid1(SALU_CYCLE_1)
	s_add_nc_u64 s[56:57], s[58:59], s[56:57]
	s_add_co_u32 s2, s54, s56
	s_cselect_b32 s37, -1, 0
	s_wait_alu 0xfffe
	v_mul_hi_u32 v9, v5, s2
	s_cmp_lg_u32 s37, 0
	v_mad_co_u64_u32 v[15:16], null, v7, s2, 0
	s_add_co_ci_u32 s37, s55, s57
	s_wait_alu 0xfffe
	v_mad_co_u64_u32 v[13:14], null, v5, s37, 0
	v_mad_co_u64_u32 v[22:23], null, v7, s37, 0
	s_delay_alu instid0(VALU_DEP_2) | instskip(SKIP_1) | instid1(VALU_DEP_3)
	v_add_co_u32 v9, vcc_lo, v9, v13
	s_wait_alu 0xfffd
	v_add_co_ci_u32_e64 v11, null, 0, v14, vcc_lo
	s_delay_alu instid0(VALU_DEP_2) | instskip(SKIP_1) | instid1(VALU_DEP_2)
	v_add_co_u32 v9, vcc_lo, v9, v15
	s_wait_alu 0xfffd
	v_add_co_ci_u32_e32 v9, vcc_lo, v11, v16, vcc_lo
	s_wait_alu 0xfffd
	v_add_co_ci_u32_e32 v11, vcc_lo, 0, v23, vcc_lo
	s_delay_alu instid0(VALU_DEP_2) | instskip(SKIP_1) | instid1(VALU_DEP_2)
	v_add_co_u32 v9, vcc_lo, v9, v22
	s_wait_alu 0xfffd
	v_add_co_ci_u32_e64 v11, null, 0, v11, vcc_lo
	s_delay_alu instid0(VALU_DEP_2) | instskip(SKIP_1) | instid1(VALU_DEP_3)
	v_mul_lo_u32 v15, s41, v9
	v_mad_co_u64_u32 v[13:14], null, s40, v9, 0
	v_mul_lo_u32 v16, s40, v11
	s_delay_alu instid0(VALU_DEP_2) | instskip(NEXT) | instid1(VALU_DEP_2)
	v_sub_co_u32 v5, vcc_lo, v5, v13
	v_add3_u32 v14, v14, v16, v15
	s_delay_alu instid0(VALU_DEP_1) | instskip(SKIP_2) | instid1(VALU_DEP_2)
	v_sub_nc_u32_e32 v15, v7, v14
	s_wait_alu 0xfffd
	v_sub_co_ci_u32_e64 v7, null, v7, v14, vcc_lo
	v_subrev_co_ci_u32_e64 v13, null, s41, v15, vcc_lo
	v_add_co_u32 v15, s2, v9, 2
	s_wait_alu 0xf1ff
	v_add_co_ci_u32_e64 v16, null, 0, v11, s2
	v_sub_co_u32 v17, s2, v5, s40
	s_wait_alu 0xf1ff
	v_subrev_co_ci_u32_e64 v13, null, 0, v13, s2
	s_delay_alu instid0(VALU_DEP_2) | instskip(SKIP_2) | instid1(VALU_DEP_3)
	v_cmp_le_u32_e32 vcc_lo, s40, v17
	s_wait_alu 0xfffd
	v_cndmask_b32_e64 v14, 0, -1, vcc_lo
	v_cmp_le_u32_e32 vcc_lo, s41, v13
	s_wait_alu 0xfffd
	v_cndmask_b32_e64 v17, 0, -1, vcc_lo
	;; [unrolled: 3-line block ×4, first 2 shown]
	v_cmp_eq_u32_e32 vcc_lo, s41, v13
	s_wait_alu 0xfffd
	v_cndmask_b32_e32 v13, v17, v14, vcc_lo
	v_add_co_u32 v14, vcc_lo, v9, 1
	s_wait_alu 0xfffd
	v_add_co_ci_u32_e64 v17, null, 0, v11, vcc_lo
	v_cmp_eq_u32_e32 vcc_lo, s41, v7
	s_wait_alu 0xfffd
	v_cndmask_b32_e32 v5, v22, v5, vcc_lo
	v_cmp_ne_u32_e32 vcc_lo, 0, v13
	s_delay_alu instid0(VALU_DEP_2) | instskip(SKIP_4) | instid1(VALU_DEP_2)
	v_cmp_ne_u32_e64 s2, 0, v5
	s_wait_alu 0xfffd
	v_cndmask_b32_e32 v5, v14, v15, vcc_lo
	v_cndmask_b32_e32 v7, v17, v16, vcc_lo
	s_wait_alu 0xf1ff
	v_cndmask_b32_e64 v5, v9, v5, s2
	s_delay_alu instid0(VALU_DEP_2) | instskip(NEXT) | instid1(VALU_DEP_2)
	v_cndmask_b32_e64 v7, v11, v7, s2
	v_xor_b32_e32 v5, v5, v3
	s_delay_alu instid0(VALU_DEP_2) | instskip(NEXT) | instid1(VALU_DEP_2)
	v_xor_b32_e32 v7, v7, v3
	v_sub_co_u32 v14, vcc_lo, v5, v3
	s_wait_alu 0xfffd
	s_delay_alu instid0(VALU_DEP_2)
	v_sub_co_ci_u32_e64 v15, null, v7, v3, vcc_lo
.LBB25_30:                              ;   in Loop: Header=BB25_20 Depth=2
	s_wait_alu 0xfffe
	s_and_not1_saveexec_b32 s2, s42
	s_cbranch_execz .LBB25_32
; %bb.31:                               ;   in Loop: Header=BB25_20 Depth=2
	v_cvt_f32_u32_e32 v3, s36
	s_sub_co_i32 s37, 0, s36
	v_mov_b32_e32 v15, v2
	s_delay_alu instid0(VALU_DEP_2) | instskip(NEXT) | instid1(TRANS32_DEP_1)
	v_rcp_iflag_f32_e32 v3, v3
	v_mul_f32_e32 v3, 0x4f7ffffe, v3
	s_delay_alu instid0(VALU_DEP_1) | instskip(SKIP_1) | instid1(VALU_DEP_1)
	v_cvt_u32_f32_e32 v3, v3
	s_wait_alu 0xfffe
	v_mul_lo_u32 v5, s37, v3
	s_delay_alu instid0(VALU_DEP_1) | instskip(NEXT) | instid1(VALU_DEP_1)
	v_mul_hi_u32 v5, v3, v5
	v_add_nc_u32_e32 v3, v3, v5
	s_delay_alu instid0(VALU_DEP_1) | instskip(NEXT) | instid1(VALU_DEP_1)
	v_mul_hi_u32 v3, v12, v3
	v_mul_lo_u32 v5, v3, s36
	v_add_nc_u32_e32 v7, 1, v3
	s_delay_alu instid0(VALU_DEP_2) | instskip(NEXT) | instid1(VALU_DEP_1)
	v_sub_nc_u32_e32 v5, v12, v5
	v_cmp_le_u32_e32 vcc_lo, s36, v5
	v_subrev_nc_u32_e32 v9, s36, v5
	s_wait_alu 0xfffd
	v_cndmask_b32_e32 v3, v3, v7, vcc_lo
	s_delay_alu instid0(VALU_DEP_1) | instskip(NEXT) | instid1(VALU_DEP_3)
	v_add_nc_u32_e32 v7, 1, v3
	v_cndmask_b32_e32 v5, v5, v9, vcc_lo
	s_delay_alu instid0(VALU_DEP_1) | instskip(SKIP_1) | instid1(VALU_DEP_3)
	v_cmp_le_u32_e32 vcc_lo, s36, v5
	s_wait_alu 0xfffd
	v_cndmask_b32_e32 v14, v3, v7, vcc_lo
.LBB25_32:                              ;   in Loop: Header=BB25_20 Depth=2
	s_wait_alu 0xfffe
	s_or_b32 exec_lo, exec_lo, s2
	s_add_co_i32 s38, s22, -3
	s_mov_b32 s39, s23
	s_add_nc_u64 s[46:47], s[0:1], s[46:47]
	s_wait_alu 0xfffe
	s_lshl_b64 s[42:43], s[38:39], 2
                                        ; implicit-def: $vgpr16_vgpr17
	s_mov_b32 s2, exec_lo
	s_wait_alu 0xfffe
	s_add_nc_u64 s[40:41], s[12:13], s[42:43]
	s_clause 0x2
	s_load_b32 s38, s[40:41], 0x8
	s_load_b32 s37, s[44:45], 0x6c
	;; [unrolled: 1-line block ×3, first 2 shown]
	s_wait_kmcnt 0x0
	s_ashr_i32 s39, s38, 31
	s_wait_alu 0xfffe
	v_or_b32_e32 v3, s39, v15
	s_delay_alu instid0(VALU_DEP_1)
	v_cmpx_ne_u64_e32 0, v[2:3]
	s_xor_b32 s54, exec_lo, s2
	s_cbranch_execz .LBB25_34
; %bb.33:                               ;   in Loop: Header=BB25_20 Depth=2
	s_ashr_i32 s44, s39, 31
	s_mov_b32 s61, s23
	s_wait_alu 0xfffe
	s_mov_b32 s45, s44
	s_mov_b32 s65, s23
	s_wait_alu 0xfffe
	s_add_nc_u64 s[46:47], s[38:39], s[44:45]
	v_ashrrev_i32_e32 v3, 31, v15
	s_wait_alu 0xfffe
	s_xor_b64 s[46:47], s[46:47], s[44:45]
	s_wait_alu 0xfffe
	s_cvt_f32_u32 s2, s46
	s_cvt_f32_u32 s39, s47
	s_sub_nc_u64 s[58:59], 0, s[46:47]
	v_add_co_u32 v5, vcc_lo, v14, v3
	s_wait_alu 0xfffe
	s_fmamk_f32 s2, s39, 0x4f800000, s2
	s_wait_alu 0xfffd
	v_add_co_ci_u32_e64 v7, null, v15, v3, vcc_lo
	v_xor_b32_e32 v5, v5, v3
	s_wait_alu 0xfffe
	v_s_rcp_f32 s2, s2
	s_delay_alu instid0(VALU_DEP_2) | instskip(SKIP_1) | instid1(TRANS32_DEP_1)
	v_xor_b32_e32 v7, v7, v3
	v_xor_b32_e32 v3, s44, v3
	s_mul_f32 s2, s2, 0x5f7ffffc
	s_wait_alu 0xfffe
	s_delay_alu instid0(SALU_CYCLE_2) | instskip(SKIP_1) | instid1(SALU_CYCLE_2)
	s_mul_f32 s39, s2, 0x2f800000
	s_wait_alu 0xfffe
	s_trunc_f32 s39, s39
	s_wait_alu 0xfffe
	s_delay_alu instid0(SALU_CYCLE_2) | instskip(SKIP_2) | instid1(SALU_CYCLE_1)
	s_fmamk_f32 s2, s39, 0xcf800000, s2
	s_cvt_u32_f32 s57, s39
	s_wait_alu 0xfffe
	s_cvt_u32_f32 s56, s2
	s_delay_alu instid0(SALU_CYCLE_3) | instskip(NEXT) | instid1(SALU_CYCLE_1)
	s_mul_u64 s[62:63], s[58:59], s[56:57]
	s_mul_hi_u32 s67, s56, s63
	s_mul_i32 s66, s56, s63
	s_mul_hi_u32 s60, s56, s62
	s_mul_i32 s39, s57, s62
	s_add_nc_u64 s[60:61], s[60:61], s[66:67]
	s_mul_hi_u32 s2, s57, s62
	s_mul_hi_u32 s45, s57, s63
	s_wait_alu 0xfffe
	s_add_co_u32 s39, s60, s39
	s_add_co_ci_u32 s64, s61, s2
	s_mul_i32 s62, s57, s63
	s_add_co_ci_u32 s63, s45, 0
	s_delay_alu instid0(SALU_CYCLE_1)
	s_add_nc_u64 s[60:61], s[64:65], s[62:63]
	s_mov_b32 s63, s23
	s_add_co_u32 s56, s56, s60
	s_cselect_b32 s2, -1, 0
	s_wait_alu 0xfffe
	s_cmp_lg_u32 s2, 0
	s_add_co_ci_u32 s57, s57, s61
	s_mov_b32 s61, s23
	s_mul_u64 s[58:59], s[58:59], s[56:57]
	s_delay_alu instid0(SALU_CYCLE_1)
	s_mul_hi_u32 s65, s56, s59
	s_mul_i32 s64, s56, s59
	s_mul_hi_u32 s62, s56, s58
	s_mul_i32 s39, s57, s58
	s_add_nc_u64 s[62:63], s[62:63], s[64:65]
	s_mul_hi_u32 s2, s57, s58
	s_mul_hi_u32 s45, s57, s59
	s_wait_alu 0xfffe
	s_add_co_u32 s39, s62, s39
	s_add_co_ci_u32 s60, s63, s2
	s_mul_i32 s58, s57, s59
	s_add_co_ci_u32 s59, s45, 0
	s_delay_alu instid0(SALU_CYCLE_1) | instskip(NEXT) | instid1(SALU_CYCLE_1)
	s_add_nc_u64 s[58:59], s[60:61], s[58:59]
	s_add_co_u32 s2, s56, s58
	s_cselect_b32 s39, -1, 0
	s_wait_alu 0xfffe
	v_mul_hi_u32 v9, v5, s2
	s_cmp_lg_u32 s39, 0
	v_mad_co_u64_u32 v[22:23], null, v7, s2, 0
	s_add_co_ci_u32 s39, s57, s59
	s_wait_alu 0xfffe
	v_mad_co_u64_u32 v[15:16], null, v5, s39, 0
	v_mad_co_u64_u32 v[24:25], null, v7, s39, 0
	s_delay_alu instid0(VALU_DEP_2) | instskip(SKIP_1) | instid1(VALU_DEP_3)
	v_add_co_u32 v9, vcc_lo, v9, v15
	s_wait_alu 0xfffd
	v_add_co_ci_u32_e64 v11, null, 0, v16, vcc_lo
	s_delay_alu instid0(VALU_DEP_2) | instskip(SKIP_1) | instid1(VALU_DEP_2)
	v_add_co_u32 v9, vcc_lo, v9, v22
	s_wait_alu 0xfffd
	v_add_co_ci_u32_e32 v9, vcc_lo, v11, v23, vcc_lo
	s_wait_alu 0xfffd
	v_add_co_ci_u32_e32 v11, vcc_lo, 0, v25, vcc_lo
	s_delay_alu instid0(VALU_DEP_2) | instskip(SKIP_1) | instid1(VALU_DEP_2)
	v_add_co_u32 v9, vcc_lo, v9, v24
	s_wait_alu 0xfffd
	v_add_co_ci_u32_e64 v11, null, 0, v11, vcc_lo
	s_delay_alu instid0(VALU_DEP_2) | instskip(SKIP_1) | instid1(VALU_DEP_3)
	v_mul_lo_u32 v13, s47, v9
	v_mad_co_u64_u32 v[15:16], null, s46, v9, 0
	v_mul_lo_u32 v17, s46, v11
	s_delay_alu instid0(VALU_DEP_2) | instskip(NEXT) | instid1(VALU_DEP_2)
	v_sub_co_u32 v5, vcc_lo, v5, v15
	v_add3_u32 v13, v16, v17, v13
	s_delay_alu instid0(VALU_DEP_1) | instskip(SKIP_2) | instid1(VALU_DEP_2)
	v_sub_nc_u32_e32 v16, v7, v13
	s_wait_alu 0xfffd
	v_sub_co_ci_u32_e64 v7, null, v7, v13, vcc_lo
	v_subrev_co_ci_u32_e64 v15, null, s47, v16, vcc_lo
	v_add_co_u32 v16, s2, v9, 2
	s_wait_alu 0xf1ff
	v_add_co_ci_u32_e64 v17, null, 0, v11, s2
	v_sub_co_u32 v22, s2, v5, s46
	s_wait_alu 0xf1ff
	v_subrev_co_ci_u32_e64 v15, null, 0, v15, s2
	s_delay_alu instid0(VALU_DEP_2) | instskip(SKIP_2) | instid1(VALU_DEP_3)
	v_cmp_le_u32_e32 vcc_lo, s46, v22
	s_wait_alu 0xfffd
	v_cndmask_b32_e64 v13, 0, -1, vcc_lo
	v_cmp_le_u32_e32 vcc_lo, s47, v15
	s_wait_alu 0xfffd
	v_cndmask_b32_e64 v22, 0, -1, vcc_lo
	;; [unrolled: 3-line block ×4, first 2 shown]
	v_cmp_eq_u32_e32 vcc_lo, s47, v15
	s_wait_alu 0xfffd
	v_cndmask_b32_e32 v13, v22, v13, vcc_lo
	v_add_co_u32 v15, vcc_lo, v9, 1
	s_wait_alu 0xfffd
	v_add_co_ci_u32_e64 v22, null, 0, v11, vcc_lo
	v_cmp_eq_u32_e32 vcc_lo, s47, v7
	s_wait_alu 0xfffd
	v_cndmask_b32_e32 v5, v23, v5, vcc_lo
	v_cmp_ne_u32_e32 vcc_lo, 0, v13
	s_delay_alu instid0(VALU_DEP_2) | instskip(SKIP_4) | instid1(VALU_DEP_2)
	v_cmp_ne_u32_e64 s2, 0, v5
	s_wait_alu 0xfffd
	v_cndmask_b32_e32 v5, v15, v16, vcc_lo
	v_cndmask_b32_e32 v7, v22, v17, vcc_lo
	s_wait_alu 0xf1ff
	v_cndmask_b32_e64 v5, v9, v5, s2
	s_delay_alu instid0(VALU_DEP_2) | instskip(NEXT) | instid1(VALU_DEP_2)
	v_cndmask_b32_e64 v7, v11, v7, s2
	v_xor_b32_e32 v5, v5, v3
	s_delay_alu instid0(VALU_DEP_2) | instskip(NEXT) | instid1(VALU_DEP_2)
	v_xor_b32_e32 v7, v7, v3
	v_sub_co_u32 v16, vcc_lo, v5, v3
	s_wait_alu 0xfffd
	s_delay_alu instid0(VALU_DEP_2)
	v_sub_co_ci_u32_e64 v17, null, v7, v3, vcc_lo
.LBB25_34:                              ;   in Loop: Header=BB25_20 Depth=2
	s_and_not1_saveexec_b32 s2, s54
	s_cbranch_execz .LBB25_36
; %bb.35:                               ;   in Loop: Header=BB25_20 Depth=2
	v_cvt_f32_u32_e32 v3, s38
	s_sub_co_i32 s39, 0, s38
	v_mov_b32_e32 v17, v2
	s_delay_alu instid0(VALU_DEP_2) | instskip(NEXT) | instid1(TRANS32_DEP_1)
	v_rcp_iflag_f32_e32 v3, v3
	v_mul_f32_e32 v3, 0x4f7ffffe, v3
	s_delay_alu instid0(VALU_DEP_1) | instskip(SKIP_1) | instid1(VALU_DEP_1)
	v_cvt_u32_f32_e32 v3, v3
	s_wait_alu 0xfffe
	v_mul_lo_u32 v5, s39, v3
	s_delay_alu instid0(VALU_DEP_1) | instskip(NEXT) | instid1(VALU_DEP_1)
	v_mul_hi_u32 v5, v3, v5
	v_add_nc_u32_e32 v3, v3, v5
	s_delay_alu instid0(VALU_DEP_1) | instskip(NEXT) | instid1(VALU_DEP_1)
	v_mul_hi_u32 v3, v14, v3
	v_mul_lo_u32 v5, v3, s38
	v_add_nc_u32_e32 v7, 1, v3
	s_delay_alu instid0(VALU_DEP_2) | instskip(NEXT) | instid1(VALU_DEP_1)
	v_sub_nc_u32_e32 v5, v14, v5
	v_cmp_le_u32_e32 vcc_lo, s38, v5
	v_subrev_nc_u32_e32 v9, s38, v5
	s_wait_alu 0xfffd
	v_cndmask_b32_e32 v3, v3, v7, vcc_lo
	s_delay_alu instid0(VALU_DEP_1) | instskip(NEXT) | instid1(VALU_DEP_3)
	v_add_nc_u32_e32 v7, 1, v3
	v_cndmask_b32_e32 v5, v5, v9, vcc_lo
	s_delay_alu instid0(VALU_DEP_1) | instskip(SKIP_1) | instid1(VALU_DEP_3)
	v_cmp_le_u32_e32 vcc_lo, s38, v5
	s_wait_alu 0xfffd
	v_cndmask_b32_e32 v16, v3, v7, vcc_lo
.LBB25_36:                              ;   in Loop: Header=BB25_20 Depth=2
	s_wait_alu 0xfffe
	s_or_b32 exec_lo, exec_lo, s2
	s_add_nc_u64 s[42:43], s[0:1], s[42:43]
	v_mul_lo_u32 v3, v10, s30
	s_clause 0x1
	s_load_b32 s2, s[40:41], 0x6c
	s_load_b32 s30, s[42:43], 0x6c
	v_mul_lo_u32 v5, v12, s34
	v_mul_lo_u32 v7, v14, s36
	;; [unrolled: 1-line block ×3, first 2 shown]
	s_add_co_i32 s22, s22, -4
	s_wait_alu 0xfffe
	s_cmp_eq_u32 s22, -1
	v_sub_nc_u32_e32 v3, v8, v3
	s_delay_alu instid0(VALU_DEP_4) | instskip(NEXT) | instid1(VALU_DEP_4)
	v_sub_nc_u32_e32 v5, v10, v5
	v_sub_nc_u32_e32 v7, v12, v7
	s_delay_alu instid0(VALU_DEP_4) | instskip(NEXT) | instid1(VALU_DEP_4)
	v_sub_nc_u32_e32 v8, v14, v9
	v_mul_lo_u32 v9, s19, v3
	v_mul_lo_u32 v3, s29, v3
	;; [unrolled: 1-line block ×6, first 2 shown]
	s_wait_kmcnt 0x0
	v_mul_lo_u32 v12, s2, v8
	v_mul_lo_u32 v8, s30, v8
	v_add3_u32 v6, v9, v6, v10
	v_add3_u32 v3, v3, v4, v5
	s_delay_alu instid0(VALU_DEP_2) | instskip(NEXT) | instid1(VALU_DEP_2)
	v_add3_u32 v6, v11, v6, v12
	v_add3_u32 v4, v7, v3, v8
	s_cbranch_scc1 .LBB25_38
; %bb.37:                               ;   in Loop: Header=BB25_20 Depth=2
	v_dual_mov_b32 v8, v16 :: v_dual_mov_b32 v9, v17
	s_branch .LBB25_20
.LBB25_38:                              ;   in Loop: Header=BB25_3 Depth=1
	v_sub_nc_u32_e32 v8, v20, v21
	v_dual_mov_b32 v7, 0 :: v_dual_mov_b32 v10, 0
	s_mov_b32 s2, exec_lo
	s_delay_alu instid0(VALU_DEP_2) | instskip(NEXT) | instid1(VALU_DEP_1)
	v_ashrrev_i32_e32 v9, 31, v8
	v_cmpx_ge_i64_e64 s[4:5], v[8:9]
	s_cbranch_execz .LBB25_44
; %bb.39:                               ;   in Loop: Header=BB25_3 Depth=1
	v_mov_b32_e32 v3, 0
	v_mov_b32_e32 v7, 0
	s_mov_b32 s19, exec_lo
	v_cmpx_gt_i32_e64 s3, v20
	s_cbranch_execz .LBB25_43
; %bb.40:                               ;   in Loop: Header=BB25_3 Depth=1
	v_ashrrev_i32_e32 v7, 31, v6
	s_delay_alu instid0(VALU_DEP_1) | instskip(SKIP_1) | instid1(VALU_DEP_2)
	v_lshlrev_b64_e32 v[5:6], 2, v[6:7]
	v_add_nc_u32_e32 v7, 1, v20
	v_add_co_u32 v5, vcc_lo, s10, v5
	s_wait_alu 0xfffd
	s_delay_alu instid0(VALU_DEP_3) | instskip(NEXT) | instid1(VALU_DEP_3)
	v_add_co_ci_u32_e64 v6, null, s11, v6, vcc_lo
	v_cmp_gt_i32_e32 vcc_lo, s3, v7
	v_mov_b32_e32 v7, 0
	global_load_b32 v3, v[5:6], off
	s_and_saveexec_b32 s22, vcc_lo
	s_wait_alu 0xfffe
	s_xor_b32 s22, exec_lo, s22
	s_cbranch_execz .LBB25_42
; %bb.41:                               ;   in Loop: Header=BB25_3 Depth=1
	s_lshl_b64 s[30:31], s[24:25], 2
	s_wait_alu 0xfffe
	v_add_co_u32 v5, vcc_lo, v5, s30
	s_wait_alu 0xfffd
	v_add_co_ci_u32_e64 v6, null, s31, v6, vcc_lo
	global_load_b32 v7, v[5:6], off
.LBB25_42:                              ;   in Loop: Header=BB25_3 Depth=1
	s_wait_alu 0xfffe
	s_or_b32 exec_lo, exec_lo, s22
.LBB25_43:                              ;   in Loop: Header=BB25_3 Depth=1
	s_wait_alu 0xfffe
	s_or_b32 exec_lo, exec_lo, s19
	v_cmp_ge_i64_e32 vcc_lo, s[4:5], v[8:9]
	s_wait_loadcnt 0x0
	s_wait_alu 0xfffd
	v_dual_cndmask_b32 v10, 0, v3 :: v_dual_add_nc_u32 v5, 1, v8
	s_delay_alu instid0(VALU_DEP_1) | instskip(NEXT) | instid1(VALU_DEP_1)
	v_ashrrev_i32_e32 v6, 31, v5
	v_cmp_ge_i64_e32 vcc_lo, s[4:5], v[5:6]
	s_wait_alu 0xfffd
	v_cndmask_b32_e32 v7, 0, v7, vcc_lo
.LBB25_44:                              ;   in Loop: Header=BB25_3 Depth=1
	s_wait_alu 0xfffe
	s_or_b32 exec_lo, exec_lo, s2
	s_delay_alu instid0(SALU_CYCLE_1)
	s_mov_b32 s2, exec_lo
	v_cmpx_gt_i32_e64 s3, v20
	s_cbranch_execz .LBB25_2
; %bb.45:                               ;   in Loop: Header=BB25_3 Depth=1
	v_ashrrev_i32_e32 v5, 31, v4
	s_mov_b32 s19, exec_lo
	s_delay_alu instid0(VALU_DEP_1) | instskip(SKIP_1) | instid1(VALU_DEP_2)
	v_lshlrev_b64_e32 v[3:4], 2, v[4:5]
	v_add_nc_u32_e32 v5, 1, v20
	v_add_co_u32 v3, vcc_lo, s14, v3
	s_wait_alu 0xfffd
	s_delay_alu instid0(VALU_DEP_3)
	v_add_co_ci_u32_e64 v4, null, s15, v4, vcc_lo
	global_store_b32 v[3:4], v10, off
	v_cmpx_gt_i32_e64 s3, v5
	s_wait_alu 0xfffe
	s_xor_b32 s19, exec_lo, s19
	s_cbranch_execz .LBB25_2
; %bb.46:                               ;   in Loop: Header=BB25_3 Depth=1
	s_lshl_b64 s[30:31], s[26:27], 2
	s_wait_alu 0xfffe
	v_add_co_u32 v3, vcc_lo, v3, s30
	s_wait_alu 0xfffd
	v_add_co_ci_u32_e64 v4, null, s31, v4, vcc_lo
	global_store_b32 v[3:4], v7, off
	s_branch .LBB25_2
.LBB25_47:
	s_endpgm
	.section	.rodata,"a",@progbits
	.p2align	6, 0x0
	.amdhsa_kernel _ZN2at6native16triu_tril_kernelIfiLb0ELi2ELb0EEEvNS_4cuda6detail10TensorInfoIT_T0_EENS4_IKS5_S6_EEllS6_
		.amdhsa_group_segment_fixed_size 0
		.amdhsa_private_segment_fixed_size 0
		.amdhsa_kernarg_size 712
		.amdhsa_user_sgpr_count 2
		.amdhsa_user_sgpr_dispatch_ptr 0
		.amdhsa_user_sgpr_queue_ptr 0
		.amdhsa_user_sgpr_kernarg_segment_ptr 1
		.amdhsa_user_sgpr_dispatch_id 0
		.amdhsa_user_sgpr_private_segment_size 0
		.amdhsa_wavefront_size32 1
		.amdhsa_uses_dynamic_stack 0
		.amdhsa_enable_private_segment 0
		.amdhsa_system_sgpr_workgroup_id_x 1
		.amdhsa_system_sgpr_workgroup_id_y 0
		.amdhsa_system_sgpr_workgroup_id_z 0
		.amdhsa_system_sgpr_workgroup_info 0
		.amdhsa_system_vgpr_workitem_id 0
		.amdhsa_next_free_vgpr 26
		.amdhsa_next_free_sgpr 68
		.amdhsa_reserve_vcc 1
		.amdhsa_float_round_mode_32 0
		.amdhsa_float_round_mode_16_64 0
		.amdhsa_float_denorm_mode_32 3
		.amdhsa_float_denorm_mode_16_64 3
		.amdhsa_fp16_overflow 0
		.amdhsa_workgroup_processor_mode 1
		.amdhsa_memory_ordered 1
		.amdhsa_forward_progress 1
		.amdhsa_inst_pref_size 65
		.amdhsa_round_robin_scheduling 0
		.amdhsa_exception_fp_ieee_invalid_op 0
		.amdhsa_exception_fp_denorm_src 0
		.amdhsa_exception_fp_ieee_div_zero 0
		.amdhsa_exception_fp_ieee_overflow 0
		.amdhsa_exception_fp_ieee_underflow 0
		.amdhsa_exception_fp_ieee_inexact 0
		.amdhsa_exception_int_div_zero 0
	.end_amdhsa_kernel
	.section	.text._ZN2at6native16triu_tril_kernelIfiLb0ELi2ELb0EEEvNS_4cuda6detail10TensorInfoIT_T0_EENS4_IKS5_S6_EEllS6_,"axG",@progbits,_ZN2at6native16triu_tril_kernelIfiLb0ELi2ELb0EEEvNS_4cuda6detail10TensorInfoIT_T0_EENS4_IKS5_S6_EEllS6_,comdat
.Lfunc_end25:
	.size	_ZN2at6native16triu_tril_kernelIfiLb0ELi2ELb0EEEvNS_4cuda6detail10TensorInfoIT_T0_EENS4_IKS5_S6_EEllS6_, .Lfunc_end25-_ZN2at6native16triu_tril_kernelIfiLb0ELi2ELb0EEEvNS_4cuda6detail10TensorInfoIT_T0_EENS4_IKS5_S6_EEllS6_
                                        ; -- End function
	.set _ZN2at6native16triu_tril_kernelIfiLb0ELi2ELb0EEEvNS_4cuda6detail10TensorInfoIT_T0_EENS4_IKS5_S6_EEllS6_.num_vgpr, 26
	.set _ZN2at6native16triu_tril_kernelIfiLb0ELi2ELb0EEEvNS_4cuda6detail10TensorInfoIT_T0_EENS4_IKS5_S6_EEllS6_.num_agpr, 0
	.set _ZN2at6native16triu_tril_kernelIfiLb0ELi2ELb0EEEvNS_4cuda6detail10TensorInfoIT_T0_EENS4_IKS5_S6_EEllS6_.numbered_sgpr, 68
	.set _ZN2at6native16triu_tril_kernelIfiLb0ELi2ELb0EEEvNS_4cuda6detail10TensorInfoIT_T0_EENS4_IKS5_S6_EEllS6_.num_named_barrier, 0
	.set _ZN2at6native16triu_tril_kernelIfiLb0ELi2ELb0EEEvNS_4cuda6detail10TensorInfoIT_T0_EENS4_IKS5_S6_EEllS6_.private_seg_size, 0
	.set _ZN2at6native16triu_tril_kernelIfiLb0ELi2ELb0EEEvNS_4cuda6detail10TensorInfoIT_T0_EENS4_IKS5_S6_EEllS6_.uses_vcc, 1
	.set _ZN2at6native16triu_tril_kernelIfiLb0ELi2ELb0EEEvNS_4cuda6detail10TensorInfoIT_T0_EENS4_IKS5_S6_EEllS6_.uses_flat_scratch, 0
	.set _ZN2at6native16triu_tril_kernelIfiLb0ELi2ELb0EEEvNS_4cuda6detail10TensorInfoIT_T0_EENS4_IKS5_S6_EEllS6_.has_dyn_sized_stack, 0
	.set _ZN2at6native16triu_tril_kernelIfiLb0ELi2ELb0EEEvNS_4cuda6detail10TensorInfoIT_T0_EENS4_IKS5_S6_EEllS6_.has_recursion, 0
	.set _ZN2at6native16triu_tril_kernelIfiLb0ELi2ELb0EEEvNS_4cuda6detail10TensorInfoIT_T0_EENS4_IKS5_S6_EEllS6_.has_indirect_call, 0
	.section	.AMDGPU.csdata,"",@progbits
; Kernel info:
; codeLenInByte = 8256
; TotalNumSgprs: 70
; NumVgprs: 26
; ScratchSize: 0
; MemoryBound: 0
; FloatMode: 240
; IeeeMode: 1
; LDSByteSize: 0 bytes/workgroup (compile time only)
; SGPRBlocks: 0
; VGPRBlocks: 3
; NumSGPRsForWavesPerEU: 70
; NumVGPRsForWavesPerEU: 26
; Occupancy: 16
; WaveLimiterHint : 1
; COMPUTE_PGM_RSRC2:SCRATCH_EN: 0
; COMPUTE_PGM_RSRC2:USER_SGPR: 2
; COMPUTE_PGM_RSRC2:TRAP_HANDLER: 0
; COMPUTE_PGM_RSRC2:TGID_X_EN: 1
; COMPUTE_PGM_RSRC2:TGID_Y_EN: 0
; COMPUTE_PGM_RSRC2:TGID_Z_EN: 0
; COMPUTE_PGM_RSRC2:TIDIG_COMP_CNT: 0
	.section	.text._ZN2at6native16triu_tril_kernelIflLb0ELi2ELb1EEEvNS_4cuda6detail10TensorInfoIT_T0_EENS4_IKS5_S6_EEllS6_,"axG",@progbits,_ZN2at6native16triu_tril_kernelIflLb0ELi2ELb1EEEvNS_4cuda6detail10TensorInfoIT_T0_EENS4_IKS5_S6_EEllS6_,comdat
	.protected	_ZN2at6native16triu_tril_kernelIflLb0ELi2ELb1EEEvNS_4cuda6detail10TensorInfoIT_T0_EENS4_IKS5_S6_EEllS6_ ; -- Begin function _ZN2at6native16triu_tril_kernelIflLb0ELi2ELb1EEEvNS_4cuda6detail10TensorInfoIT_T0_EENS4_IKS5_S6_EEllS6_
	.globl	_ZN2at6native16triu_tril_kernelIflLb0ELi2ELb1EEEvNS_4cuda6detail10TensorInfoIT_T0_EENS4_IKS5_S6_EEllS6_
	.p2align	8
	.type	_ZN2at6native16triu_tril_kernelIflLb0ELi2ELb1EEEvNS_4cuda6detail10TensorInfoIT_T0_EENS4_IKS5_S6_EEllS6_,@function
_ZN2at6native16triu_tril_kernelIflLb0ELi2ELb1EEEvNS_4cuda6detail10TensorInfoIT_T0_EENS4_IKS5_S6_EEllS6_: ; @_ZN2at6native16triu_tril_kernelIflLb0ELi2ELb1EEEvNS_4cuda6detail10TensorInfoIT_T0_EENS4_IKS5_S6_EEllS6_
; %bb.0:
	s_clause 0x1
	s_load_b32 s2, s[0:1], 0x364
	s_load_b128 s[4:7], s[0:1], 0x340
	v_mov_b32_e32 v2, 0
	s_mov_b32 s3, exec_lo
	s_delay_alu instid0(VALU_DEP_1)
	v_mov_b32_e32 v1, v2
	s_wait_kmcnt 0x0
	s_and_b32 s2, s2, 0xffff
	s_delay_alu instid0(VALU_DEP_1) | instid1(SALU_CYCLE_1)
	v_mad_co_u64_u32 v[0:1], null, s2, ttmp9, v[0:1]
	s_delay_alu instid0(VALU_DEP_1) | instskip(NEXT) | instid1(VALU_DEP_1)
	v_lshlrev_b64_e32 v[0:1], 1, v[0:1]
	v_cmpx_gt_i64_e64 s[6:7], v[0:1]
	s_cbranch_execz .LBB26_43
; %bb.1:
	s_load_b32 s22, s[0:1], 0x338
	s_add_nc_u64 s[12:13], s[0:1], 0x358
	s_clause 0x1
	s_load_b64 s[8:9], s[0:1], 0x350
	s_load_b64 s[10:11], s[0:1], 0x0
	s_add_nc_u64 s[28:29], s[0:1], 0x1a0
	s_load_b32 s3, s[12:13], 0x0
	s_movk_i32 s18, 0xffe0
	s_add_nc_u64 s[16:17], s[0:1], 0xb8
	s_mov_b32 s19, -1
	s_add_nc_u64 s[34:35], s[0:1], 0x190
	s_mov_b32 s65, 0
	s_wait_kmcnt 0x0
	s_add_co_i32 s14, s22, -2
	v_cvt_f32_u32_e32 v3, s8
	s_ashr_i32 s15, s14, 31
	s_add_co_i32 s20, s22, -3
	s_lshl_b64 s[12:13], s[14:15], 3
	s_ashr_i32 s23, s22, 31
	s_add_nc_u64 s[12:13], s[28:29], s[12:13]
	v_rcp_iflag_f32_e32 v3, v3
	s_load_b64 s[12:13], s[12:13], 0x8
	s_mul_i32 s24, s3, s2
	s_and_b32 s25, s20, 3
	s_lshl_b64 s[2:3], s[22:23], 3
	s_ashr_i32 s21, s20, 31
	s_and_b32 s14, s14, 3
	s_lshl_b32 s62, s24, 1
	s_cmp_lg_u32 s25, 3
	v_cmp_gt_i64_e64 s33, s[22:23], 2
	s_cselect_b32 s63, -1, 0
	s_cmp_gt_u32 s20, 2
	s_wait_alu 0xfffe
	s_add_nc_u64 s[22:23], s[0:1], s[2:3]
	s_add_nc_u64 s[24:25], s[28:29], s[2:3]
	s_cselect_b32 s64, -1, 0
	s_lshl_b64 s[2:3], s[20:21], 3
	s_mov_b32 s15, 0
	s_wait_alu 0xfffe
	s_add_nc_u64 s[30:31], s[0:1], s[2:3]
	s_add_nc_u64 s[2:3], s[28:29], s[2:3]
	s_mov_b64 s[26:27], s[14:15]
	s_add_nc_u64 s[28:29], s[30:31], 0xd0
	s_wait_kmcnt 0x0
	v_cvt_f32_u32_e32 v4, s12
	s_wait_alu 0xfffe
	s_add_nc_u64 s[30:31], s[2:3], 8
	s_ashr_i32 s36, s9, 31
	s_delay_alu instid0(VALU_DEP_1) | instskip(NEXT) | instid1(TRANS32_DEP_1)
	v_rcp_iflag_f32_e32 v4, v4
	v_dual_mul_f32 v3, 0x4f7ffffe, v3 :: v_dual_mul_f32 v4, 0x4f7ffffe, v4
	s_delay_alu instid0(VALU_DEP_1) | instskip(NEXT) | instid1(VALU_DEP_2)
	v_cvt_u32_f32_e32 v20, v3
	v_cvt_u32_f32_e32 v21, v4
	s_branch .LBB26_3
.LBB26_2:                               ;   in Loop: Header=BB26_3 Depth=1
	s_wait_alu 0xfffe
	s_or_b32 exec_lo, exec_lo, s37
	v_add_co_u32 v0, vcc_lo, v0, s62
	s_wait_alu 0xfffd
	v_add_co_ci_u32_e64 v1, null, 0, v1, vcc_lo
	s_delay_alu instid0(VALU_DEP_1) | instskip(SKIP_1) | instid1(SALU_CYCLE_1)
	v_cmp_le_i64_e32 vcc_lo, s[6:7], v[0:1]
	s_or_b32 s65, vcc_lo, s65
	s_and_not1_b32 exec_lo, exec_lo, s65
	s_cbranch_execz .LBB26_43
.LBB26_3:                               ; =>This Loop Header: Depth=1
                                        ;     Child Loop BB26_17 Depth 2
                                        ;     Child Loop BB26_22 Depth 2
	v_or_b32_e32 v3, s9, v1
                                        ; implicit-def: $vgpr6_vgpr7
	s_mov_b32 s0, exec_lo
	s_delay_alu instid0(VALU_DEP_1)
	v_cmpx_ne_u64_e32 0, v[2:3]
	s_wait_alu 0xfffe
	s_xor_b32 s1, exec_lo, s0
	s_cbranch_execz .LBB26_5
; %bb.4:                                ;   in Loop: Header=BB26_3 Depth=1
	s_mov_b32 s37, s36
	v_ashrrev_i32_e32 v9, 31, v1
	s_wait_alu 0xfffe
	s_add_nc_u64 s[2:3], s[8:9], s[36:37]
	s_wait_alu 0xfffe
	s_xor_b64 s[2:3], s[2:3], s[36:37]
	v_add_co_u32 v3, vcc_lo, v0, v9
	s_wait_alu 0xfffe
	s_cvt_f32_u32 s0, s2
	s_cvt_f32_u32 s14, s3
	s_sub_nc_u64 s[40:41], 0, s[2:3]
	s_wait_alu 0xfffd
	v_add_co_ci_u32_e64 v4, null, v1, v9, vcc_lo
	s_wait_alu 0xfffe
	s_fmamk_f32 s0, s14, 0x4f800000, s0
	v_xor_b32_e32 v10, v3, v9
	s_delay_alu instid0(VALU_DEP_2) | instskip(SKIP_2) | instid1(TRANS32_DEP_1)
	v_xor_b32_e32 v11, v4, v9
	s_wait_alu 0xfffe
	v_s_rcp_f32 s0, s0
	s_mul_f32 s0, s0, 0x5f7ffffc
	s_wait_alu 0xfffe
	s_delay_alu instid0(SALU_CYCLE_2) | instskip(SKIP_1) | instid1(SALU_CYCLE_2)
	s_mul_f32 s14, s0, 0x2f800000
	s_wait_alu 0xfffe
	s_trunc_f32 s14, s14
	s_wait_alu 0xfffe
	s_delay_alu instid0(SALU_CYCLE_2) | instskip(SKIP_2) | instid1(SALU_CYCLE_1)
	s_fmamk_f32 s0, s14, 0xcf800000, s0
	s_cvt_u32_f32 s39, s14
	s_wait_alu 0xfffe
	s_cvt_u32_f32 s38, s0
	s_wait_alu 0xfffe
	s_delay_alu instid0(SALU_CYCLE_2) | instskip(NEXT) | instid1(SALU_CYCLE_1)
	s_mul_u64 s[42:43], s[40:41], s[38:39]
	s_mul_hi_u32 s45, s38, s43
	s_mul_i32 s44, s38, s43
	s_mul_hi_u32 s14, s38, s42
	s_mul_i32 s37, s39, s42
	s_wait_alu 0xfffe
	s_add_nc_u64 s[44:45], s[14:15], s[44:45]
	s_mul_hi_u32 s0, s39, s42
	s_mul_hi_u32 s46, s39, s43
	s_wait_alu 0xfffe
	s_add_co_u32 s14, s44, s37
	s_add_co_ci_u32 s14, s45, s0
	s_mul_i32 s42, s39, s43
	s_add_co_ci_u32 s43, s46, 0
	s_wait_alu 0xfffe
	s_add_nc_u64 s[42:43], s[14:15], s[42:43]
	s_delay_alu instid0(SALU_CYCLE_1)
	s_add_co_u32 s38, s38, s42
	s_cselect_b32 s0, -1, 0
	s_wait_alu 0xfffe
	s_cmp_lg_u32 s0, 0
	s_add_co_ci_u32 s39, s39, s43
	s_wait_alu 0xfffe
	s_mul_u64 s[40:41], s[40:41], s[38:39]
	s_delay_alu instid0(SALU_CYCLE_1)
	s_mul_hi_u32 s43, s38, s41
	s_mul_i32 s42, s38, s41
	s_mul_hi_u32 s14, s38, s40
	s_mul_i32 s37, s39, s40
	s_wait_alu 0xfffe
	s_add_nc_u64 s[42:43], s[14:15], s[42:43]
	s_mul_hi_u32 s0, s39, s40
	s_mul_hi_u32 s44, s39, s41
	s_add_co_u32 s14, s42, s37
	s_wait_alu 0xfffe
	s_add_co_ci_u32 s14, s43, s0
	s_mul_i32 s40, s39, s41
	s_add_co_ci_u32 s41, s44, 0
	s_wait_alu 0xfffe
	s_add_nc_u64 s[40:41], s[14:15], s[40:41]
	s_delay_alu instid0(SALU_CYCLE_1)
	s_add_co_u32 s0, s38, s40
	s_cselect_b32 s14, -1, 0
	s_wait_alu 0xfffe
	v_mul_hi_u32 v12, v10, s0
	s_cmp_lg_u32 s14, 0
	v_mad_co_u64_u32 v[5:6], null, v11, s0, 0
	s_add_co_ci_u32 s14, s39, s41
	s_wait_alu 0xfffe
	v_mad_co_u64_u32 v[3:4], null, v10, s14, 0
	v_mad_co_u64_u32 v[7:8], null, v11, s14, 0
	s_delay_alu instid0(VALU_DEP_2) | instskip(SKIP_1) | instid1(VALU_DEP_3)
	v_add_co_u32 v3, vcc_lo, v12, v3
	s_wait_alu 0xfffd
	v_add_co_ci_u32_e64 v4, null, 0, v4, vcc_lo
	s_delay_alu instid0(VALU_DEP_2) | instskip(SKIP_1) | instid1(VALU_DEP_2)
	v_add_co_u32 v3, vcc_lo, v3, v5
	s_wait_alu 0xfffd
	v_add_co_ci_u32_e32 v3, vcc_lo, v4, v6, vcc_lo
	s_wait_alu 0xfffd
	v_add_co_ci_u32_e32 v4, vcc_lo, 0, v8, vcc_lo
	s_delay_alu instid0(VALU_DEP_2) | instskip(SKIP_1) | instid1(VALU_DEP_2)
	v_add_co_u32 v5, vcc_lo, v3, v7
	s_wait_alu 0xfffd
	v_add_co_ci_u32_e64 v6, null, 0, v4, vcc_lo
	s_delay_alu instid0(VALU_DEP_2) | instskip(SKIP_1) | instid1(VALU_DEP_3)
	v_mul_lo_u32 v7, s3, v5
	v_mad_co_u64_u32 v[3:4], null, s2, v5, 0
	v_mul_lo_u32 v8, s2, v6
	s_delay_alu instid0(VALU_DEP_2) | instskip(NEXT) | instid1(VALU_DEP_2)
	v_sub_co_u32 v3, vcc_lo, v10, v3
	v_add3_u32 v4, v4, v8, v7
	v_add_co_u32 v8, s0, v5, 2
	s_wait_alu 0xf1ff
	v_add_co_ci_u32_e64 v10, null, 0, v6, s0
	s_delay_alu instid0(VALU_DEP_3) | instskip(SKIP_3) | instid1(VALU_DEP_3)
	v_sub_nc_u32_e32 v7, v11, v4
	v_sub_co_u32 v12, s0, v3, s2
	s_wait_alu 0xfffd
	v_sub_co_ci_u32_e64 v4, null, v11, v4, vcc_lo
	v_subrev_co_ci_u32_e64 v7, null, s3, v7, vcc_lo
	s_delay_alu instid0(VALU_DEP_3) | instskip(SKIP_1) | instid1(VALU_DEP_2)
	v_cmp_le_u32_e32 vcc_lo, s2, v12
	s_wait_alu 0xf1ff
	v_subrev_co_ci_u32_e64 v7, null, 0, v7, s0
	s_wait_alu 0xfffd
	v_cndmask_b32_e64 v11, 0, -1, vcc_lo
	s_delay_alu instid0(VALU_DEP_2)
	v_cmp_le_u32_e32 vcc_lo, s3, v7
	s_wait_alu 0xfffd
	v_cndmask_b32_e64 v12, 0, -1, vcc_lo
	v_cmp_le_u32_e32 vcc_lo, s2, v3
	s_wait_alu 0xfffd
	v_cndmask_b32_e64 v3, 0, -1, vcc_lo
	;; [unrolled: 3-line block ×3, first 2 shown]
	v_cmp_eq_u32_e32 vcc_lo, s3, v7
	s_wait_alu 0xfffd
	v_cndmask_b32_e32 v7, v12, v11, vcc_lo
	v_add_co_u32 v11, vcc_lo, v5, 1
	s_wait_alu 0xfffd
	v_add_co_ci_u32_e64 v12, null, 0, v6, vcc_lo
	v_cmp_eq_u32_e32 vcc_lo, s3, v4
	s_wait_alu 0xfffd
	v_cndmask_b32_e32 v3, v13, v3, vcc_lo
	v_cmp_ne_u32_e32 vcc_lo, 0, v7
	v_xor_b32_e32 v7, s36, v9
	s_wait_alu 0xfffd
	v_cndmask_b32_e32 v4, v12, v10, vcc_lo
	v_cmp_ne_u32_e64 s0, 0, v3
	v_cndmask_b32_e32 v3, v11, v8, vcc_lo
	s_wait_alu 0xf1ff
	s_delay_alu instid0(VALU_DEP_2) | instskip(NEXT) | instid1(VALU_DEP_2)
	v_cndmask_b32_e64 v4, v6, v4, s0
	v_cndmask_b32_e64 v3, v5, v3, s0
	s_delay_alu instid0(VALU_DEP_2) | instskip(NEXT) | instid1(VALU_DEP_2)
	v_xor_b32_e32 v4, v4, v7
	v_xor_b32_e32 v3, v3, v7
	s_delay_alu instid0(VALU_DEP_1) | instskip(SKIP_1) | instid1(VALU_DEP_3)
	v_sub_co_u32 v6, vcc_lo, v3, v7
	s_wait_alu 0xfffd
	v_sub_co_ci_u32_e64 v7, null, v4, v7, vcc_lo
.LBB26_5:                               ;   in Loop: Header=BB26_3 Depth=1
	s_wait_alu 0xfffe
	s_and_not1_saveexec_b32 s0, s1
	s_cbranch_execz .LBB26_7
; %bb.6:                                ;   in Loop: Header=BB26_3 Depth=1
	s_sub_co_i32 s1, 0, s8
	v_mov_b32_e32 v7, v2
	s_wait_alu 0xfffe
	v_mul_lo_u32 v3, s1, v20
	s_delay_alu instid0(VALU_DEP_1) | instskip(NEXT) | instid1(VALU_DEP_1)
	v_mul_hi_u32 v3, v20, v3
	v_add_nc_u32_e32 v3, v20, v3
	s_delay_alu instid0(VALU_DEP_1) | instskip(NEXT) | instid1(VALU_DEP_1)
	v_mul_hi_u32 v3, v0, v3
	v_mul_lo_u32 v4, v3, s8
	s_delay_alu instid0(VALU_DEP_1) | instskip(NEXT) | instid1(VALU_DEP_1)
	v_sub_nc_u32_e32 v4, v0, v4
	v_subrev_nc_u32_e32 v6, s8, v4
	v_cmp_le_u32_e32 vcc_lo, s8, v4
	s_wait_alu 0xfffd
	s_delay_alu instid0(VALU_DEP_2) | instskip(NEXT) | instid1(VALU_DEP_1)
	v_dual_cndmask_b32 v4, v4, v6 :: v_dual_add_nc_u32 v5, 1, v3
	v_cndmask_b32_e32 v3, v3, v5, vcc_lo
	s_delay_alu instid0(VALU_DEP_2) | instskip(NEXT) | instid1(VALU_DEP_2)
	v_cmp_le_u32_e32 vcc_lo, s8, v4
	v_add_nc_u32_e32 v5, 1, v3
	s_wait_alu 0xfffd
	s_delay_alu instid0(VALU_DEP_1)
	v_cndmask_b32_e32 v6, v3, v5, vcc_lo
.LBB26_7:                               ;   in Loop: Header=BB26_3 Depth=1
	s_wait_alu 0xfffe
	s_or_b32 exec_lo, exec_lo, s0
	v_or_b32_e32 v3, s13, v7
                                        ; implicit-def: $vgpr8_vgpr9
	s_mov_b32 s0, exec_lo
	s_delay_alu instid0(VALU_DEP_1)
	v_cmpx_ne_u64_e32 0, v[2:3]
	s_wait_alu 0xfffe
	s_xor_b32 s1, exec_lo, s0
	s_cbranch_execz .LBB26_9
; %bb.8:                                ;   in Loop: Header=BB26_3 Depth=1
	s_ashr_i32 s2, s13, 31
	v_ashrrev_i32_e32 v5, 31, v7
	s_wait_alu 0xfffe
	s_mov_b32 s3, s2
	s_wait_alu 0xfffe
	s_add_nc_u64 s[38:39], s[12:13], s[2:3]
	v_add_co_u32 v3, vcc_lo, v6, v5
	s_wait_alu 0xfffe
	s_xor_b64 s[38:39], s[38:39], s[2:3]
	s_wait_alu 0xfffd
	v_add_co_ci_u32_e64 v4, null, v7, v5, vcc_lo
	s_wait_alu 0xfffe
	s_cvt_f32_u32 s0, s38
	s_cvt_f32_u32 s3, s39
	s_sub_nc_u64 s[42:43], 0, s[38:39]
	v_xor_b32_e32 v12, v3, v5
	v_xor_b32_e32 v13, v4, v5
	s_wait_alu 0xfffe
	s_fmamk_f32 s0, s3, 0x4f800000, s0
	v_xor_b32_e32 v5, s2, v5
	s_wait_alu 0xfffe
	s_delay_alu instid0(SALU_CYCLE_1) | instskip(NEXT) | instid1(TRANS32_DEP_1)
	v_s_rcp_f32 s0, s0
	s_mul_f32 s0, s0, 0x5f7ffffc
	s_wait_alu 0xfffe
	s_delay_alu instid0(SALU_CYCLE_2) | instskip(SKIP_1) | instid1(SALU_CYCLE_2)
	s_mul_f32 s3, s0, 0x2f800000
	s_wait_alu 0xfffe
	s_trunc_f32 s3, s3
	s_wait_alu 0xfffe
	s_delay_alu instid0(SALU_CYCLE_2) | instskip(SKIP_2) | instid1(SALU_CYCLE_1)
	s_fmamk_f32 s0, s3, 0xcf800000, s0
	s_cvt_u32_f32 s41, s3
	s_wait_alu 0xfffe
	s_cvt_u32_f32 s40, s0
	s_delay_alu instid0(SALU_CYCLE_3)
	s_mul_u64 s[44:45], s[42:43], s[40:41]
	s_wait_alu 0xfffe
	s_mul_hi_u32 s47, s40, s45
	s_mul_i32 s46, s40, s45
	s_mul_hi_u32 s14, s40, s44
	s_mul_i32 s3, s41, s44
	s_wait_alu 0xfffe
	s_add_nc_u64 s[46:47], s[14:15], s[46:47]
	s_mul_hi_u32 s0, s41, s44
	s_mul_hi_u32 s37, s41, s45
	s_wait_alu 0xfffe
	s_add_co_u32 s3, s46, s3
	s_add_co_ci_u32 s14, s47, s0
	s_mul_i32 s44, s41, s45
	s_add_co_ci_u32 s45, s37, 0
	s_wait_alu 0xfffe
	s_add_nc_u64 s[44:45], s[14:15], s[44:45]
	s_wait_alu 0xfffe
	s_add_co_u32 s40, s40, s44
	s_cselect_b32 s0, -1, 0
	s_wait_alu 0xfffe
	s_cmp_lg_u32 s0, 0
	s_add_co_ci_u32 s41, s41, s45
	s_delay_alu instid0(SALU_CYCLE_1) | instskip(NEXT) | instid1(SALU_CYCLE_1)
	s_mul_u64 s[42:43], s[42:43], s[40:41]
	s_mul_hi_u32 s45, s40, s43
	s_mul_i32 s44, s40, s43
	s_mul_hi_u32 s14, s40, s42
	s_mul_i32 s3, s41, s42
	s_wait_alu 0xfffe
	s_add_nc_u64 s[44:45], s[14:15], s[44:45]
	s_mul_hi_u32 s0, s41, s42
	s_mul_hi_u32 s37, s41, s43
	s_wait_alu 0xfffe
	s_add_co_u32 s3, s44, s3
	s_add_co_ci_u32 s14, s45, s0
	s_mul_i32 s42, s41, s43
	s_add_co_ci_u32 s43, s37, 0
	s_wait_alu 0xfffe
	s_add_nc_u64 s[42:43], s[14:15], s[42:43]
	s_delay_alu instid0(SALU_CYCLE_1)
	s_add_co_u32 s0, s40, s42
	s_cselect_b32 s3, -1, 0
	s_wait_alu 0xfffe
	v_mul_hi_u32 v14, v12, s0
	s_cmp_lg_u32 s3, 0
	v_mad_co_u64_u32 v[8:9], null, v13, s0, 0
	s_add_co_ci_u32 s3, s41, s43
	s_wait_alu 0xfffe
	v_mad_co_u64_u32 v[3:4], null, v12, s3, 0
	v_mad_co_u64_u32 v[10:11], null, v13, s3, 0
	s_delay_alu instid0(VALU_DEP_2) | instskip(SKIP_1) | instid1(VALU_DEP_3)
	v_add_co_u32 v3, vcc_lo, v14, v3
	s_wait_alu 0xfffd
	v_add_co_ci_u32_e64 v4, null, 0, v4, vcc_lo
	s_delay_alu instid0(VALU_DEP_2) | instskip(SKIP_1) | instid1(VALU_DEP_2)
	v_add_co_u32 v3, vcc_lo, v3, v8
	s_wait_alu 0xfffd
	v_add_co_ci_u32_e32 v3, vcc_lo, v4, v9, vcc_lo
	s_wait_alu 0xfffd
	v_add_co_ci_u32_e32 v4, vcc_lo, 0, v11, vcc_lo
	s_delay_alu instid0(VALU_DEP_2) | instskip(SKIP_1) | instid1(VALU_DEP_2)
	v_add_co_u32 v8, vcc_lo, v3, v10
	s_wait_alu 0xfffd
	v_add_co_ci_u32_e64 v9, null, 0, v4, vcc_lo
	s_delay_alu instid0(VALU_DEP_2) | instskip(SKIP_1) | instid1(VALU_DEP_3)
	v_mul_lo_u32 v10, s39, v8
	v_mad_co_u64_u32 v[3:4], null, s38, v8, 0
	v_mul_lo_u32 v11, s38, v9
	s_delay_alu instid0(VALU_DEP_2) | instskip(NEXT) | instid1(VALU_DEP_2)
	v_sub_co_u32 v3, vcc_lo, v12, v3
	v_add3_u32 v4, v4, v11, v10
	v_add_co_u32 v11, s0, v8, 2
	s_wait_alu 0xf1ff
	v_add_co_ci_u32_e64 v12, null, 0, v9, s0
	s_delay_alu instid0(VALU_DEP_3) | instskip(SKIP_3) | instid1(VALU_DEP_3)
	v_sub_nc_u32_e32 v10, v13, v4
	v_sub_co_u32 v14, s0, v3, s38
	s_wait_alu 0xfffd
	v_sub_co_ci_u32_e64 v4, null, v13, v4, vcc_lo
	v_subrev_co_ci_u32_e64 v10, null, s39, v10, vcc_lo
	s_delay_alu instid0(VALU_DEP_3) | instskip(SKIP_1) | instid1(VALU_DEP_2)
	v_cmp_le_u32_e32 vcc_lo, s38, v14
	s_wait_alu 0xf1ff
	v_subrev_co_ci_u32_e64 v10, null, 0, v10, s0
	s_wait_alu 0xfffd
	v_cndmask_b32_e64 v13, 0, -1, vcc_lo
	s_delay_alu instid0(VALU_DEP_2)
	v_cmp_le_u32_e32 vcc_lo, s39, v10
	s_wait_alu 0xfffd
	v_cndmask_b32_e64 v14, 0, -1, vcc_lo
	v_cmp_le_u32_e32 vcc_lo, s38, v3
	s_wait_alu 0xfffd
	v_cndmask_b32_e64 v3, 0, -1, vcc_lo
	;; [unrolled: 3-line block ×3, first 2 shown]
	v_cmp_eq_u32_e32 vcc_lo, s39, v10
	s_wait_alu 0xfffd
	v_cndmask_b32_e32 v10, v14, v13, vcc_lo
	v_add_co_u32 v13, vcc_lo, v8, 1
	s_wait_alu 0xfffd
	v_add_co_ci_u32_e64 v14, null, 0, v9, vcc_lo
	v_cmp_eq_u32_e32 vcc_lo, s39, v4
	s_wait_alu 0xfffd
	v_cndmask_b32_e32 v3, v15, v3, vcc_lo
	v_cmp_ne_u32_e32 vcc_lo, 0, v10
	s_delay_alu instid0(VALU_DEP_2) | instskip(SKIP_3) | instid1(VALU_DEP_1)
	v_cmp_ne_u32_e64 s0, 0, v3
	s_wait_alu 0xfffd
	v_dual_cndmask_b32 v4, v14, v12 :: v_dual_cndmask_b32 v3, v13, v11
	s_wait_alu 0xf1ff
	v_cndmask_b32_e64 v4, v9, v4, s0
	s_delay_alu instid0(VALU_DEP_2) | instskip(NEXT) | instid1(VALU_DEP_2)
	v_cndmask_b32_e64 v3, v8, v3, s0
	v_xor_b32_e32 v4, v4, v5
	s_delay_alu instid0(VALU_DEP_2) | instskip(NEXT) | instid1(VALU_DEP_1)
	v_xor_b32_e32 v3, v3, v5
	v_sub_co_u32 v8, vcc_lo, v3, v5
	s_wait_alu 0xfffd
	s_delay_alu instid0(VALU_DEP_3)
	v_sub_co_ci_u32_e64 v9, null, v4, v5, vcc_lo
.LBB26_9:                               ;   in Loop: Header=BB26_3 Depth=1
	s_wait_alu 0xfffe
	s_and_not1_saveexec_b32 s0, s1
	s_cbranch_execz .LBB26_11
; %bb.10:                               ;   in Loop: Header=BB26_3 Depth=1
	s_sub_co_i32 s1, 0, s12
	v_mov_b32_e32 v9, v2
	s_wait_alu 0xfffe
	v_mul_lo_u32 v3, s1, v21
	s_delay_alu instid0(VALU_DEP_1) | instskip(NEXT) | instid1(VALU_DEP_1)
	v_mul_hi_u32 v3, v21, v3
	v_add_nc_u32_e32 v3, v21, v3
	s_delay_alu instid0(VALU_DEP_1) | instskip(NEXT) | instid1(VALU_DEP_1)
	v_mul_hi_u32 v3, v6, v3
	v_mul_lo_u32 v4, v3, s12
	v_add_nc_u32_e32 v5, 1, v3
	s_delay_alu instid0(VALU_DEP_2) | instskip(NEXT) | instid1(VALU_DEP_1)
	v_sub_nc_u32_e32 v4, v6, v4
	v_subrev_nc_u32_e32 v8, s12, v4
	v_cmp_le_u32_e32 vcc_lo, s12, v4
	s_wait_alu 0xfffd
	s_delay_alu instid0(VALU_DEP_2) | instskip(NEXT) | instid1(VALU_DEP_1)
	v_dual_cndmask_b32 v4, v4, v8 :: v_dual_cndmask_b32 v3, v3, v5
	v_cmp_le_u32_e32 vcc_lo, s12, v4
	s_delay_alu instid0(VALU_DEP_2) | instskip(SKIP_1) | instid1(VALU_DEP_1)
	v_add_nc_u32_e32 v5, 1, v3
	s_wait_alu 0xfffd
	v_cndmask_b32_e32 v8, v3, v5, vcc_lo
.LBB26_11:                              ;   in Loop: Header=BB26_3 Depth=1
	s_wait_alu 0xfffe
	s_or_b32 exec_lo, exec_lo, s0
	v_mul_lo_u32 v5, v7, s8
	v_mul_lo_u32 v12, v6, s9
	v_mad_co_u64_u32 v[3:4], null, v6, s8, 0
	v_mul_lo_u32 v13, v9, s12
	v_mul_lo_u32 v14, v8, s13
	v_mad_co_u64_u32 v[10:11], null, v8, s12, 0
	s_mov_b32 s37, exec_lo
	v_add3_u32 v5, v4, v12, v5
	v_sub_co_u32 v4, vcc_lo, v0, v3
	v_add3_u32 v11, v11, v14, v13
	s_wait_alu 0xfffd
	s_delay_alu instid0(VALU_DEP_3) | instskip(SKIP_3) | instid1(VALU_DEP_2)
	v_sub_co_ci_u32_e64 v5, null, v1, v5, vcc_lo
	v_sub_co_u32 v22, vcc_lo, v6, v10
	s_wait_alu 0xfffd
	v_sub_co_ci_u32_e64 v23, null, v7, v11, vcc_lo
	v_sub_co_u32 v6, vcc_lo, v4, v22
	s_wait_alu 0xfffd
	s_delay_alu instid0(VALU_DEP_2) | instskip(NEXT) | instid1(VALU_DEP_2)
	v_sub_co_ci_u32_e64 v7, null, v5, v23, vcc_lo
	v_add_co_u32 v10, vcc_lo, v6, 2
	s_wait_alu 0xfffd
	s_delay_alu instid0(VALU_DEP_2) | instskip(NEXT) | instid1(VALU_DEP_1)
	v_add_co_ci_u32_e64 v11, null, 0, v7, vcc_lo
	v_cmpx_lt_i64_e64 s[4:5], v[10:11]
	s_cbranch_execz .LBB26_2
; %bb.12:                               ;   in Loop: Header=BB26_3 Depth=1
	s_load_b128 s[0:3], s[22:23], 0xc0
	s_and_not1_b32 vcc_lo, exec_lo, s33
	s_wait_kmcnt 0x0
	v_mul_lo_u32 v3, s3, v4
	v_mul_lo_u32 v12, s2, v5
	v_mad_co_u64_u32 v[10:11], null, s2, v4, 0
	s_delay_alu instid0(VALU_DEP_1) | instskip(SKIP_2) | instid1(VALU_DEP_3)
	v_add3_u32 v11, v11, v12, v3
	v_mul_lo_u32 v3, s0, v23
	v_mul_lo_u32 v12, s1, v22
	v_mad_co_u64_u32 v[10:11], null, s0, v22, v[10:11]
	s_delay_alu instid0(VALU_DEP_1)
	v_add3_u32 v11, v12, v11, v3
	s_wait_alu 0xfffe
	s_cbranch_vccnz .LBB26_38
; %bb.13:                               ;   in Loop: Header=BB26_3 Depth=1
	s_mov_b64 s[38:39], s[26:27]
	s_mov_b64 s[40:41], s[30:31]
	s_and_not1_b32 vcc_lo, exec_lo, s63
	s_mov_b64 s[44:45], s[28:29]
	s_mov_b64 s[42:43], s[20:21]
	s_wait_alu 0xfffe
	s_cbranch_vccz .LBB26_17
.LBB26_14:                              ;   in Loop: Header=BB26_3 Depth=1
	s_and_not1_b32 vcc_lo, exec_lo, s64
	s_wait_alu 0xfffe
	s_cbranch_vccnz .LBB26_38
; %bb.15:                               ;   in Loop: Header=BB26_3 Depth=1
	s_lshl_b64 s[0:1], s[42:43], 3
	s_add_nc_u64 s[42:43], s[42:43], 1
	s_wait_alu 0xfffe
	s_add_nc_u64 s[38:39], s[16:17], s[0:1]
	s_add_nc_u64 s[40:41], s[34:35], s[0:1]
	s_branch .LBB26_22
.LBB26_16:                              ;   in Loop: Header=BB26_17 Depth=2
	s_wait_alu 0xfffe
	s_or_b32 exec_lo, exec_lo, s0
	s_load_b64 s[0:1], s[44:45], 0x0
	v_mul_lo_u32 v3, v13, s46
	v_mul_lo_u32 v16, v12, s47
	v_mad_co_u64_u32 v[14:15], null, v12, s46, 0
	s_add_nc_u64 s[38:39], s[38:39], -1
	s_add_nc_u64 s[42:43], s[42:43], -1
	;; [unrolled: 1-line block ×3, first 2 shown]
	s_wait_alu 0xfffe
	s_cmp_lg_u64 s[38:39], 0
	s_add_nc_u64 s[40:41], s[40:41], -8
	v_add3_u32 v3, v15, v16, v3
	v_sub_co_u32 v8, vcc_lo, v8, v14
	s_wait_alu 0xfffd
	s_delay_alu instid0(VALU_DEP_2) | instskip(SKIP_1) | instid1(VALU_DEP_2)
	v_sub_co_ci_u32_e64 v3, null, v9, v3, vcc_lo
	s_wait_kmcnt 0x0
	v_mul_lo_u32 v9, s1, v8
	s_delay_alu instid0(VALU_DEP_2) | instskip(SKIP_1) | instid1(VALU_DEP_1)
	v_mul_lo_u32 v3, s0, v3
	v_mad_co_u64_u32 v[10:11], null, s0, v8, v[10:11]
	v_add3_u32 v11, v9, v11, v3
	v_dual_mov_b32 v8, v12 :: v_dual_mov_b32 v9, v13
	s_cbranch_scc0 .LBB26_14
.LBB26_17:                              ;   Parent Loop BB26_3 Depth=1
                                        ; =>  This Inner Loop Header: Depth=2
	s_load_b64 s[46:47], s[40:41], 0x0
                                        ; implicit-def: $vgpr12_vgpr13
	s_mov_b32 s0, exec_lo
	s_wait_kmcnt 0x0
	v_or_b32_e32 v3, s47, v9
	s_delay_alu instid0(VALU_DEP_1)
	v_cmpx_ne_u64_e32 0, v[2:3]
	s_wait_alu 0xfffe
	s_xor_b32 s1, exec_lo, s0
	s_cbranch_execz .LBB26_19
; %bb.18:                               ;   in Loop: Header=BB26_17 Depth=2
	s_ashr_i32 s48, s47, 31
	v_ashrrev_i32_e32 v3, 31, v9
	s_wait_alu 0xfffe
	s_mov_b32 s49, s48
	s_wait_alu 0xfffe
	s_add_nc_u64 s[50:51], s[46:47], s[48:49]
	v_add_co_u32 v12, vcc_lo, v8, v3
	s_wait_alu 0xfffe
	s_xor_b64 s[50:51], s[50:51], s[48:49]
	s_wait_alu 0xfffd
	v_add_co_ci_u32_e64 v13, null, v9, v3, vcc_lo
	s_wait_alu 0xfffe
	s_cvt_f32_u32 s0, s50
	s_cvt_f32_u32 s14, s51
	s_sub_nc_u64 s[54:55], 0, s[50:51]
	v_xor_b32_e32 v18, v12, v3
	v_xor_b32_e32 v19, v13, v3
	s_wait_alu 0xfffe
	s_fmamk_f32 s0, s14, 0x4f800000, s0
	v_xor_b32_e32 v3, s48, v3
	s_wait_alu 0xfffe
	s_delay_alu instid0(SALU_CYCLE_1) | instskip(NEXT) | instid1(TRANS32_DEP_1)
	v_s_rcp_f32 s0, s0
	s_mul_f32 s0, s0, 0x5f7ffffc
	s_wait_alu 0xfffe
	s_delay_alu instid0(SALU_CYCLE_2) | instskip(SKIP_1) | instid1(SALU_CYCLE_2)
	s_mul_f32 s14, s0, 0x2f800000
	s_wait_alu 0xfffe
	s_trunc_f32 s14, s14
	s_wait_alu 0xfffe
	s_delay_alu instid0(SALU_CYCLE_2) | instskip(SKIP_2) | instid1(SALU_CYCLE_1)
	s_fmamk_f32 s0, s14, 0xcf800000, s0
	s_cvt_u32_f32 s53, s14
	s_wait_alu 0xfffe
	s_cvt_u32_f32 s52, s0
	s_wait_alu 0xfffe
	s_delay_alu instid0(SALU_CYCLE_2)
	s_mul_u64 s[56:57], s[54:55], s[52:53]
	s_wait_alu 0xfffe
	s_mul_hi_u32 s59, s52, s57
	s_mul_i32 s58, s52, s57
	s_mul_hi_u32 s14, s52, s56
	s_mul_i32 s49, s53, s56
	s_wait_alu 0xfffe
	s_add_nc_u64 s[58:59], s[14:15], s[58:59]
	s_mul_hi_u32 s0, s53, s56
	s_mul_hi_u32 s60, s53, s57
	s_wait_alu 0xfffe
	s_add_co_u32 s14, s58, s49
	s_add_co_ci_u32 s14, s59, s0
	s_mul_i32 s56, s53, s57
	s_add_co_ci_u32 s57, s60, 0
	s_wait_alu 0xfffe
	s_add_nc_u64 s[56:57], s[14:15], s[56:57]
	s_wait_alu 0xfffe
	s_add_co_u32 s52, s52, s56
	s_cselect_b32 s0, -1, 0
	s_wait_alu 0xfffe
	s_cmp_lg_u32 s0, 0
	s_add_co_ci_u32 s53, s53, s57
	s_wait_alu 0xfffe
	s_mul_u64 s[54:55], s[54:55], s[52:53]
	s_wait_alu 0xfffe
	s_mul_hi_u32 s57, s52, s55
	s_mul_i32 s56, s52, s55
	s_mul_hi_u32 s14, s52, s54
	s_mul_i32 s49, s53, s54
	s_wait_alu 0xfffe
	s_add_nc_u64 s[56:57], s[14:15], s[56:57]
	s_mul_hi_u32 s0, s53, s54
	s_mul_hi_u32 s58, s53, s55
	s_wait_alu 0xfffe
	s_add_co_u32 s14, s56, s49
	s_add_co_ci_u32 s14, s57, s0
	s_mul_i32 s54, s53, s55
	s_add_co_ci_u32 s55, s58, 0
	s_wait_alu 0xfffe
	s_add_nc_u64 s[54:55], s[14:15], s[54:55]
	s_wait_alu 0xfffe
	s_add_co_u32 s0, s52, s54
	s_cselect_b32 s14, -1, 0
	s_wait_alu 0xfffe
	v_mul_hi_u32 v24, v18, s0
	s_cmp_lg_u32 s14, 0
	v_mad_co_u64_u32 v[14:15], null, v19, s0, 0
	s_add_co_ci_u32 s14, s53, s55
	s_wait_alu 0xfffe
	v_mad_co_u64_u32 v[12:13], null, v18, s14, 0
	v_mad_co_u64_u32 v[16:17], null, v19, s14, 0
	s_delay_alu instid0(VALU_DEP_2) | instskip(SKIP_1) | instid1(VALU_DEP_3)
	v_add_co_u32 v12, vcc_lo, v24, v12
	s_wait_alu 0xfffd
	v_add_co_ci_u32_e64 v13, null, 0, v13, vcc_lo
	s_delay_alu instid0(VALU_DEP_2) | instskip(SKIP_1) | instid1(VALU_DEP_2)
	v_add_co_u32 v12, vcc_lo, v12, v14
	s_wait_alu 0xfffd
	v_add_co_ci_u32_e32 v12, vcc_lo, v13, v15, vcc_lo
	s_wait_alu 0xfffd
	v_add_co_ci_u32_e32 v13, vcc_lo, 0, v17, vcc_lo
	s_delay_alu instid0(VALU_DEP_2) | instskip(SKIP_1) | instid1(VALU_DEP_2)
	v_add_co_u32 v14, vcc_lo, v12, v16
	s_wait_alu 0xfffd
	v_add_co_ci_u32_e64 v15, null, 0, v13, vcc_lo
	s_delay_alu instid0(VALU_DEP_2) | instskip(SKIP_1) | instid1(VALU_DEP_3)
	v_mul_lo_u32 v16, s51, v14
	v_mad_co_u64_u32 v[12:13], null, s50, v14, 0
	v_mul_lo_u32 v17, s50, v15
	s_delay_alu instid0(VALU_DEP_2) | instskip(NEXT) | instid1(VALU_DEP_2)
	v_sub_co_u32 v12, vcc_lo, v18, v12
	v_add3_u32 v13, v13, v17, v16
	v_add_co_u32 v17, s0, v14, 2
	s_wait_alu 0xf1ff
	v_add_co_ci_u32_e64 v18, null, 0, v15, s0
	s_delay_alu instid0(VALU_DEP_3) | instskip(SKIP_3) | instid1(VALU_DEP_3)
	v_sub_nc_u32_e32 v16, v19, v13
	v_sub_co_u32 v24, s0, v12, s50
	s_wait_alu 0xfffd
	v_sub_co_ci_u32_e64 v13, null, v19, v13, vcc_lo
	v_subrev_co_ci_u32_e64 v16, null, s51, v16, vcc_lo
	s_delay_alu instid0(VALU_DEP_3) | instskip(SKIP_1) | instid1(VALU_DEP_2)
	v_cmp_le_u32_e32 vcc_lo, s50, v24
	s_wait_alu 0xf1ff
	v_subrev_co_ci_u32_e64 v16, null, 0, v16, s0
	s_wait_alu 0xfffd
	v_cndmask_b32_e64 v19, 0, -1, vcc_lo
	s_delay_alu instid0(VALU_DEP_2)
	v_cmp_le_u32_e32 vcc_lo, s51, v16
	s_wait_alu 0xfffd
	v_cndmask_b32_e64 v24, 0, -1, vcc_lo
	v_cmp_le_u32_e32 vcc_lo, s50, v12
	s_wait_alu 0xfffd
	v_cndmask_b32_e64 v12, 0, -1, vcc_lo
	;; [unrolled: 3-line block ×3, first 2 shown]
	v_cmp_eq_u32_e32 vcc_lo, s51, v16
	s_wait_alu 0xfffd
	v_cndmask_b32_e32 v16, v24, v19, vcc_lo
	v_add_co_u32 v19, vcc_lo, v14, 1
	s_wait_alu 0xfffd
	v_add_co_ci_u32_e64 v24, null, 0, v15, vcc_lo
	v_cmp_eq_u32_e32 vcc_lo, s51, v13
	s_wait_alu 0xfffd
	v_cndmask_b32_e32 v12, v25, v12, vcc_lo
	v_cmp_ne_u32_e32 vcc_lo, 0, v16
	s_wait_alu 0xfffd
	v_cndmask_b32_e32 v13, v24, v18, vcc_lo
	s_delay_alu instid0(VALU_DEP_3) | instskip(SKIP_2) | instid1(VALU_DEP_2)
	v_cmp_ne_u32_e64 s0, 0, v12
	v_cndmask_b32_e32 v12, v19, v17, vcc_lo
	s_wait_alu 0xf1ff
	v_cndmask_b32_e64 v13, v15, v13, s0
	s_delay_alu instid0(VALU_DEP_2) | instskip(NEXT) | instid1(VALU_DEP_2)
	v_cndmask_b32_e64 v12, v14, v12, s0
	v_xor_b32_e32 v13, v13, v3
	s_delay_alu instid0(VALU_DEP_2) | instskip(NEXT) | instid1(VALU_DEP_1)
	v_xor_b32_e32 v12, v12, v3
	v_sub_co_u32 v12, vcc_lo, v12, v3
	s_wait_alu 0xfffd
	s_delay_alu instid0(VALU_DEP_3)
	v_sub_co_ci_u32_e64 v13, null, v13, v3, vcc_lo
.LBB26_19:                              ;   in Loop: Header=BB26_17 Depth=2
	s_wait_alu 0xfffe
	s_and_not1_saveexec_b32 s0, s1
	s_cbranch_execz .LBB26_16
; %bb.20:                               ;   in Loop: Header=BB26_17 Depth=2
	v_cvt_f32_u32_e32 v3, s46
	s_sub_co_i32 s1, 0, s46
	s_delay_alu instid0(VALU_DEP_1) | instskip(NEXT) | instid1(TRANS32_DEP_1)
	v_rcp_iflag_f32_e32 v3, v3
	v_mul_f32_e32 v3, 0x4f7ffffe, v3
	s_delay_alu instid0(VALU_DEP_1) | instskip(SKIP_1) | instid1(VALU_DEP_1)
	v_cvt_u32_f32_e32 v3, v3
	s_wait_alu 0xfffe
	v_mul_lo_u32 v12, s1, v3
	s_delay_alu instid0(VALU_DEP_1) | instskip(NEXT) | instid1(VALU_DEP_1)
	v_mul_hi_u32 v12, v3, v12
	v_add_nc_u32_e32 v3, v3, v12
	s_delay_alu instid0(VALU_DEP_1) | instskip(NEXT) | instid1(VALU_DEP_1)
	v_mul_hi_u32 v3, v8, v3
	v_mul_lo_u32 v12, v3, s46
	v_add_nc_u32_e32 v13, 1, v3
	s_delay_alu instid0(VALU_DEP_2) | instskip(NEXT) | instid1(VALU_DEP_1)
	v_sub_nc_u32_e32 v12, v8, v12
	v_subrev_nc_u32_e32 v14, s46, v12
	v_cmp_le_u32_e32 vcc_lo, s46, v12
	s_wait_alu 0xfffd
	s_delay_alu instid0(VALU_DEP_2) | instskip(NEXT) | instid1(VALU_DEP_1)
	v_dual_cndmask_b32 v12, v12, v14 :: v_dual_cndmask_b32 v3, v3, v13
	v_cmp_le_u32_e32 vcc_lo, s46, v12
	s_delay_alu instid0(VALU_DEP_2) | instskip(SKIP_1) | instid1(VALU_DEP_1)
	v_add_nc_u32_e32 v13, 1, v3
	s_wait_alu 0xfffd
	v_dual_cndmask_b32 v12, v3, v13 :: v_dual_mov_b32 v13, v2
	s_branch .LBB26_16
.LBB26_21:                              ;   in Loop: Header=BB26_22 Depth=2
	s_wait_alu 0xfffe
	s_or_b32 exec_lo, exec_lo, s0
	v_mul_lo_u32 v3, v13, s44
	v_mul_lo_u32 v28, v12, s45
	v_mad_co_u64_u32 v[24:25], null, v12, s44, 0
	v_mul_lo_u32 v29, v15, s48
	v_mul_lo_u32 v30, v14, s49
	v_mad_co_u64_u32 v[26:27], null, v14, s48, 0
	s_load_b64 s[0:1], s[38:39], 0x0
	s_add_nc_u64 s[42:43], s[42:43], -4
	v_add3_u32 v3, v25, v28, v3
	v_sub_co_u32 v8, vcc_lo, v8, v24
	v_mul_lo_u32 v24, v17, s52
	v_add3_u32 v25, v27, v30, v29
	s_wait_alu 0xfffd
	v_sub_co_ci_u32_e64 v3, null, v9, v3, vcc_lo
	v_mul_lo_u32 v27, s47, v8
	v_mad_co_u64_u32 v[8:9], null, s46, v8, v[10:11]
	s_delay_alu instid0(VALU_DEP_3)
	v_mul_lo_u32 v3, s46, v3
	v_mul_lo_u32 v28, v16, s53
	v_mad_co_u64_u32 v[10:11], null, v16, s52, 0
	v_sub_co_u32 v12, vcc_lo, v12, v26
	s_wait_alu 0xfffd
	v_sub_co_ci_u32_e64 v13, null, v13, v25, vcc_lo
	v_add3_u32 v9, v27, v9, v3
	s_add_nc_u64 s[38:39], s[38:39], s[18:19]
	s_delay_alu instid0(VALU_DEP_4)
	v_add3_u32 v3, v11, v28, v24
	v_mul_lo_u32 v24, s51, v12
	v_mul_lo_u32 v13, s50, v13
	v_mad_co_u64_u32 v[8:9], null, s50, v12, v[8:9]
	v_sub_co_u32 v12, vcc_lo, v14, v10
	s_wait_alu 0xfffd
	v_sub_co_ci_u32_e64 v3, null, v15, v3, vcc_lo
	v_mul_lo_u32 v14, v19, s56
	v_mul_lo_u32 v15, v18, s57
	v_mad_co_u64_u32 v[10:11], null, v18, s56, 0
	v_add3_u32 v9, v24, v9, v13
	v_mul_lo_u32 v3, s54, v3
	s_cmp_eq_u64 s[42:43], 0
	s_add_nc_u64 s[40:41], s[40:41], s[18:19]
	s_delay_alu instid0(VALU_DEP_2) | instskip(SKIP_4) | instid1(VALU_DEP_2)
	v_mad_co_u64_u32 v[8:9], null, s54, v12, v[8:9]
	v_mul_lo_u32 v12, s55, v12
	v_add3_u32 v11, v11, v15, v14
	v_sub_co_u32 v10, vcc_lo, v16, v10
	s_wait_alu 0xfffd
	v_sub_co_ci_u32_e64 v11, null, v17, v11, vcc_lo
	s_delay_alu instid0(VALU_DEP_4) | instskip(SKIP_2) | instid1(VALU_DEP_3)
	v_add3_u32 v9, v12, v9, v3
	s_wait_kmcnt 0x0
	v_mul_lo_u32 v12, s1, v10
	v_mul_lo_u32 v3, s0, v11
	s_delay_alu instid0(VALU_DEP_3) | instskip(SKIP_1) | instid1(VALU_DEP_2)
	v_mad_co_u64_u32 v[10:11], null, s0, v10, v[8:9]
	v_dual_mov_b32 v8, v18 :: v_dual_mov_b32 v9, v19
	v_add3_u32 v11, v12, v11, v3
	s_cbranch_scc1 .LBB26_38
.LBB26_22:                              ;   Parent Loop BB26_3 Depth=1
                                        ; =>  This Inner Loop Header: Depth=2
	s_load_b64 s[44:45], s[40:41], 0x18
                                        ; implicit-def: $vgpr12_vgpr13
	s_mov_b32 s0, exec_lo
	s_wait_kmcnt 0x0
	v_or_b32_e32 v3, s45, v9
	s_delay_alu instid0(VALU_DEP_1)
	v_cmpx_ne_u64_e32 0, v[2:3]
	s_wait_alu 0xfffe
	s_xor_b32 s1, exec_lo, s0
	s_cbranch_execz .LBB26_24
; %bb.23:                               ;   in Loop: Header=BB26_22 Depth=2
	s_ashr_i32 s46, s45, 31
	v_ashrrev_i32_e32 v3, 31, v9
	s_wait_alu 0xfffe
	s_mov_b32 s47, s46
	s_wait_alu 0xfffe
	s_add_nc_u64 s[48:49], s[44:45], s[46:47]
	v_add_co_u32 v12, vcc_lo, v8, v3
	s_wait_alu 0xfffe
	s_xor_b64 s[48:49], s[48:49], s[46:47]
	s_wait_alu 0xfffd
	v_add_co_ci_u32_e64 v13, null, v9, v3, vcc_lo
	s_wait_alu 0xfffe
	s_cvt_f32_u32 s0, s48
	s_cvt_f32_u32 s14, s49
	s_sub_nc_u64 s[52:53], 0, s[48:49]
	v_xor_b32_e32 v18, v12, v3
	v_xor_b32_e32 v19, v13, v3
	s_wait_alu 0xfffe
	s_fmamk_f32 s0, s14, 0x4f800000, s0
	v_xor_b32_e32 v3, s46, v3
	s_wait_alu 0xfffe
	s_delay_alu instid0(SALU_CYCLE_1) | instskip(NEXT) | instid1(TRANS32_DEP_1)
	v_s_rcp_f32 s0, s0
	s_mul_f32 s0, s0, 0x5f7ffffc
	s_wait_alu 0xfffe
	s_delay_alu instid0(SALU_CYCLE_2) | instskip(SKIP_1) | instid1(SALU_CYCLE_2)
	s_mul_f32 s14, s0, 0x2f800000
	s_wait_alu 0xfffe
	s_trunc_f32 s14, s14
	s_wait_alu 0xfffe
	s_delay_alu instid0(SALU_CYCLE_2) | instskip(SKIP_2) | instid1(SALU_CYCLE_1)
	s_fmamk_f32 s0, s14, 0xcf800000, s0
	s_cvt_u32_f32 s51, s14
	s_wait_alu 0xfffe
	s_cvt_u32_f32 s50, s0
	s_wait_alu 0xfffe
	s_delay_alu instid0(SALU_CYCLE_2)
	s_mul_u64 s[54:55], s[52:53], s[50:51]
	s_wait_alu 0xfffe
	s_mul_hi_u32 s57, s50, s55
	s_mul_i32 s56, s50, s55
	s_mul_hi_u32 s14, s50, s54
	s_mul_i32 s47, s51, s54
	s_wait_alu 0xfffe
	s_add_nc_u64 s[56:57], s[14:15], s[56:57]
	s_mul_hi_u32 s0, s51, s54
	s_mul_hi_u32 s58, s51, s55
	s_wait_alu 0xfffe
	s_add_co_u32 s14, s56, s47
	s_add_co_ci_u32 s14, s57, s0
	s_mul_i32 s54, s51, s55
	s_add_co_ci_u32 s55, s58, 0
	s_wait_alu 0xfffe
	s_add_nc_u64 s[54:55], s[14:15], s[54:55]
	s_wait_alu 0xfffe
	s_add_co_u32 s50, s50, s54
	s_cselect_b32 s0, -1, 0
	s_wait_alu 0xfffe
	s_cmp_lg_u32 s0, 0
	s_add_co_ci_u32 s51, s51, s55
	s_wait_alu 0xfffe
	s_mul_u64 s[52:53], s[52:53], s[50:51]
	s_wait_alu 0xfffe
	s_mul_hi_u32 s55, s50, s53
	s_mul_i32 s54, s50, s53
	s_mul_hi_u32 s14, s50, s52
	s_mul_i32 s47, s51, s52
	s_wait_alu 0xfffe
	s_add_nc_u64 s[54:55], s[14:15], s[54:55]
	s_mul_hi_u32 s0, s51, s52
	s_mul_hi_u32 s56, s51, s53
	s_wait_alu 0xfffe
	s_add_co_u32 s14, s54, s47
	s_add_co_ci_u32 s14, s55, s0
	s_mul_i32 s52, s51, s53
	s_add_co_ci_u32 s53, s56, 0
	s_wait_alu 0xfffe
	s_add_nc_u64 s[52:53], s[14:15], s[52:53]
	s_wait_alu 0xfffe
	s_add_co_u32 s0, s50, s52
	s_cselect_b32 s14, -1, 0
	s_wait_alu 0xfffe
	v_mul_hi_u32 v24, v18, s0
	s_cmp_lg_u32 s14, 0
	v_mad_co_u64_u32 v[14:15], null, v19, s0, 0
	s_add_co_ci_u32 s14, s51, s53
	s_wait_alu 0xfffe
	v_mad_co_u64_u32 v[12:13], null, v18, s14, 0
	v_mad_co_u64_u32 v[16:17], null, v19, s14, 0
	s_delay_alu instid0(VALU_DEP_2) | instskip(SKIP_1) | instid1(VALU_DEP_3)
	v_add_co_u32 v12, vcc_lo, v24, v12
	s_wait_alu 0xfffd
	v_add_co_ci_u32_e64 v13, null, 0, v13, vcc_lo
	s_delay_alu instid0(VALU_DEP_2) | instskip(SKIP_1) | instid1(VALU_DEP_2)
	v_add_co_u32 v12, vcc_lo, v12, v14
	s_wait_alu 0xfffd
	v_add_co_ci_u32_e32 v12, vcc_lo, v13, v15, vcc_lo
	s_wait_alu 0xfffd
	v_add_co_ci_u32_e32 v13, vcc_lo, 0, v17, vcc_lo
	s_delay_alu instid0(VALU_DEP_2) | instskip(SKIP_1) | instid1(VALU_DEP_2)
	v_add_co_u32 v14, vcc_lo, v12, v16
	s_wait_alu 0xfffd
	v_add_co_ci_u32_e64 v15, null, 0, v13, vcc_lo
	s_delay_alu instid0(VALU_DEP_2) | instskip(SKIP_1) | instid1(VALU_DEP_3)
	v_mul_lo_u32 v16, s49, v14
	v_mad_co_u64_u32 v[12:13], null, s48, v14, 0
	v_mul_lo_u32 v17, s48, v15
	s_delay_alu instid0(VALU_DEP_2) | instskip(NEXT) | instid1(VALU_DEP_2)
	v_sub_co_u32 v12, vcc_lo, v18, v12
	v_add3_u32 v13, v13, v17, v16
	v_add_co_u32 v17, s0, v14, 2
	s_wait_alu 0xf1ff
	v_add_co_ci_u32_e64 v18, null, 0, v15, s0
	s_delay_alu instid0(VALU_DEP_3) | instskip(SKIP_3) | instid1(VALU_DEP_3)
	v_sub_nc_u32_e32 v16, v19, v13
	v_sub_co_u32 v24, s0, v12, s48
	s_wait_alu 0xfffd
	v_sub_co_ci_u32_e64 v13, null, v19, v13, vcc_lo
	v_subrev_co_ci_u32_e64 v16, null, s49, v16, vcc_lo
	s_delay_alu instid0(VALU_DEP_3) | instskip(SKIP_1) | instid1(VALU_DEP_2)
	v_cmp_le_u32_e32 vcc_lo, s48, v24
	s_wait_alu 0xf1ff
	v_subrev_co_ci_u32_e64 v16, null, 0, v16, s0
	s_wait_alu 0xfffd
	v_cndmask_b32_e64 v19, 0, -1, vcc_lo
	s_delay_alu instid0(VALU_DEP_2)
	v_cmp_le_u32_e32 vcc_lo, s49, v16
	s_wait_alu 0xfffd
	v_cndmask_b32_e64 v24, 0, -1, vcc_lo
	v_cmp_le_u32_e32 vcc_lo, s48, v12
	s_wait_alu 0xfffd
	v_cndmask_b32_e64 v12, 0, -1, vcc_lo
	v_cmp_le_u32_e32 vcc_lo, s49, v13
	s_wait_alu 0xfffd
	v_cndmask_b32_e64 v25, 0, -1, vcc_lo
	v_cmp_eq_u32_e32 vcc_lo, s49, v16
	s_wait_alu 0xfffd
	v_cndmask_b32_e32 v16, v24, v19, vcc_lo
	v_add_co_u32 v19, vcc_lo, v14, 1
	s_wait_alu 0xfffd
	v_add_co_ci_u32_e64 v24, null, 0, v15, vcc_lo
	v_cmp_eq_u32_e32 vcc_lo, s49, v13
	s_wait_alu 0xfffd
	v_cndmask_b32_e32 v12, v25, v12, vcc_lo
	v_cmp_ne_u32_e32 vcc_lo, 0, v16
	s_wait_alu 0xfffd
	v_cndmask_b32_e32 v13, v24, v18, vcc_lo
	s_delay_alu instid0(VALU_DEP_3) | instskip(SKIP_2) | instid1(VALU_DEP_2)
	v_cmp_ne_u32_e64 s0, 0, v12
	v_cndmask_b32_e32 v12, v19, v17, vcc_lo
	s_wait_alu 0xf1ff
	v_cndmask_b32_e64 v13, v15, v13, s0
	s_delay_alu instid0(VALU_DEP_2) | instskip(NEXT) | instid1(VALU_DEP_2)
	v_cndmask_b32_e64 v12, v14, v12, s0
	v_xor_b32_e32 v13, v13, v3
	s_delay_alu instid0(VALU_DEP_2) | instskip(NEXT) | instid1(VALU_DEP_1)
	v_xor_b32_e32 v12, v12, v3
	v_sub_co_u32 v12, vcc_lo, v12, v3
	s_wait_alu 0xfffd
	s_delay_alu instid0(VALU_DEP_3)
	v_sub_co_ci_u32_e64 v13, null, v13, v3, vcc_lo
.LBB26_24:                              ;   in Loop: Header=BB26_22 Depth=2
	s_wait_alu 0xfffe
	s_and_not1_saveexec_b32 s0, s1
	s_cbranch_execz .LBB26_26
; %bb.25:                               ;   in Loop: Header=BB26_22 Depth=2
	v_cvt_f32_u32_e32 v3, s44
	s_sub_co_i32 s1, 0, s44
	s_delay_alu instid0(VALU_DEP_1) | instskip(NEXT) | instid1(TRANS32_DEP_1)
	v_rcp_iflag_f32_e32 v3, v3
	v_mul_f32_e32 v3, 0x4f7ffffe, v3
	s_delay_alu instid0(VALU_DEP_1) | instskip(SKIP_1) | instid1(VALU_DEP_1)
	v_cvt_u32_f32_e32 v3, v3
	s_wait_alu 0xfffe
	v_mul_lo_u32 v12, s1, v3
	s_delay_alu instid0(VALU_DEP_1) | instskip(NEXT) | instid1(VALU_DEP_1)
	v_mul_hi_u32 v12, v3, v12
	v_add_nc_u32_e32 v3, v3, v12
	s_delay_alu instid0(VALU_DEP_1) | instskip(NEXT) | instid1(VALU_DEP_1)
	v_mul_hi_u32 v3, v8, v3
	v_mul_lo_u32 v12, v3, s44
	v_add_nc_u32_e32 v13, 1, v3
	s_delay_alu instid0(VALU_DEP_2) | instskip(NEXT) | instid1(VALU_DEP_1)
	v_sub_nc_u32_e32 v12, v8, v12
	v_subrev_nc_u32_e32 v14, s44, v12
	v_cmp_le_u32_e32 vcc_lo, s44, v12
	s_wait_alu 0xfffd
	s_delay_alu instid0(VALU_DEP_2) | instskip(NEXT) | instid1(VALU_DEP_1)
	v_dual_cndmask_b32 v12, v12, v14 :: v_dual_cndmask_b32 v3, v3, v13
	v_cmp_le_u32_e32 vcc_lo, s44, v12
	s_delay_alu instid0(VALU_DEP_2) | instskip(SKIP_1) | instid1(VALU_DEP_1)
	v_add_nc_u32_e32 v13, 1, v3
	s_wait_alu 0xfffd
	v_dual_cndmask_b32 v12, v3, v13 :: v_dual_mov_b32 v13, v2
.LBB26_26:                              ;   in Loop: Header=BB26_22 Depth=2
	s_wait_alu 0xfffe
	s_or_b32 exec_lo, exec_lo, s0
	s_load_b64 s[48:49], s[40:41], 0x10
	s_load_b64 s[46:47], s[38:39], 0x18
                                        ; implicit-def: $vgpr14_vgpr15
	s_mov_b32 s0, exec_lo
	s_wait_kmcnt 0x0
	v_or_b32_e32 v3, s49, v13
	s_delay_alu instid0(VALU_DEP_1)
	v_cmpx_ne_u64_e32 0, v[2:3]
	s_wait_alu 0xfffe
	s_xor_b32 s1, exec_lo, s0
	s_cbranch_execz .LBB26_28
; %bb.27:                               ;   in Loop: Header=BB26_22 Depth=2
	s_ashr_i32 s50, s49, 31
	v_ashrrev_i32_e32 v3, 31, v13
	s_wait_alu 0xfffe
	s_mov_b32 s51, s50
	s_wait_alu 0xfffe
	s_add_nc_u64 s[52:53], s[48:49], s[50:51]
	v_add_co_u32 v14, vcc_lo, v12, v3
	s_wait_alu 0xfffe
	s_xor_b64 s[52:53], s[52:53], s[50:51]
	s_wait_alu 0xfffd
	v_add_co_ci_u32_e64 v15, null, v13, v3, vcc_lo
	s_wait_alu 0xfffe
	s_cvt_f32_u32 s0, s52
	s_cvt_f32_u32 s14, s53
	s_sub_nc_u64 s[56:57], 0, s[52:53]
	v_xor_b32_e32 v24, v14, v3
	v_xor_b32_e32 v25, v15, v3
	s_wait_alu 0xfffe
	s_fmamk_f32 s0, s14, 0x4f800000, s0
	v_xor_b32_e32 v3, s50, v3
	s_wait_alu 0xfffe
	s_delay_alu instid0(SALU_CYCLE_1) | instskip(NEXT) | instid1(TRANS32_DEP_1)
	v_s_rcp_f32 s0, s0
	s_mul_f32 s0, s0, 0x5f7ffffc
	s_wait_alu 0xfffe
	s_delay_alu instid0(SALU_CYCLE_2) | instskip(SKIP_1) | instid1(SALU_CYCLE_2)
	s_mul_f32 s14, s0, 0x2f800000
	s_wait_alu 0xfffe
	s_trunc_f32 s14, s14
	s_wait_alu 0xfffe
	s_delay_alu instid0(SALU_CYCLE_2) | instskip(SKIP_2) | instid1(SALU_CYCLE_1)
	s_fmamk_f32 s0, s14, 0xcf800000, s0
	s_cvt_u32_f32 s55, s14
	s_wait_alu 0xfffe
	s_cvt_u32_f32 s54, s0
	s_wait_alu 0xfffe
	s_delay_alu instid0(SALU_CYCLE_2)
	s_mul_u64 s[58:59], s[56:57], s[54:55]
	s_wait_alu 0xfffe
	s_mul_hi_u32 s61, s54, s59
	s_mul_i32 s60, s54, s59
	s_mul_hi_u32 s14, s54, s58
	s_mul_i32 s51, s55, s58
	s_wait_alu 0xfffe
	s_add_nc_u64 s[60:61], s[14:15], s[60:61]
	s_mul_hi_u32 s0, s55, s58
	s_mul_hi_u32 s66, s55, s59
	s_wait_alu 0xfffe
	s_add_co_u32 s14, s60, s51
	s_add_co_ci_u32 s14, s61, s0
	s_mul_i32 s58, s55, s59
	s_add_co_ci_u32 s59, s66, 0
	s_wait_alu 0xfffe
	s_add_nc_u64 s[58:59], s[14:15], s[58:59]
	s_wait_alu 0xfffe
	s_add_co_u32 s54, s54, s58
	s_cselect_b32 s0, -1, 0
	s_wait_alu 0xfffe
	s_cmp_lg_u32 s0, 0
	s_add_co_ci_u32 s55, s55, s59
	s_wait_alu 0xfffe
	s_mul_u64 s[56:57], s[56:57], s[54:55]
	s_wait_alu 0xfffe
	s_mul_hi_u32 s59, s54, s57
	s_mul_i32 s58, s54, s57
	s_mul_hi_u32 s14, s54, s56
	s_mul_i32 s51, s55, s56
	s_wait_alu 0xfffe
	s_add_nc_u64 s[58:59], s[14:15], s[58:59]
	s_mul_hi_u32 s0, s55, s56
	s_mul_hi_u32 s60, s55, s57
	s_wait_alu 0xfffe
	s_add_co_u32 s14, s58, s51
	s_add_co_ci_u32 s14, s59, s0
	s_mul_i32 s56, s55, s57
	s_add_co_ci_u32 s57, s60, 0
	s_wait_alu 0xfffe
	s_add_nc_u64 s[56:57], s[14:15], s[56:57]
	s_wait_alu 0xfffe
	s_add_co_u32 s0, s54, s56
	s_cselect_b32 s14, -1, 0
	s_wait_alu 0xfffe
	v_mul_hi_u32 v26, v24, s0
	s_cmp_lg_u32 s14, 0
	v_mad_co_u64_u32 v[16:17], null, v25, s0, 0
	s_add_co_ci_u32 s14, s55, s57
	s_wait_alu 0xfffe
	v_mad_co_u64_u32 v[14:15], null, v24, s14, 0
	v_mad_co_u64_u32 v[18:19], null, v25, s14, 0
	s_delay_alu instid0(VALU_DEP_2) | instskip(SKIP_1) | instid1(VALU_DEP_3)
	v_add_co_u32 v14, vcc_lo, v26, v14
	s_wait_alu 0xfffd
	v_add_co_ci_u32_e64 v15, null, 0, v15, vcc_lo
	s_delay_alu instid0(VALU_DEP_2) | instskip(SKIP_1) | instid1(VALU_DEP_2)
	v_add_co_u32 v14, vcc_lo, v14, v16
	s_wait_alu 0xfffd
	v_add_co_ci_u32_e32 v14, vcc_lo, v15, v17, vcc_lo
	s_wait_alu 0xfffd
	v_add_co_ci_u32_e32 v15, vcc_lo, 0, v19, vcc_lo
	s_delay_alu instid0(VALU_DEP_2) | instskip(SKIP_1) | instid1(VALU_DEP_2)
	v_add_co_u32 v16, vcc_lo, v14, v18
	s_wait_alu 0xfffd
	v_add_co_ci_u32_e64 v17, null, 0, v15, vcc_lo
	s_delay_alu instid0(VALU_DEP_2) | instskip(SKIP_1) | instid1(VALU_DEP_3)
	v_mul_lo_u32 v18, s53, v16
	v_mad_co_u64_u32 v[14:15], null, s52, v16, 0
	v_mul_lo_u32 v19, s52, v17
	s_delay_alu instid0(VALU_DEP_2) | instskip(NEXT) | instid1(VALU_DEP_2)
	v_sub_co_u32 v14, vcc_lo, v24, v14
	v_add3_u32 v15, v15, v19, v18
	v_add_co_u32 v19, s0, v16, 2
	s_wait_alu 0xf1ff
	v_add_co_ci_u32_e64 v24, null, 0, v17, s0
	s_delay_alu instid0(VALU_DEP_3) | instskip(SKIP_3) | instid1(VALU_DEP_3)
	v_sub_nc_u32_e32 v18, v25, v15
	v_sub_co_u32 v26, s0, v14, s52
	s_wait_alu 0xfffd
	v_sub_co_ci_u32_e64 v15, null, v25, v15, vcc_lo
	v_subrev_co_ci_u32_e64 v18, null, s53, v18, vcc_lo
	s_delay_alu instid0(VALU_DEP_3) | instskip(SKIP_1) | instid1(VALU_DEP_2)
	v_cmp_le_u32_e32 vcc_lo, s52, v26
	s_wait_alu 0xf1ff
	v_subrev_co_ci_u32_e64 v18, null, 0, v18, s0
	s_wait_alu 0xfffd
	v_cndmask_b32_e64 v25, 0, -1, vcc_lo
	s_delay_alu instid0(VALU_DEP_2)
	v_cmp_le_u32_e32 vcc_lo, s53, v18
	s_wait_alu 0xfffd
	v_cndmask_b32_e64 v26, 0, -1, vcc_lo
	v_cmp_le_u32_e32 vcc_lo, s52, v14
	s_wait_alu 0xfffd
	v_cndmask_b32_e64 v14, 0, -1, vcc_lo
	;; [unrolled: 3-line block ×3, first 2 shown]
	v_cmp_eq_u32_e32 vcc_lo, s53, v18
	s_wait_alu 0xfffd
	v_cndmask_b32_e32 v18, v26, v25, vcc_lo
	v_add_co_u32 v25, vcc_lo, v16, 1
	s_wait_alu 0xfffd
	v_add_co_ci_u32_e64 v26, null, 0, v17, vcc_lo
	v_cmp_eq_u32_e32 vcc_lo, s53, v15
	s_wait_alu 0xfffd
	v_cndmask_b32_e32 v14, v27, v14, vcc_lo
	v_cmp_ne_u32_e32 vcc_lo, 0, v18
	s_wait_alu 0xfffd
	v_cndmask_b32_e32 v15, v26, v24, vcc_lo
	s_delay_alu instid0(VALU_DEP_3) | instskip(SKIP_2) | instid1(VALU_DEP_2)
	v_cmp_ne_u32_e64 s0, 0, v14
	v_cndmask_b32_e32 v14, v25, v19, vcc_lo
	s_wait_alu 0xf1ff
	v_cndmask_b32_e64 v15, v17, v15, s0
	s_delay_alu instid0(VALU_DEP_2) | instskip(NEXT) | instid1(VALU_DEP_2)
	v_cndmask_b32_e64 v14, v16, v14, s0
	v_xor_b32_e32 v15, v15, v3
	s_delay_alu instid0(VALU_DEP_2) | instskip(NEXT) | instid1(VALU_DEP_1)
	v_xor_b32_e32 v14, v14, v3
	v_sub_co_u32 v14, vcc_lo, v14, v3
	s_wait_alu 0xfffd
	s_delay_alu instid0(VALU_DEP_3)
	v_sub_co_ci_u32_e64 v15, null, v15, v3, vcc_lo
.LBB26_28:                              ;   in Loop: Header=BB26_22 Depth=2
	s_wait_alu 0xfffe
	s_and_not1_saveexec_b32 s0, s1
	s_cbranch_execz .LBB26_30
; %bb.29:                               ;   in Loop: Header=BB26_22 Depth=2
	v_cvt_f32_u32_e32 v3, s48
	s_sub_co_i32 s1, 0, s48
	s_delay_alu instid0(VALU_DEP_1) | instskip(NEXT) | instid1(TRANS32_DEP_1)
	v_rcp_iflag_f32_e32 v3, v3
	v_mul_f32_e32 v3, 0x4f7ffffe, v3
	s_delay_alu instid0(VALU_DEP_1) | instskip(SKIP_1) | instid1(VALU_DEP_1)
	v_cvt_u32_f32_e32 v3, v3
	s_wait_alu 0xfffe
	v_mul_lo_u32 v14, s1, v3
	s_delay_alu instid0(VALU_DEP_1) | instskip(NEXT) | instid1(VALU_DEP_1)
	v_mul_hi_u32 v14, v3, v14
	v_add_nc_u32_e32 v3, v3, v14
	s_delay_alu instid0(VALU_DEP_1) | instskip(NEXT) | instid1(VALU_DEP_1)
	v_mul_hi_u32 v3, v12, v3
	v_mul_lo_u32 v14, v3, s48
	v_add_nc_u32_e32 v15, 1, v3
	s_delay_alu instid0(VALU_DEP_2) | instskip(NEXT) | instid1(VALU_DEP_1)
	v_sub_nc_u32_e32 v14, v12, v14
	v_subrev_nc_u32_e32 v16, s48, v14
	v_cmp_le_u32_e32 vcc_lo, s48, v14
	s_wait_alu 0xfffd
	s_delay_alu instid0(VALU_DEP_2) | instskip(NEXT) | instid1(VALU_DEP_1)
	v_dual_cndmask_b32 v14, v14, v16 :: v_dual_cndmask_b32 v3, v3, v15
	v_cmp_le_u32_e32 vcc_lo, s48, v14
	s_delay_alu instid0(VALU_DEP_2) | instskip(SKIP_1) | instid1(VALU_DEP_1)
	v_add_nc_u32_e32 v15, 1, v3
	s_wait_alu 0xfffd
	v_dual_cndmask_b32 v14, v3, v15 :: v_dual_mov_b32 v15, v2
.LBB26_30:                              ;   in Loop: Header=BB26_22 Depth=2
	s_wait_alu 0xfffe
	s_or_b32 exec_lo, exec_lo, s0
	s_load_b64 s[52:53], s[40:41], 0x8
	s_load_b64 s[50:51], s[38:39], 0x10
                                        ; implicit-def: $vgpr16_vgpr17
	s_mov_b32 s0, exec_lo
	s_wait_kmcnt 0x0
	v_or_b32_e32 v3, s53, v15
	s_delay_alu instid0(VALU_DEP_1)
	v_cmpx_ne_u64_e32 0, v[2:3]
	s_wait_alu 0xfffe
	s_xor_b32 s1, exec_lo, s0
	s_cbranch_execz .LBB26_32
; %bb.31:                               ;   in Loop: Header=BB26_22 Depth=2
	s_ashr_i32 s54, s53, 31
	v_ashrrev_i32_e32 v3, 31, v15
	s_wait_alu 0xfffe
	s_mov_b32 s55, s54
	s_wait_alu 0xfffe
	s_add_nc_u64 s[56:57], s[52:53], s[54:55]
	v_add_co_u32 v16, vcc_lo, v14, v3
	s_wait_alu 0xfffe
	s_xor_b64 s[56:57], s[56:57], s[54:55]
	s_wait_alu 0xfffd
	v_add_co_ci_u32_e64 v17, null, v15, v3, vcc_lo
	s_wait_alu 0xfffe
	s_cvt_f32_u32 s0, s56
	s_cvt_f32_u32 s14, s57
	s_sub_nc_u64 s[60:61], 0, s[56:57]
	v_xor_b32_e32 v26, v16, v3
	v_xor_b32_e32 v27, v17, v3
	s_wait_alu 0xfffe
	s_fmamk_f32 s0, s14, 0x4f800000, s0
	v_xor_b32_e32 v3, s54, v3
	s_wait_alu 0xfffe
	s_delay_alu instid0(SALU_CYCLE_1) | instskip(NEXT) | instid1(TRANS32_DEP_1)
	v_s_rcp_f32 s0, s0
	s_mul_f32 s0, s0, 0x5f7ffffc
	s_wait_alu 0xfffe
	s_delay_alu instid0(SALU_CYCLE_2) | instskip(SKIP_1) | instid1(SALU_CYCLE_2)
	s_mul_f32 s14, s0, 0x2f800000
	s_wait_alu 0xfffe
	s_trunc_f32 s14, s14
	s_wait_alu 0xfffe
	s_delay_alu instid0(SALU_CYCLE_2) | instskip(SKIP_2) | instid1(SALU_CYCLE_1)
	s_fmamk_f32 s0, s14, 0xcf800000, s0
	s_cvt_u32_f32 s59, s14
	s_wait_alu 0xfffe
	s_cvt_u32_f32 s58, s0
	s_wait_alu 0xfffe
	s_delay_alu instid0(SALU_CYCLE_2) | instskip(NEXT) | instid1(SALU_CYCLE_1)
	s_mul_u64 s[66:67], s[60:61], s[58:59]
	s_mul_hi_u32 s69, s58, s67
	s_mul_i32 s68, s58, s67
	s_mul_hi_u32 s14, s58, s66
	s_mul_i32 s55, s59, s66
	s_wait_alu 0xfffe
	s_add_nc_u64 s[68:69], s[14:15], s[68:69]
	s_mul_hi_u32 s0, s59, s66
	s_mul_hi_u32 s70, s59, s67
	s_add_co_u32 s14, s68, s55
	s_wait_alu 0xfffe
	s_add_co_ci_u32 s14, s69, s0
	s_mul_i32 s66, s59, s67
	s_add_co_ci_u32 s67, s70, 0
	s_wait_alu 0xfffe
	s_add_nc_u64 s[66:67], s[14:15], s[66:67]
	s_delay_alu instid0(SALU_CYCLE_1)
	s_add_co_u32 s58, s58, s66
	s_cselect_b32 s0, -1, 0
	s_wait_alu 0xfffe
	s_cmp_lg_u32 s0, 0
	s_add_co_ci_u32 s59, s59, s67
	s_wait_alu 0xfffe
	s_mul_u64 s[60:61], s[60:61], s[58:59]
	s_wait_alu 0xfffe
	s_mul_hi_u32 s67, s58, s61
	s_mul_i32 s66, s58, s61
	s_mul_hi_u32 s14, s58, s60
	s_mul_i32 s55, s59, s60
	s_wait_alu 0xfffe
	s_add_nc_u64 s[66:67], s[14:15], s[66:67]
	s_mul_hi_u32 s0, s59, s60
	s_mul_hi_u32 s68, s59, s61
	s_add_co_u32 s14, s66, s55
	s_wait_alu 0xfffe
	s_add_co_ci_u32 s14, s67, s0
	s_mul_i32 s60, s59, s61
	s_add_co_ci_u32 s61, s68, 0
	s_wait_alu 0xfffe
	s_add_nc_u64 s[60:61], s[14:15], s[60:61]
	s_wait_alu 0xfffe
	s_add_co_u32 s0, s58, s60
	s_cselect_b32 s14, -1, 0
	s_wait_alu 0xfffe
	v_mul_hi_u32 v28, v26, s0
	s_cmp_lg_u32 s14, 0
	v_mad_co_u64_u32 v[18:19], null, v27, s0, 0
	s_add_co_ci_u32 s14, s59, s61
	s_wait_alu 0xfffe
	v_mad_co_u64_u32 v[16:17], null, v26, s14, 0
	v_mad_co_u64_u32 v[24:25], null, v27, s14, 0
	s_delay_alu instid0(VALU_DEP_2) | instskip(SKIP_1) | instid1(VALU_DEP_3)
	v_add_co_u32 v16, vcc_lo, v28, v16
	s_wait_alu 0xfffd
	v_add_co_ci_u32_e64 v17, null, 0, v17, vcc_lo
	s_delay_alu instid0(VALU_DEP_2) | instskip(SKIP_1) | instid1(VALU_DEP_2)
	v_add_co_u32 v16, vcc_lo, v16, v18
	s_wait_alu 0xfffd
	v_add_co_ci_u32_e32 v16, vcc_lo, v17, v19, vcc_lo
	s_wait_alu 0xfffd
	v_add_co_ci_u32_e32 v17, vcc_lo, 0, v25, vcc_lo
	s_delay_alu instid0(VALU_DEP_2) | instskip(SKIP_1) | instid1(VALU_DEP_2)
	v_add_co_u32 v18, vcc_lo, v16, v24
	s_wait_alu 0xfffd
	v_add_co_ci_u32_e64 v19, null, 0, v17, vcc_lo
	s_delay_alu instid0(VALU_DEP_2) | instskip(SKIP_1) | instid1(VALU_DEP_3)
	v_mul_lo_u32 v24, s57, v18
	v_mad_co_u64_u32 v[16:17], null, s56, v18, 0
	v_mul_lo_u32 v25, s56, v19
	s_delay_alu instid0(VALU_DEP_2) | instskip(NEXT) | instid1(VALU_DEP_2)
	v_sub_co_u32 v16, vcc_lo, v26, v16
	v_add3_u32 v17, v17, v25, v24
	v_add_co_u32 v25, s0, v18, 2
	s_wait_alu 0xf1ff
	v_add_co_ci_u32_e64 v26, null, 0, v19, s0
	s_delay_alu instid0(VALU_DEP_3) | instskip(SKIP_3) | instid1(VALU_DEP_3)
	v_sub_nc_u32_e32 v24, v27, v17
	v_sub_co_u32 v28, s0, v16, s56
	s_wait_alu 0xfffd
	v_sub_co_ci_u32_e64 v17, null, v27, v17, vcc_lo
	v_subrev_co_ci_u32_e64 v24, null, s57, v24, vcc_lo
	s_delay_alu instid0(VALU_DEP_3) | instskip(SKIP_1) | instid1(VALU_DEP_2)
	v_cmp_le_u32_e32 vcc_lo, s56, v28
	s_wait_alu 0xf1ff
	v_subrev_co_ci_u32_e64 v24, null, 0, v24, s0
	s_wait_alu 0xfffd
	v_cndmask_b32_e64 v27, 0, -1, vcc_lo
	s_delay_alu instid0(VALU_DEP_2)
	v_cmp_le_u32_e32 vcc_lo, s57, v24
	s_wait_alu 0xfffd
	v_cndmask_b32_e64 v28, 0, -1, vcc_lo
	v_cmp_le_u32_e32 vcc_lo, s56, v16
	s_wait_alu 0xfffd
	v_cndmask_b32_e64 v16, 0, -1, vcc_lo
	;; [unrolled: 3-line block ×3, first 2 shown]
	v_cmp_eq_u32_e32 vcc_lo, s57, v24
	s_wait_alu 0xfffd
	v_cndmask_b32_e32 v24, v28, v27, vcc_lo
	v_add_co_u32 v27, vcc_lo, v18, 1
	s_wait_alu 0xfffd
	v_add_co_ci_u32_e64 v28, null, 0, v19, vcc_lo
	v_cmp_eq_u32_e32 vcc_lo, s57, v17
	s_wait_alu 0xfffd
	v_cndmask_b32_e32 v16, v29, v16, vcc_lo
	v_cmp_ne_u32_e32 vcc_lo, 0, v24
	s_wait_alu 0xfffd
	v_cndmask_b32_e32 v17, v28, v26, vcc_lo
	s_delay_alu instid0(VALU_DEP_3) | instskip(SKIP_2) | instid1(VALU_DEP_2)
	v_cmp_ne_u32_e64 s0, 0, v16
	v_cndmask_b32_e32 v16, v27, v25, vcc_lo
	s_wait_alu 0xf1ff
	v_cndmask_b32_e64 v17, v19, v17, s0
	s_delay_alu instid0(VALU_DEP_2) | instskip(NEXT) | instid1(VALU_DEP_2)
	v_cndmask_b32_e64 v16, v18, v16, s0
	v_xor_b32_e32 v17, v17, v3
	s_delay_alu instid0(VALU_DEP_2) | instskip(NEXT) | instid1(VALU_DEP_1)
	v_xor_b32_e32 v16, v16, v3
	v_sub_co_u32 v16, vcc_lo, v16, v3
	s_wait_alu 0xfffd
	s_delay_alu instid0(VALU_DEP_3)
	v_sub_co_ci_u32_e64 v17, null, v17, v3, vcc_lo
.LBB26_32:                              ;   in Loop: Header=BB26_22 Depth=2
	s_wait_alu 0xfffe
	s_and_not1_saveexec_b32 s0, s1
	s_cbranch_execz .LBB26_34
; %bb.33:                               ;   in Loop: Header=BB26_22 Depth=2
	v_cvt_f32_u32_e32 v3, s52
	s_sub_co_i32 s1, 0, s52
	s_delay_alu instid0(VALU_DEP_1) | instskip(NEXT) | instid1(TRANS32_DEP_1)
	v_rcp_iflag_f32_e32 v3, v3
	v_mul_f32_e32 v3, 0x4f7ffffe, v3
	s_delay_alu instid0(VALU_DEP_1) | instskip(SKIP_1) | instid1(VALU_DEP_1)
	v_cvt_u32_f32_e32 v3, v3
	s_wait_alu 0xfffe
	v_mul_lo_u32 v16, s1, v3
	s_delay_alu instid0(VALU_DEP_1) | instskip(NEXT) | instid1(VALU_DEP_1)
	v_mul_hi_u32 v16, v3, v16
	v_add_nc_u32_e32 v3, v3, v16
	s_delay_alu instid0(VALU_DEP_1) | instskip(NEXT) | instid1(VALU_DEP_1)
	v_mul_hi_u32 v3, v14, v3
	v_mul_lo_u32 v16, v3, s52
	v_add_nc_u32_e32 v17, 1, v3
	s_delay_alu instid0(VALU_DEP_2) | instskip(NEXT) | instid1(VALU_DEP_1)
	v_sub_nc_u32_e32 v16, v14, v16
	v_subrev_nc_u32_e32 v18, s52, v16
	v_cmp_le_u32_e32 vcc_lo, s52, v16
	s_wait_alu 0xfffd
	s_delay_alu instid0(VALU_DEP_2) | instskip(NEXT) | instid1(VALU_DEP_1)
	v_dual_cndmask_b32 v16, v16, v18 :: v_dual_cndmask_b32 v3, v3, v17
	v_cmp_le_u32_e32 vcc_lo, s52, v16
	s_delay_alu instid0(VALU_DEP_2) | instskip(SKIP_1) | instid1(VALU_DEP_1)
	v_add_nc_u32_e32 v17, 1, v3
	s_wait_alu 0xfffd
	v_dual_cndmask_b32 v16, v3, v17 :: v_dual_mov_b32 v17, v2
.LBB26_34:                              ;   in Loop: Header=BB26_22 Depth=2
	s_wait_alu 0xfffe
	s_or_b32 exec_lo, exec_lo, s0
	s_load_b64 s[56:57], s[40:41], 0x0
	s_load_b64 s[54:55], s[38:39], 0x8
                                        ; implicit-def: $vgpr18_vgpr19
	s_mov_b32 s0, exec_lo
	s_wait_kmcnt 0x0
	v_or_b32_e32 v3, s57, v17
	s_delay_alu instid0(VALU_DEP_1)
	v_cmpx_ne_u64_e32 0, v[2:3]
	s_wait_alu 0xfffe
	s_xor_b32 s1, exec_lo, s0
	s_cbranch_execz .LBB26_36
; %bb.35:                               ;   in Loop: Header=BB26_22 Depth=2
	s_ashr_i32 s58, s57, 31
	v_ashrrev_i32_e32 v3, 31, v17
	s_wait_alu 0xfffe
	s_mov_b32 s59, s58
	s_wait_alu 0xfffe
	s_add_nc_u64 s[60:61], s[56:57], s[58:59]
	v_add_co_u32 v18, vcc_lo, v16, v3
	s_wait_alu 0xfffe
	s_xor_b64 s[60:61], s[60:61], s[58:59]
	s_wait_alu 0xfffd
	v_add_co_ci_u32_e64 v19, null, v17, v3, vcc_lo
	s_wait_alu 0xfffe
	s_cvt_f32_u32 s0, s60
	s_cvt_f32_u32 s14, s61
	s_sub_nc_u64 s[68:69], 0, s[60:61]
	v_xor_b32_e32 v28, v18, v3
	v_xor_b32_e32 v29, v19, v3
	s_wait_alu 0xfffe
	s_fmamk_f32 s0, s14, 0x4f800000, s0
	v_xor_b32_e32 v3, s58, v3
	s_wait_alu 0xfffe
	s_delay_alu instid0(SALU_CYCLE_1) | instskip(NEXT) | instid1(TRANS32_DEP_1)
	v_s_rcp_f32 s0, s0
	s_mul_f32 s0, s0, 0x5f7ffffc
	s_wait_alu 0xfffe
	s_delay_alu instid0(SALU_CYCLE_2) | instskip(SKIP_1) | instid1(SALU_CYCLE_2)
	s_mul_f32 s14, s0, 0x2f800000
	s_wait_alu 0xfffe
	s_trunc_f32 s14, s14
	s_wait_alu 0xfffe
	s_delay_alu instid0(SALU_CYCLE_2) | instskip(SKIP_2) | instid1(SALU_CYCLE_1)
	s_fmamk_f32 s0, s14, 0xcf800000, s0
	s_cvt_u32_f32 s67, s14
	s_wait_alu 0xfffe
	s_cvt_u32_f32 s66, s0
	s_delay_alu instid0(SALU_CYCLE_3) | instskip(NEXT) | instid1(SALU_CYCLE_1)
	s_mul_u64 s[70:71], s[68:69], s[66:67]
	s_mul_hi_u32 s73, s66, s71
	s_mul_i32 s72, s66, s71
	s_mul_hi_u32 s14, s66, s70
	s_mul_i32 s59, s67, s70
	s_wait_alu 0xfffe
	s_add_nc_u64 s[72:73], s[14:15], s[72:73]
	s_mul_hi_u32 s0, s67, s70
	s_mul_hi_u32 s74, s67, s71
	s_add_co_u32 s14, s72, s59
	s_wait_alu 0xfffe
	s_add_co_ci_u32 s14, s73, s0
	s_mul_i32 s70, s67, s71
	s_add_co_ci_u32 s71, s74, 0
	s_wait_alu 0xfffe
	s_add_nc_u64 s[70:71], s[14:15], s[70:71]
	s_delay_alu instid0(SALU_CYCLE_1) | instskip(SKIP_4) | instid1(SALU_CYCLE_1)
	s_add_co_u32 s66, s66, s70
	s_cselect_b32 s0, -1, 0
	s_wait_alu 0xfffe
	s_cmp_lg_u32 s0, 0
	s_add_co_ci_u32 s67, s67, s71
	s_mul_u64 s[68:69], s[68:69], s[66:67]
	s_delay_alu instid0(SALU_CYCLE_1)
	s_mul_hi_u32 s71, s66, s69
	s_mul_i32 s70, s66, s69
	s_mul_hi_u32 s14, s66, s68
	s_mul_i32 s59, s67, s68
	s_wait_alu 0xfffe
	s_add_nc_u64 s[70:71], s[14:15], s[70:71]
	s_mul_hi_u32 s0, s67, s68
	s_mul_hi_u32 s72, s67, s69
	s_add_co_u32 s14, s70, s59
	s_wait_alu 0xfffe
	s_add_co_ci_u32 s14, s71, s0
	s_mul_i32 s68, s67, s69
	s_add_co_ci_u32 s69, s72, 0
	s_wait_alu 0xfffe
	s_add_nc_u64 s[68:69], s[14:15], s[68:69]
	s_delay_alu instid0(SALU_CYCLE_1)
	s_add_co_u32 s0, s66, s68
	s_cselect_b32 s14, -1, 0
	s_wait_alu 0xfffe
	v_mul_hi_u32 v30, v28, s0
	s_cmp_lg_u32 s14, 0
	v_mad_co_u64_u32 v[24:25], null, v29, s0, 0
	s_add_co_ci_u32 s14, s67, s69
	s_wait_alu 0xfffe
	v_mad_co_u64_u32 v[18:19], null, v28, s14, 0
	v_mad_co_u64_u32 v[26:27], null, v29, s14, 0
	s_delay_alu instid0(VALU_DEP_2) | instskip(SKIP_1) | instid1(VALU_DEP_3)
	v_add_co_u32 v18, vcc_lo, v30, v18
	s_wait_alu 0xfffd
	v_add_co_ci_u32_e64 v19, null, 0, v19, vcc_lo
	s_delay_alu instid0(VALU_DEP_2) | instskip(SKIP_1) | instid1(VALU_DEP_2)
	v_add_co_u32 v18, vcc_lo, v18, v24
	s_wait_alu 0xfffd
	v_add_co_ci_u32_e32 v18, vcc_lo, v19, v25, vcc_lo
	s_wait_alu 0xfffd
	v_add_co_ci_u32_e32 v19, vcc_lo, 0, v27, vcc_lo
	s_delay_alu instid0(VALU_DEP_2) | instskip(SKIP_1) | instid1(VALU_DEP_2)
	v_add_co_u32 v24, vcc_lo, v18, v26
	s_wait_alu 0xfffd
	v_add_co_ci_u32_e64 v25, null, 0, v19, vcc_lo
	s_delay_alu instid0(VALU_DEP_2) | instskip(SKIP_1) | instid1(VALU_DEP_3)
	v_mul_lo_u32 v26, s61, v24
	v_mad_co_u64_u32 v[18:19], null, s60, v24, 0
	v_mul_lo_u32 v27, s60, v25
	s_delay_alu instid0(VALU_DEP_2) | instskip(NEXT) | instid1(VALU_DEP_2)
	v_sub_co_u32 v18, vcc_lo, v28, v18
	v_add3_u32 v19, v19, v27, v26
	v_add_co_u32 v27, s0, v24, 2
	s_wait_alu 0xf1ff
	v_add_co_ci_u32_e64 v28, null, 0, v25, s0
	s_delay_alu instid0(VALU_DEP_3) | instskip(SKIP_3) | instid1(VALU_DEP_3)
	v_sub_nc_u32_e32 v26, v29, v19
	v_sub_co_u32 v30, s0, v18, s60
	s_wait_alu 0xfffd
	v_sub_co_ci_u32_e64 v19, null, v29, v19, vcc_lo
	v_subrev_co_ci_u32_e64 v26, null, s61, v26, vcc_lo
	s_delay_alu instid0(VALU_DEP_3) | instskip(SKIP_1) | instid1(VALU_DEP_2)
	v_cmp_le_u32_e32 vcc_lo, s60, v30
	s_wait_alu 0xf1ff
	v_subrev_co_ci_u32_e64 v26, null, 0, v26, s0
	s_wait_alu 0xfffd
	v_cndmask_b32_e64 v29, 0, -1, vcc_lo
	s_delay_alu instid0(VALU_DEP_2)
	v_cmp_le_u32_e32 vcc_lo, s61, v26
	s_wait_alu 0xfffd
	v_cndmask_b32_e64 v30, 0, -1, vcc_lo
	v_cmp_le_u32_e32 vcc_lo, s60, v18
	s_wait_alu 0xfffd
	v_cndmask_b32_e64 v18, 0, -1, vcc_lo
	;; [unrolled: 3-line block ×3, first 2 shown]
	v_cmp_eq_u32_e32 vcc_lo, s61, v26
	s_wait_alu 0xfffd
	v_cndmask_b32_e32 v26, v30, v29, vcc_lo
	v_add_co_u32 v29, vcc_lo, v24, 1
	s_wait_alu 0xfffd
	v_add_co_ci_u32_e64 v30, null, 0, v25, vcc_lo
	v_cmp_eq_u32_e32 vcc_lo, s61, v19
	s_wait_alu 0xfffd
	v_cndmask_b32_e32 v18, v31, v18, vcc_lo
	v_cmp_ne_u32_e32 vcc_lo, 0, v26
	s_wait_alu 0xfffd
	v_cndmask_b32_e32 v19, v30, v28, vcc_lo
	s_delay_alu instid0(VALU_DEP_3) | instskip(SKIP_2) | instid1(VALU_DEP_2)
	v_cmp_ne_u32_e64 s0, 0, v18
	v_cndmask_b32_e32 v18, v29, v27, vcc_lo
	s_wait_alu 0xf1ff
	v_cndmask_b32_e64 v19, v25, v19, s0
	s_delay_alu instid0(VALU_DEP_2) | instskip(NEXT) | instid1(VALU_DEP_2)
	v_cndmask_b32_e64 v18, v24, v18, s0
	v_xor_b32_e32 v19, v19, v3
	s_delay_alu instid0(VALU_DEP_2) | instskip(NEXT) | instid1(VALU_DEP_1)
	v_xor_b32_e32 v18, v18, v3
	v_sub_co_u32 v18, vcc_lo, v18, v3
	s_wait_alu 0xfffd
	s_delay_alu instid0(VALU_DEP_3)
	v_sub_co_ci_u32_e64 v19, null, v19, v3, vcc_lo
.LBB26_36:                              ;   in Loop: Header=BB26_22 Depth=2
	s_wait_alu 0xfffe
	s_and_not1_saveexec_b32 s0, s1
	s_cbranch_execz .LBB26_21
; %bb.37:                               ;   in Loop: Header=BB26_22 Depth=2
	v_cvt_f32_u32_e32 v3, s56
	s_sub_co_i32 s1, 0, s56
	s_delay_alu instid0(VALU_DEP_1) | instskip(NEXT) | instid1(TRANS32_DEP_1)
	v_rcp_iflag_f32_e32 v3, v3
	v_mul_f32_e32 v3, 0x4f7ffffe, v3
	s_delay_alu instid0(VALU_DEP_1) | instskip(SKIP_1) | instid1(VALU_DEP_1)
	v_cvt_u32_f32_e32 v3, v3
	s_wait_alu 0xfffe
	v_mul_lo_u32 v18, s1, v3
	s_delay_alu instid0(VALU_DEP_1) | instskip(NEXT) | instid1(VALU_DEP_1)
	v_mul_hi_u32 v18, v3, v18
	v_add_nc_u32_e32 v3, v3, v18
	s_delay_alu instid0(VALU_DEP_1) | instskip(NEXT) | instid1(VALU_DEP_1)
	v_mul_hi_u32 v3, v16, v3
	v_mul_lo_u32 v18, v3, s56
	v_add_nc_u32_e32 v19, 1, v3
	s_delay_alu instid0(VALU_DEP_2) | instskip(NEXT) | instid1(VALU_DEP_1)
	v_sub_nc_u32_e32 v18, v16, v18
	v_subrev_nc_u32_e32 v24, s56, v18
	v_cmp_le_u32_e32 vcc_lo, s56, v18
	s_wait_alu 0xfffd
	s_delay_alu instid0(VALU_DEP_2) | instskip(NEXT) | instid1(VALU_DEP_1)
	v_dual_cndmask_b32 v18, v18, v24 :: v_dual_cndmask_b32 v3, v3, v19
	v_cmp_le_u32_e32 vcc_lo, s56, v18
	s_delay_alu instid0(VALU_DEP_2) | instskip(SKIP_1) | instid1(VALU_DEP_1)
	v_add_nc_u32_e32 v19, 1, v3
	s_wait_alu 0xfffd
	v_dual_cndmask_b32 v18, v3, v19 :: v_dual_mov_b32 v19, v2
	s_branch .LBB26_21
.LBB26_38:                              ;   in Loop: Header=BB26_3 Depth=1
	s_load_b64 s[38:39], s[24:25], 0x0
	s_wait_kmcnt 0x0
	v_cmp_gt_i64_e32 vcc_lo, s[38:39], v[4:5]
	s_and_b32 exec_lo, exec_lo, vcc_lo
	s_cbranch_execz .LBB26_2
; %bb.39:                               ;   in Loop: Header=BB26_3 Depth=1
	v_lshlrev_b64_e32 v[8:9], 2, v[10:11]
	v_cmp_lt_i64_e32 vcc_lo, s[4:5], v[6:7]
	s_delay_alu instid0(VALU_DEP_2) | instskip(SKIP_1) | instid1(VALU_DEP_3)
	v_add_co_u32 v6, s0, s10, v8
	s_wait_alu 0xf1ff
	v_add_co_ci_u32_e64 v7, null, s11, v9, s0
	s_and_saveexec_b32 s0, vcc_lo
	s_cbranch_execz .LBB26_41
; %bb.40:                               ;   in Loop: Header=BB26_3 Depth=1
	global_store_b32 v[6:7], v2, off
.LBB26_41:                              ;   in Loop: Header=BB26_3 Depth=1
	s_wait_alu 0xfffe
	s_or_b32 exec_lo, exec_lo, s0
	v_add_co_u32 v3, vcc_lo, v4, 1
	s_wait_alu 0xfffd
	v_add_co_ci_u32_e64 v4, null, 0, v5, vcc_lo
	s_delay_alu instid0(VALU_DEP_2) | instskip(SKIP_1) | instid1(VALU_DEP_2)
	v_sub_co_u32 v8, vcc_lo, v3, v22
	s_wait_alu 0xfffd
	v_sub_co_ci_u32_e64 v9, null, v4, v23, vcc_lo
	v_cmp_gt_i64_e32 vcc_lo, s[38:39], v[3:4]
	s_delay_alu instid0(VALU_DEP_2)
	v_cmp_lt_i64_e64 s0, s[4:5], v[8:9]
	s_and_b32 s0, vcc_lo, s0
	s_wait_alu 0xfffe
	s_and_b32 exec_lo, exec_lo, s0
	s_cbranch_execz .LBB26_2
; %bb.42:                               ;   in Loop: Header=BB26_3 Depth=1
	s_lshl_b64 s[0:1], s[2:3], 2
	s_wait_alu 0xfffe
	v_add_co_u32 v3, vcc_lo, v6, s0
	s_wait_alu 0xfffd
	v_add_co_ci_u32_e64 v4, null, s1, v7, vcc_lo
	global_store_b32 v[3:4], v2, off
	s_branch .LBB26_2
.LBB26_43:
	s_endpgm
	.section	.rodata,"a",@progbits
	.p2align	6, 0x0
	.amdhsa_kernel _ZN2at6native16triu_tril_kernelIflLb0ELi2ELb1EEEvNS_4cuda6detail10TensorInfoIT_T0_EENS4_IKS5_S6_EEllS6_
		.amdhsa_group_segment_fixed_size 0
		.amdhsa_private_segment_fixed_size 0
		.amdhsa_kernarg_size 1112
		.amdhsa_user_sgpr_count 2
		.amdhsa_user_sgpr_dispatch_ptr 0
		.amdhsa_user_sgpr_queue_ptr 0
		.amdhsa_user_sgpr_kernarg_segment_ptr 1
		.amdhsa_user_sgpr_dispatch_id 0
		.amdhsa_user_sgpr_private_segment_size 0
		.amdhsa_wavefront_size32 1
		.amdhsa_uses_dynamic_stack 0
		.amdhsa_enable_private_segment 0
		.amdhsa_system_sgpr_workgroup_id_x 1
		.amdhsa_system_sgpr_workgroup_id_y 0
		.amdhsa_system_sgpr_workgroup_id_z 0
		.amdhsa_system_sgpr_workgroup_info 0
		.amdhsa_system_vgpr_workitem_id 0
		.amdhsa_next_free_vgpr 32
		.amdhsa_next_free_sgpr 75
		.amdhsa_reserve_vcc 1
		.amdhsa_float_round_mode_32 0
		.amdhsa_float_round_mode_16_64 0
		.amdhsa_float_denorm_mode_32 3
		.amdhsa_float_denorm_mode_16_64 3
		.amdhsa_fp16_overflow 0
		.amdhsa_workgroup_processor_mode 1
		.amdhsa_memory_ordered 1
		.amdhsa_forward_progress 1
		.amdhsa_inst_pref_size 66
		.amdhsa_round_robin_scheduling 0
		.amdhsa_exception_fp_ieee_invalid_op 0
		.amdhsa_exception_fp_denorm_src 0
		.amdhsa_exception_fp_ieee_div_zero 0
		.amdhsa_exception_fp_ieee_overflow 0
		.amdhsa_exception_fp_ieee_underflow 0
		.amdhsa_exception_fp_ieee_inexact 0
		.amdhsa_exception_int_div_zero 0
	.end_amdhsa_kernel
	.section	.text._ZN2at6native16triu_tril_kernelIflLb0ELi2ELb1EEEvNS_4cuda6detail10TensorInfoIT_T0_EENS4_IKS5_S6_EEllS6_,"axG",@progbits,_ZN2at6native16triu_tril_kernelIflLb0ELi2ELb1EEEvNS_4cuda6detail10TensorInfoIT_T0_EENS4_IKS5_S6_EEllS6_,comdat
.Lfunc_end26:
	.size	_ZN2at6native16triu_tril_kernelIflLb0ELi2ELb1EEEvNS_4cuda6detail10TensorInfoIT_T0_EENS4_IKS5_S6_EEllS6_, .Lfunc_end26-_ZN2at6native16triu_tril_kernelIflLb0ELi2ELb1EEEvNS_4cuda6detail10TensorInfoIT_T0_EENS4_IKS5_S6_EEllS6_
                                        ; -- End function
	.set _ZN2at6native16triu_tril_kernelIflLb0ELi2ELb1EEEvNS_4cuda6detail10TensorInfoIT_T0_EENS4_IKS5_S6_EEllS6_.num_vgpr, 32
	.set _ZN2at6native16triu_tril_kernelIflLb0ELi2ELb1EEEvNS_4cuda6detail10TensorInfoIT_T0_EENS4_IKS5_S6_EEllS6_.num_agpr, 0
	.set _ZN2at6native16triu_tril_kernelIflLb0ELi2ELb1EEEvNS_4cuda6detail10TensorInfoIT_T0_EENS4_IKS5_S6_EEllS6_.numbered_sgpr, 75
	.set _ZN2at6native16triu_tril_kernelIflLb0ELi2ELb1EEEvNS_4cuda6detail10TensorInfoIT_T0_EENS4_IKS5_S6_EEllS6_.num_named_barrier, 0
	.set _ZN2at6native16triu_tril_kernelIflLb0ELi2ELb1EEEvNS_4cuda6detail10TensorInfoIT_T0_EENS4_IKS5_S6_EEllS6_.private_seg_size, 0
	.set _ZN2at6native16triu_tril_kernelIflLb0ELi2ELb1EEEvNS_4cuda6detail10TensorInfoIT_T0_EENS4_IKS5_S6_EEllS6_.uses_vcc, 1
	.set _ZN2at6native16triu_tril_kernelIflLb0ELi2ELb1EEEvNS_4cuda6detail10TensorInfoIT_T0_EENS4_IKS5_S6_EEllS6_.uses_flat_scratch, 0
	.set _ZN2at6native16triu_tril_kernelIflLb0ELi2ELb1EEEvNS_4cuda6detail10TensorInfoIT_T0_EENS4_IKS5_S6_EEllS6_.has_dyn_sized_stack, 0
	.set _ZN2at6native16triu_tril_kernelIflLb0ELi2ELb1EEEvNS_4cuda6detail10TensorInfoIT_T0_EENS4_IKS5_S6_EEllS6_.has_recursion, 0
	.set _ZN2at6native16triu_tril_kernelIflLb0ELi2ELb1EEEvNS_4cuda6detail10TensorInfoIT_T0_EENS4_IKS5_S6_EEllS6_.has_indirect_call, 0
	.section	.AMDGPU.csdata,"",@progbits
; Kernel info:
; codeLenInByte = 8364
; TotalNumSgprs: 77
; NumVgprs: 32
; ScratchSize: 0
; MemoryBound: 0
; FloatMode: 240
; IeeeMode: 1
; LDSByteSize: 0 bytes/workgroup (compile time only)
; SGPRBlocks: 0
; VGPRBlocks: 3
; NumSGPRsForWavesPerEU: 77
; NumVGPRsForWavesPerEU: 32
; Occupancy: 16
; WaveLimiterHint : 0
; COMPUTE_PGM_RSRC2:SCRATCH_EN: 0
; COMPUTE_PGM_RSRC2:USER_SGPR: 2
; COMPUTE_PGM_RSRC2:TRAP_HANDLER: 0
; COMPUTE_PGM_RSRC2:TGID_X_EN: 1
; COMPUTE_PGM_RSRC2:TGID_Y_EN: 0
; COMPUTE_PGM_RSRC2:TGID_Z_EN: 0
; COMPUTE_PGM_RSRC2:TIDIG_COMP_CNT: 0
	.section	.text._ZN2at6native16triu_tril_kernelIflLb0ELi2ELb0EEEvNS_4cuda6detail10TensorInfoIT_T0_EENS4_IKS5_S6_EEllS6_,"axG",@progbits,_ZN2at6native16triu_tril_kernelIflLb0ELi2ELb0EEEvNS_4cuda6detail10TensorInfoIT_T0_EENS4_IKS5_S6_EEllS6_,comdat
	.protected	_ZN2at6native16triu_tril_kernelIflLb0ELi2ELb0EEEvNS_4cuda6detail10TensorInfoIT_T0_EENS4_IKS5_S6_EEllS6_ ; -- Begin function _ZN2at6native16triu_tril_kernelIflLb0ELi2ELb0EEEvNS_4cuda6detail10TensorInfoIT_T0_EENS4_IKS5_S6_EEllS6_
	.globl	_ZN2at6native16triu_tril_kernelIflLb0ELi2ELb0EEEvNS_4cuda6detail10TensorInfoIT_T0_EENS4_IKS5_S6_EEllS6_
	.p2align	8
	.type	_ZN2at6native16triu_tril_kernelIflLb0ELi2ELb0EEEvNS_4cuda6detail10TensorInfoIT_T0_EENS4_IKS5_S6_EEllS6_,@function
_ZN2at6native16triu_tril_kernelIflLb0ELi2ELb0EEEvNS_4cuda6detail10TensorInfoIT_T0_EENS4_IKS5_S6_EEllS6_: ; @_ZN2at6native16triu_tril_kernelIflLb0ELi2ELb0EEEvNS_4cuda6detail10TensorInfoIT_T0_EENS4_IKS5_S6_EEllS6_
; %bb.0:
	s_clause 0x1
	s_load_b32 s2, s[0:1], 0x364
	s_load_b128 s[4:7], s[0:1], 0x340
	v_mov_b32_e32 v2, 0
	s_delay_alu instid0(VALU_DEP_1) | instskip(SKIP_3) | instid1(VALU_DEP_1)
	v_mov_b32_e32 v1, v2
	s_wait_kmcnt 0x0
	s_and_b32 s16, s2, 0xffff
	s_mov_b32 s2, exec_lo
	v_mad_co_u64_u32 v[0:1], null, s16, ttmp9, v[0:1]
	s_delay_alu instid0(VALU_DEP_1) | instskip(NEXT) | instid1(VALU_DEP_1)
	v_lshlrev_b64_e32 v[0:1], 1, v[0:1]
	v_cmpx_gt_i64_e64 s[6:7], v[0:1]
	s_cbranch_execz .LBB27_38
; %bb.1:
	s_clause 0x1
	s_load_b32 s38, s[0:1], 0x338
	s_load_b64 s[2:3], s[0:1], 0x1a0
	s_add_nc_u64 s[20:21], s[0:1], 0x1a0
	s_load_b64 s[22:23], s[0:1], 0x350
	s_add_nc_u64 s[14:15], s[0:1], 0x358
	s_mov_b32 s27, 0
	s_mov_b32 s63, 0
	s_wait_kmcnt 0x0
	s_ashr_i32 s39, s38, 31
	s_add_co_i32 s28, s38, -3
	s_lshl_b64 s[18:19], s[38:39], 3
	s_ashr_i32 s29, s28, 31
	s_add_nc_u64 s[12:13], s[20:21], s[18:19]
	v_cmp_gt_i64_e64 s62, s[38:39], 2
	s_add_nc_u64 s[8:9], s[12:13], -8
	s_add_nc_u64 s[30:31], s[28:29], -1
	s_load_b128 s[8:11], s[8:9], 0x0
	s_load_b32 s17, s[14:15], 0x0
	s_clause 0x1
	s_load_b64 s[24:25], s[0:1], 0x0
	s_load_b128 s[12:15], s[12:13], 0xc0
	v_cvt_f32_u32_e32 v3, s22
	s_add_nc_u64 s[38:39], s[0:1], 0xc8
	s_delay_alu instid0(VALU_DEP_1)
	v_rcp_iflag_f32_e32 v3, v3
	s_wait_kmcnt 0x0
	v_cvt_f32_u32_e32 v4, s8
	s_mul_i32 s26, s17, s16
	s_add_nc_u64 s[16:17], s[0:1], s[18:19]
	s_lshl_b32 s33, s26, 1
	s_load_b128 s[16:19], s[16:17], 0xc0
	v_rcp_iflag_f32_e32 v4, v4
	s_delay_alu instid0(TRANS32_DEP_2)
	v_mul_f32_e32 v3, 0x4f7ffffe, v3
	s_bitcmp0_b32 s28, 0
	s_cselect_b32 s60, -1, 0
	s_lshl_b64 s[36:37], s[28:29], 3
	s_cmp_lg_u32 s28, 0
	s_add_nc_u64 s[34:35], s[20:21], s[36:37]
	s_add_nc_u64 s[36:37], s[0:1], s[36:37]
	s_cselect_b32 s61, -1, 0
	s_delay_alu instid0(TRANS32_DEP_1) | instskip(SKIP_2) | instid1(VALU_DEP_2)
	v_mul_f32_e32 v4, 0x4f7ffffe, v4
	v_cvt_u32_f32_e32 v16, v3
	s_ashr_i32 s40, s23, 31
	v_cvt_u32_f32_e32 v17, v4
	s_branch .LBB27_3
.LBB27_2:                               ;   in Loop: Header=BB27_3 Depth=1
	s_wait_alu 0xfffe
	s_or_b32 exec_lo, exec_lo, s0
	v_add_co_u32 v0, vcc_lo, v0, s33
	s_wait_alu 0xfffd
	v_add_co_ci_u32_e64 v1, null, 0, v1, vcc_lo
	s_delay_alu instid0(VALU_DEP_1) | instskip(SKIP_1) | instid1(SALU_CYCLE_1)
	v_cmp_le_i64_e32 vcc_lo, s[6:7], v[0:1]
	s_or_b32 s63, vcc_lo, s63
	s_and_not1_b32 exec_lo, exec_lo, s63
	s_cbranch_execz .LBB27_38
.LBB27_3:                               ; =>This Loop Header: Depth=1
                                        ;     Child Loop BB27_21 Depth 2
	v_or_b32_e32 v3, s23, v1
                                        ; implicit-def: $vgpr6_vgpr7
	s_mov_b32 s0, exec_lo
	s_delay_alu instid0(VALU_DEP_1)
	v_cmpx_ne_u64_e32 0, v[2:3]
	s_wait_alu 0xfffe
	s_xor_b32 s1, exec_lo, s0
	s_cbranch_execz .LBB27_5
; %bb.4:                                ;   in Loop: Header=BB27_3 Depth=1
	s_mov_b32 s41, s40
	v_ashrrev_i32_e32 v9, 31, v1
	s_wait_alu 0xfffe
	s_add_nc_u64 s[42:43], s[22:23], s[40:41]
	s_wait_alu 0xfffe
	s_xor_b64 s[42:43], s[42:43], s[40:41]
	v_add_co_u32 v3, vcc_lo, v0, v9
	s_wait_alu 0xfffe
	s_cvt_f32_u32 s0, s42
	s_cvt_f32_u32 s26, s43
	s_sub_nc_u64 s[46:47], 0, s[42:43]
	s_wait_alu 0xfffd
	v_add_co_ci_u32_e64 v4, null, v1, v9, vcc_lo
	s_wait_alu 0xfffe
	s_fmamk_f32 s0, s26, 0x4f800000, s0
	v_xor_b32_e32 v10, v3, v9
	s_delay_alu instid0(VALU_DEP_2) | instskip(SKIP_2) | instid1(TRANS32_DEP_1)
	v_xor_b32_e32 v11, v4, v9
	s_wait_alu 0xfffe
	v_s_rcp_f32 s0, s0
	s_mul_f32 s0, s0, 0x5f7ffffc
	s_wait_alu 0xfffe
	s_delay_alu instid0(SALU_CYCLE_2) | instskip(SKIP_1) | instid1(SALU_CYCLE_2)
	s_mul_f32 s26, s0, 0x2f800000
	s_wait_alu 0xfffe
	s_trunc_f32 s26, s26
	s_wait_alu 0xfffe
	s_delay_alu instid0(SALU_CYCLE_2) | instskip(SKIP_2) | instid1(SALU_CYCLE_1)
	s_fmamk_f32 s0, s26, 0xcf800000, s0
	s_cvt_u32_f32 s45, s26
	s_wait_alu 0xfffe
	s_cvt_u32_f32 s44, s0
	s_wait_alu 0xfffe
	s_delay_alu instid0(SALU_CYCLE_2)
	s_mul_u64 s[48:49], s[46:47], s[44:45]
	s_wait_alu 0xfffe
	s_mul_hi_u32 s51, s44, s49
	s_mul_i32 s50, s44, s49
	s_mul_hi_u32 s26, s44, s48
	s_mul_i32 s41, s45, s48
	s_wait_alu 0xfffe
	s_add_nc_u64 s[50:51], s[26:27], s[50:51]
	s_mul_hi_u32 s0, s45, s48
	s_mul_hi_u32 s52, s45, s49
	s_wait_alu 0xfffe
	s_add_co_u32 s26, s50, s41
	s_add_co_ci_u32 s26, s51, s0
	s_mul_i32 s48, s45, s49
	s_add_co_ci_u32 s49, s52, 0
	s_wait_alu 0xfffe
	s_add_nc_u64 s[48:49], s[26:27], s[48:49]
	s_wait_alu 0xfffe
	s_add_co_u32 s44, s44, s48
	s_cselect_b32 s0, -1, 0
	s_wait_alu 0xfffe
	s_cmp_lg_u32 s0, 0
	s_add_co_ci_u32 s45, s45, s49
	s_wait_alu 0xfffe
	s_mul_u64 s[46:47], s[46:47], s[44:45]
	s_wait_alu 0xfffe
	s_mul_hi_u32 s49, s44, s47
	s_mul_i32 s48, s44, s47
	s_mul_hi_u32 s26, s44, s46
	s_mul_i32 s41, s45, s46
	s_wait_alu 0xfffe
	s_add_nc_u64 s[48:49], s[26:27], s[48:49]
	s_mul_hi_u32 s0, s45, s46
	s_mul_hi_u32 s50, s45, s47
	s_wait_alu 0xfffe
	s_add_co_u32 s26, s48, s41
	s_add_co_ci_u32 s26, s49, s0
	s_mul_i32 s46, s45, s47
	s_add_co_ci_u32 s47, s50, 0
	s_wait_alu 0xfffe
	s_add_nc_u64 s[46:47], s[26:27], s[46:47]
	s_wait_alu 0xfffe
	s_add_co_u32 s0, s44, s46
	s_cselect_b32 s26, -1, 0
	s_wait_alu 0xfffe
	v_mul_hi_u32 v12, v10, s0
	s_cmp_lg_u32 s26, 0
	v_mad_co_u64_u32 v[5:6], null, v11, s0, 0
	s_add_co_ci_u32 s26, s45, s47
	s_wait_alu 0xfffe
	v_mad_co_u64_u32 v[3:4], null, v10, s26, 0
	v_mad_co_u64_u32 v[7:8], null, v11, s26, 0
	s_delay_alu instid0(VALU_DEP_2) | instskip(SKIP_1) | instid1(VALU_DEP_3)
	v_add_co_u32 v3, vcc_lo, v12, v3
	s_wait_alu 0xfffd
	v_add_co_ci_u32_e64 v4, null, 0, v4, vcc_lo
	s_delay_alu instid0(VALU_DEP_2) | instskip(SKIP_1) | instid1(VALU_DEP_2)
	v_add_co_u32 v3, vcc_lo, v3, v5
	s_wait_alu 0xfffd
	v_add_co_ci_u32_e32 v3, vcc_lo, v4, v6, vcc_lo
	s_wait_alu 0xfffd
	v_add_co_ci_u32_e32 v4, vcc_lo, 0, v8, vcc_lo
	s_delay_alu instid0(VALU_DEP_2) | instskip(SKIP_1) | instid1(VALU_DEP_2)
	v_add_co_u32 v5, vcc_lo, v3, v7
	s_wait_alu 0xfffd
	v_add_co_ci_u32_e64 v6, null, 0, v4, vcc_lo
	s_delay_alu instid0(VALU_DEP_2) | instskip(SKIP_1) | instid1(VALU_DEP_3)
	v_mul_lo_u32 v7, s43, v5
	v_mad_co_u64_u32 v[3:4], null, s42, v5, 0
	v_mul_lo_u32 v8, s42, v6
	s_delay_alu instid0(VALU_DEP_2) | instskip(NEXT) | instid1(VALU_DEP_2)
	v_sub_co_u32 v3, vcc_lo, v10, v3
	v_add3_u32 v4, v4, v8, v7
	v_add_co_u32 v8, s0, v5, 2
	s_wait_alu 0xf1ff
	v_add_co_ci_u32_e64 v10, null, 0, v6, s0
	s_delay_alu instid0(VALU_DEP_3) | instskip(SKIP_3) | instid1(VALU_DEP_3)
	v_sub_nc_u32_e32 v7, v11, v4
	v_sub_co_u32 v12, s0, v3, s42
	s_wait_alu 0xfffd
	v_sub_co_ci_u32_e64 v4, null, v11, v4, vcc_lo
	v_subrev_co_ci_u32_e64 v7, null, s43, v7, vcc_lo
	s_delay_alu instid0(VALU_DEP_3) | instskip(SKIP_1) | instid1(VALU_DEP_2)
	v_cmp_le_u32_e32 vcc_lo, s42, v12
	s_wait_alu 0xf1ff
	v_subrev_co_ci_u32_e64 v7, null, 0, v7, s0
	s_wait_alu 0xfffd
	v_cndmask_b32_e64 v11, 0, -1, vcc_lo
	s_delay_alu instid0(VALU_DEP_2)
	v_cmp_le_u32_e32 vcc_lo, s43, v7
	s_wait_alu 0xfffd
	v_cndmask_b32_e64 v12, 0, -1, vcc_lo
	v_cmp_le_u32_e32 vcc_lo, s42, v3
	s_wait_alu 0xfffd
	v_cndmask_b32_e64 v3, 0, -1, vcc_lo
	;; [unrolled: 3-line block ×3, first 2 shown]
	v_cmp_eq_u32_e32 vcc_lo, s43, v7
	s_wait_alu 0xfffd
	v_cndmask_b32_e32 v7, v12, v11, vcc_lo
	v_add_co_u32 v11, vcc_lo, v5, 1
	s_wait_alu 0xfffd
	v_add_co_ci_u32_e64 v12, null, 0, v6, vcc_lo
	v_cmp_eq_u32_e32 vcc_lo, s43, v4
	s_wait_alu 0xfffd
	v_cndmask_b32_e32 v3, v13, v3, vcc_lo
	v_cmp_ne_u32_e32 vcc_lo, 0, v7
	v_xor_b32_e32 v7, s40, v9
	s_wait_alu 0xfffd
	v_cndmask_b32_e32 v4, v12, v10, vcc_lo
	v_cmp_ne_u32_e64 s0, 0, v3
	v_cndmask_b32_e32 v3, v11, v8, vcc_lo
	s_wait_alu 0xf1ff
	s_delay_alu instid0(VALU_DEP_2) | instskip(NEXT) | instid1(VALU_DEP_2)
	v_cndmask_b32_e64 v4, v6, v4, s0
	v_cndmask_b32_e64 v3, v5, v3, s0
	s_delay_alu instid0(VALU_DEP_2) | instskip(NEXT) | instid1(VALU_DEP_2)
	v_xor_b32_e32 v4, v4, v7
	v_xor_b32_e32 v3, v3, v7
	s_delay_alu instid0(VALU_DEP_1) | instskip(SKIP_1) | instid1(VALU_DEP_3)
	v_sub_co_u32 v6, vcc_lo, v3, v7
	s_wait_alu 0xfffd
	v_sub_co_ci_u32_e64 v7, null, v4, v7, vcc_lo
.LBB27_5:                               ;   in Loop: Header=BB27_3 Depth=1
	s_wait_alu 0xfffe
	s_and_not1_saveexec_b32 s0, s1
	s_cbranch_execz .LBB27_7
; %bb.6:                                ;   in Loop: Header=BB27_3 Depth=1
	s_sub_co_i32 s1, 0, s22
	v_mov_b32_e32 v7, v2
	s_wait_alu 0xfffe
	v_mul_lo_u32 v3, s1, v16
	s_delay_alu instid0(VALU_DEP_1) | instskip(NEXT) | instid1(VALU_DEP_1)
	v_mul_hi_u32 v3, v16, v3
	v_add_nc_u32_e32 v3, v16, v3
	s_delay_alu instid0(VALU_DEP_1) | instskip(NEXT) | instid1(VALU_DEP_1)
	v_mul_hi_u32 v3, v0, v3
	v_mul_lo_u32 v4, v3, s22
	s_delay_alu instid0(VALU_DEP_1) | instskip(NEXT) | instid1(VALU_DEP_1)
	v_sub_nc_u32_e32 v4, v0, v4
	v_subrev_nc_u32_e32 v6, s22, v4
	v_cmp_le_u32_e32 vcc_lo, s22, v4
	s_wait_alu 0xfffd
	s_delay_alu instid0(VALU_DEP_2) | instskip(NEXT) | instid1(VALU_DEP_1)
	v_dual_cndmask_b32 v4, v4, v6 :: v_dual_add_nc_u32 v5, 1, v3
	v_cndmask_b32_e32 v3, v3, v5, vcc_lo
	s_delay_alu instid0(VALU_DEP_2) | instskip(NEXT) | instid1(VALU_DEP_2)
	v_cmp_le_u32_e32 vcc_lo, s22, v4
	v_add_nc_u32_e32 v5, 1, v3
	s_wait_alu 0xfffd
	s_delay_alu instid0(VALU_DEP_1)
	v_cndmask_b32_e32 v6, v3, v5, vcc_lo
.LBB27_7:                               ;   in Loop: Header=BB27_3 Depth=1
	s_wait_alu 0xfffe
	s_or_b32 exec_lo, exec_lo, s0
	v_or_b32_e32 v3, s9, v7
                                        ; implicit-def: $vgpr10_vgpr11
	s_mov_b32 s0, exec_lo
	s_delay_alu instid0(VALU_DEP_1)
	v_cmpx_ne_u64_e32 0, v[2:3]
	s_wait_alu 0xfffe
	s_xor_b32 s1, exec_lo, s0
	s_cbranch_execz .LBB27_9
; %bb.8:                                ;   in Loop: Header=BB27_3 Depth=1
	s_ashr_i32 s42, s9, 31
	v_ashrrev_i32_e32 v5, 31, v7
	s_wait_alu 0xfffe
	s_mov_b32 s43, s42
	s_wait_alu 0xfffe
	s_add_nc_u64 s[44:45], s[8:9], s[42:43]
	v_add_co_u32 v3, vcc_lo, v6, v5
	s_wait_alu 0xfffe
	s_xor_b64 s[44:45], s[44:45], s[42:43]
	s_wait_alu 0xfffd
	v_add_co_ci_u32_e64 v4, null, v7, v5, vcc_lo
	s_wait_alu 0xfffe
	s_cvt_f32_u32 s0, s44
	s_cvt_f32_u32 s26, s45
	s_sub_nc_u64 s[48:49], 0, s[44:45]
	v_xor_b32_e32 v12, v3, v5
	v_xor_b32_e32 v13, v4, v5
	s_wait_alu 0xfffe
	s_fmamk_f32 s0, s26, 0x4f800000, s0
	v_xor_b32_e32 v5, s42, v5
	s_wait_alu 0xfffe
	s_delay_alu instid0(SALU_CYCLE_1) | instskip(NEXT) | instid1(TRANS32_DEP_1)
	v_s_rcp_f32 s0, s0
	s_mul_f32 s0, s0, 0x5f7ffffc
	s_wait_alu 0xfffe
	s_delay_alu instid0(SALU_CYCLE_2) | instskip(SKIP_1) | instid1(SALU_CYCLE_2)
	s_mul_f32 s26, s0, 0x2f800000
	s_wait_alu 0xfffe
	s_trunc_f32 s26, s26
	s_wait_alu 0xfffe
	s_delay_alu instid0(SALU_CYCLE_2) | instskip(SKIP_2) | instid1(SALU_CYCLE_1)
	s_fmamk_f32 s0, s26, 0xcf800000, s0
	s_cvt_u32_f32 s47, s26
	s_wait_alu 0xfffe
	s_cvt_u32_f32 s46, s0
	s_wait_alu 0xfffe
	s_delay_alu instid0(SALU_CYCLE_2)
	s_mul_u64 s[50:51], s[48:49], s[46:47]
	s_wait_alu 0xfffe
	s_mul_hi_u32 s53, s46, s51
	s_mul_i32 s52, s46, s51
	s_mul_hi_u32 s26, s46, s50
	s_mul_i32 s41, s47, s50
	s_wait_alu 0xfffe
	s_add_nc_u64 s[52:53], s[26:27], s[52:53]
	s_mul_hi_u32 s0, s47, s50
	s_mul_hi_u32 s43, s47, s51
	s_wait_alu 0xfffe
	s_add_co_u32 s26, s52, s41
	s_add_co_ci_u32 s26, s53, s0
	s_mul_i32 s50, s47, s51
	s_add_co_ci_u32 s51, s43, 0
	s_wait_alu 0xfffe
	s_add_nc_u64 s[50:51], s[26:27], s[50:51]
	s_wait_alu 0xfffe
	s_add_co_u32 s46, s46, s50
	s_cselect_b32 s0, -1, 0
	s_wait_alu 0xfffe
	s_cmp_lg_u32 s0, 0
	s_add_co_ci_u32 s47, s47, s51
	s_wait_alu 0xfffe
	s_mul_u64 s[48:49], s[48:49], s[46:47]
	s_wait_alu 0xfffe
	s_mul_hi_u32 s51, s46, s49
	s_mul_i32 s50, s46, s49
	s_mul_hi_u32 s26, s46, s48
	s_mul_i32 s41, s47, s48
	s_wait_alu 0xfffe
	s_add_nc_u64 s[50:51], s[26:27], s[50:51]
	s_mul_hi_u32 s0, s47, s48
	s_mul_hi_u32 s43, s47, s49
	s_wait_alu 0xfffe
	s_add_co_u32 s26, s50, s41
	s_add_co_ci_u32 s26, s51, s0
	s_mul_i32 s48, s47, s49
	s_add_co_ci_u32 s49, s43, 0
	s_wait_alu 0xfffe
	s_add_nc_u64 s[48:49], s[26:27], s[48:49]
	s_wait_alu 0xfffe
	s_add_co_u32 s0, s46, s48
	s_cselect_b32 s26, -1, 0
	s_wait_alu 0xfffe
	v_mul_hi_u32 v14, v12, s0
	s_cmp_lg_u32 s26, 0
	v_mad_co_u64_u32 v[8:9], null, v13, s0, 0
	s_add_co_ci_u32 s26, s47, s49
	s_wait_alu 0xfffe
	v_mad_co_u64_u32 v[3:4], null, v12, s26, 0
	v_mad_co_u64_u32 v[10:11], null, v13, s26, 0
	s_delay_alu instid0(VALU_DEP_2) | instskip(SKIP_1) | instid1(VALU_DEP_3)
	v_add_co_u32 v3, vcc_lo, v14, v3
	s_wait_alu 0xfffd
	v_add_co_ci_u32_e64 v4, null, 0, v4, vcc_lo
	s_delay_alu instid0(VALU_DEP_2) | instskip(SKIP_1) | instid1(VALU_DEP_2)
	v_add_co_u32 v3, vcc_lo, v3, v8
	s_wait_alu 0xfffd
	v_add_co_ci_u32_e32 v3, vcc_lo, v4, v9, vcc_lo
	s_wait_alu 0xfffd
	v_add_co_ci_u32_e32 v4, vcc_lo, 0, v11, vcc_lo
	s_delay_alu instid0(VALU_DEP_2) | instskip(SKIP_1) | instid1(VALU_DEP_2)
	v_add_co_u32 v8, vcc_lo, v3, v10
	s_wait_alu 0xfffd
	v_add_co_ci_u32_e64 v9, null, 0, v4, vcc_lo
	s_delay_alu instid0(VALU_DEP_2) | instskip(SKIP_1) | instid1(VALU_DEP_3)
	v_mul_lo_u32 v10, s45, v8
	v_mad_co_u64_u32 v[3:4], null, s44, v8, 0
	v_mul_lo_u32 v11, s44, v9
	s_delay_alu instid0(VALU_DEP_2) | instskip(NEXT) | instid1(VALU_DEP_2)
	v_sub_co_u32 v3, vcc_lo, v12, v3
	v_add3_u32 v4, v4, v11, v10
	v_add_co_u32 v11, s0, v8, 2
	s_wait_alu 0xf1ff
	v_add_co_ci_u32_e64 v12, null, 0, v9, s0
	s_delay_alu instid0(VALU_DEP_3) | instskip(SKIP_3) | instid1(VALU_DEP_3)
	v_sub_nc_u32_e32 v10, v13, v4
	v_sub_co_u32 v14, s0, v3, s44
	s_wait_alu 0xfffd
	v_sub_co_ci_u32_e64 v4, null, v13, v4, vcc_lo
	v_subrev_co_ci_u32_e64 v10, null, s45, v10, vcc_lo
	s_delay_alu instid0(VALU_DEP_3) | instskip(SKIP_1) | instid1(VALU_DEP_2)
	v_cmp_le_u32_e32 vcc_lo, s44, v14
	s_wait_alu 0xf1ff
	v_subrev_co_ci_u32_e64 v10, null, 0, v10, s0
	s_wait_alu 0xfffd
	v_cndmask_b32_e64 v13, 0, -1, vcc_lo
	s_delay_alu instid0(VALU_DEP_2)
	v_cmp_le_u32_e32 vcc_lo, s45, v10
	s_wait_alu 0xfffd
	v_cndmask_b32_e64 v14, 0, -1, vcc_lo
	v_cmp_le_u32_e32 vcc_lo, s44, v3
	s_wait_alu 0xfffd
	v_cndmask_b32_e64 v3, 0, -1, vcc_lo
	;; [unrolled: 3-line block ×3, first 2 shown]
	v_cmp_eq_u32_e32 vcc_lo, s45, v10
	s_wait_alu 0xfffd
	v_cndmask_b32_e32 v10, v14, v13, vcc_lo
	v_add_co_u32 v13, vcc_lo, v8, 1
	s_wait_alu 0xfffd
	v_add_co_ci_u32_e64 v14, null, 0, v9, vcc_lo
	v_cmp_eq_u32_e32 vcc_lo, s45, v4
	s_wait_alu 0xfffd
	v_cndmask_b32_e32 v3, v15, v3, vcc_lo
	v_cmp_ne_u32_e32 vcc_lo, 0, v10
	s_delay_alu instid0(VALU_DEP_2) | instskip(SKIP_3) | instid1(VALU_DEP_1)
	v_cmp_ne_u32_e64 s0, 0, v3
	s_wait_alu 0xfffd
	v_dual_cndmask_b32 v4, v14, v12 :: v_dual_cndmask_b32 v3, v13, v11
	s_wait_alu 0xf1ff
	v_cndmask_b32_e64 v4, v9, v4, s0
	s_delay_alu instid0(VALU_DEP_2) | instskip(NEXT) | instid1(VALU_DEP_2)
	v_cndmask_b32_e64 v3, v8, v3, s0
	v_xor_b32_e32 v4, v4, v5
	s_delay_alu instid0(VALU_DEP_2) | instskip(NEXT) | instid1(VALU_DEP_1)
	v_xor_b32_e32 v3, v3, v5
	v_sub_co_u32 v10, vcc_lo, v3, v5
	s_wait_alu 0xfffd
	s_delay_alu instid0(VALU_DEP_3)
	v_sub_co_ci_u32_e64 v11, null, v4, v5, vcc_lo
.LBB27_9:                               ;   in Loop: Header=BB27_3 Depth=1
	s_wait_alu 0xfffe
	s_and_not1_saveexec_b32 s0, s1
	s_cbranch_execz .LBB27_11
; %bb.10:                               ;   in Loop: Header=BB27_3 Depth=1
	s_sub_co_i32 s1, 0, s8
	v_mov_b32_e32 v11, v2
	s_wait_alu 0xfffe
	v_mul_lo_u32 v3, s1, v17
	s_delay_alu instid0(VALU_DEP_1) | instskip(NEXT) | instid1(VALU_DEP_1)
	v_mul_hi_u32 v3, v17, v3
	v_add_nc_u32_e32 v3, v17, v3
	s_delay_alu instid0(VALU_DEP_1) | instskip(NEXT) | instid1(VALU_DEP_1)
	v_mul_hi_u32 v3, v6, v3
	v_mul_lo_u32 v4, v3, s8
	v_add_nc_u32_e32 v5, 1, v3
	s_delay_alu instid0(VALU_DEP_2) | instskip(NEXT) | instid1(VALU_DEP_1)
	v_sub_nc_u32_e32 v4, v6, v4
	v_subrev_nc_u32_e32 v8, s8, v4
	v_cmp_le_u32_e32 vcc_lo, s8, v4
	s_wait_alu 0xfffd
	s_delay_alu instid0(VALU_DEP_2) | instskip(NEXT) | instid1(VALU_DEP_1)
	v_dual_cndmask_b32 v4, v4, v8 :: v_dual_cndmask_b32 v3, v3, v5
	v_cmp_le_u32_e32 vcc_lo, s8, v4
	s_delay_alu instid0(VALU_DEP_2) | instskip(SKIP_1) | instid1(VALU_DEP_1)
	v_add_nc_u32_e32 v5, 1, v3
	s_wait_alu 0xfffd
	v_cndmask_b32_e32 v10, v3, v5, vcc_lo
.LBB27_11:                              ;   in Loop: Header=BB27_3 Depth=1
	s_wait_alu 0xfffe
	s_or_b32 exec_lo, exec_lo, s0
	v_mul_lo_u32 v5, v7, s22
	v_mul_lo_u32 v12, v6, s23
	v_mad_co_u64_u32 v[3:4], null, v6, s22, 0
	v_mul_lo_u32 v13, v11, s8
	v_mul_lo_u32 v14, v10, s9
	v_mad_co_u64_u32 v[8:9], null, v10, s8, 0
	s_delay_alu instid0(VALU_DEP_4) | instskip(SKIP_1) | instid1(VALU_DEP_3)
	v_add3_u32 v5, v4, v12, v5
	v_sub_co_u32 v4, vcc_lo, v0, v3
	v_add3_u32 v3, v9, v14, v13
	s_wait_alu 0xfffd
	s_delay_alu instid0(VALU_DEP_3) | instskip(NEXT) | instid1(VALU_DEP_3)
	v_sub_co_ci_u32_e64 v5, null, v1, v5, vcc_lo
	v_mul_lo_u32 v9, s15, v4
	v_mad_co_u64_u32 v[12:13], null, s14, v4, 0
	s_wait_kmcnt 0x0
	v_mul_lo_u32 v20, s19, v4
	v_mul_lo_u32 v21, s14, v5
	;; [unrolled: 1-line block ×3, first 2 shown]
	v_mad_co_u64_u32 v[14:15], null, s18, v4, 0
	v_sub_co_u32 v18, vcc_lo, v6, v8
	s_wait_alu 0xfffd
	v_sub_co_ci_u32_e64 v19, null, v7, v3, vcc_lo
	v_add3_u32 v13, v13, v21, v9
	s_delay_alu instid0(VALU_DEP_3) | instskip(SKIP_1) | instid1(VALU_DEP_4)
	v_mul_lo_u32 v3, s13, v18
	v_add3_u32 v15, v15, v22, v20
	v_mul_lo_u32 v21, s12, v19
	s_and_not1_b32 vcc_lo, exec_lo, s62
	v_mad_co_u64_u32 v[8:9], null, s12, v18, v[12:13]
	v_mul_lo_u32 v12, s16, v19
	v_mul_lo_u32 v13, s17, v18
	v_mad_co_u64_u32 v[6:7], null, s16, v18, v[14:15]
	s_delay_alu instid0(VALU_DEP_4) | instskip(NEXT) | instid1(VALU_DEP_2)
	v_add3_u32 v9, v3, v9, v21
	v_add3_u32 v7, v13, v7, v12
	s_wait_alu 0xfffe
	s_cbranch_vccnz .LBB27_29
; %bb.12:                               ;   in Loop: Header=BB27_3 Depth=1
	s_and_not1_b32 vcc_lo, exec_lo, s60
	s_wait_alu 0xfffe
	s_cbranch_vccnz .LBB27_18
; %bb.13:                               ;   in Loop: Header=BB27_3 Depth=1
	s_load_b64 s[42:43], s[34:35], 0x8
                                        ; implicit-def: $vgpr12_vgpr13
	s_mov_b32 s0, exec_lo
	s_wait_kmcnt 0x0
	v_or_b32_e32 v3, s43, v11
	s_delay_alu instid0(VALU_DEP_1)
	v_cmpx_ne_u64_e32 0, v[2:3]
	s_wait_alu 0xfffe
	s_xor_b32 s1, exec_lo, s0
	s_cbranch_execz .LBB27_15
; %bb.14:                               ;   in Loop: Header=BB27_3 Depth=1
	s_ashr_i32 s44, s43, 31
	v_ashrrev_i32_e32 v3, 31, v11
	s_wait_alu 0xfffe
	s_mov_b32 s45, s44
	s_wait_alu 0xfffe
	s_add_nc_u64 s[46:47], s[42:43], s[44:45]
	v_add_co_u32 v12, vcc_lo, v10, v3
	s_wait_alu 0xfffe
	s_xor_b64 s[46:47], s[46:47], s[44:45]
	s_wait_alu 0xfffd
	v_add_co_ci_u32_e64 v13, null, v11, v3, vcc_lo
	s_wait_alu 0xfffe
	s_cvt_f32_u32 s0, s46
	s_cvt_f32_u32 s26, s47
	s_sub_nc_u64 s[50:51], 0, s[46:47]
	v_xor_b32_e32 v22, v12, v3
	v_xor_b32_e32 v23, v13, v3
	s_wait_alu 0xfffe
	s_fmamk_f32 s0, s26, 0x4f800000, s0
	v_xor_b32_e32 v3, s44, v3
	s_wait_alu 0xfffe
	s_delay_alu instid0(SALU_CYCLE_1) | instskip(NEXT) | instid1(TRANS32_DEP_1)
	v_s_rcp_f32 s0, s0
	s_mul_f32 s0, s0, 0x5f7ffffc
	s_wait_alu 0xfffe
	s_delay_alu instid0(SALU_CYCLE_2) | instskip(SKIP_1) | instid1(SALU_CYCLE_2)
	s_mul_f32 s26, s0, 0x2f800000
	s_wait_alu 0xfffe
	s_trunc_f32 s26, s26
	s_wait_alu 0xfffe
	s_delay_alu instid0(SALU_CYCLE_2) | instskip(SKIP_2) | instid1(SALU_CYCLE_1)
	s_fmamk_f32 s0, s26, 0xcf800000, s0
	s_cvt_u32_f32 s49, s26
	s_wait_alu 0xfffe
	s_cvt_u32_f32 s48, s0
	s_wait_alu 0xfffe
	s_delay_alu instid0(SALU_CYCLE_2)
	s_mul_u64 s[52:53], s[50:51], s[48:49]
	s_wait_alu 0xfffe
	s_mul_hi_u32 s55, s48, s53
	s_mul_i32 s54, s48, s53
	s_mul_hi_u32 s26, s48, s52
	s_mul_i32 s41, s49, s52
	s_wait_alu 0xfffe
	s_add_nc_u64 s[54:55], s[26:27], s[54:55]
	s_mul_hi_u32 s0, s49, s52
	s_mul_hi_u32 s45, s49, s53
	s_wait_alu 0xfffe
	s_add_co_u32 s26, s54, s41
	s_add_co_ci_u32 s26, s55, s0
	s_mul_i32 s52, s49, s53
	s_add_co_ci_u32 s53, s45, 0
	s_wait_alu 0xfffe
	s_add_nc_u64 s[52:53], s[26:27], s[52:53]
	s_wait_alu 0xfffe
	s_add_co_u32 s48, s48, s52
	s_cselect_b32 s0, -1, 0
	s_wait_alu 0xfffe
	s_cmp_lg_u32 s0, 0
	s_add_co_ci_u32 s49, s49, s53
	s_wait_alu 0xfffe
	s_mul_u64 s[50:51], s[50:51], s[48:49]
	s_wait_alu 0xfffe
	s_mul_hi_u32 s53, s48, s51
	s_mul_i32 s52, s48, s51
	s_mul_hi_u32 s26, s48, s50
	s_mul_i32 s41, s49, s50
	s_wait_alu 0xfffe
	s_add_nc_u64 s[52:53], s[26:27], s[52:53]
	s_mul_hi_u32 s0, s49, s50
	s_mul_hi_u32 s45, s49, s51
	s_wait_alu 0xfffe
	s_add_co_u32 s26, s52, s41
	s_add_co_ci_u32 s26, s53, s0
	s_mul_i32 s50, s49, s51
	s_add_co_ci_u32 s51, s45, 0
	s_wait_alu 0xfffe
	s_add_nc_u64 s[50:51], s[26:27], s[50:51]
	s_wait_alu 0xfffe
	s_add_co_u32 s0, s48, s50
	s_cselect_b32 s26, -1, 0
	s_wait_alu 0xfffe
	v_mul_hi_u32 v24, v22, s0
	s_cmp_lg_u32 s26, 0
	v_mad_co_u64_u32 v[14:15], null, v23, s0, 0
	s_add_co_ci_u32 s26, s49, s51
	s_wait_alu 0xfffe
	v_mad_co_u64_u32 v[12:13], null, v22, s26, 0
	v_mad_co_u64_u32 v[20:21], null, v23, s26, 0
	s_delay_alu instid0(VALU_DEP_2) | instskip(SKIP_1) | instid1(VALU_DEP_3)
	v_add_co_u32 v12, vcc_lo, v24, v12
	s_wait_alu 0xfffd
	v_add_co_ci_u32_e64 v13, null, 0, v13, vcc_lo
	s_delay_alu instid0(VALU_DEP_2) | instskip(SKIP_1) | instid1(VALU_DEP_2)
	v_add_co_u32 v12, vcc_lo, v12, v14
	s_wait_alu 0xfffd
	v_add_co_ci_u32_e32 v12, vcc_lo, v13, v15, vcc_lo
	s_wait_alu 0xfffd
	v_add_co_ci_u32_e32 v13, vcc_lo, 0, v21, vcc_lo
	s_delay_alu instid0(VALU_DEP_2) | instskip(SKIP_1) | instid1(VALU_DEP_2)
	v_add_co_u32 v14, vcc_lo, v12, v20
	s_wait_alu 0xfffd
	v_add_co_ci_u32_e64 v15, null, 0, v13, vcc_lo
	s_delay_alu instid0(VALU_DEP_2) | instskip(SKIP_1) | instid1(VALU_DEP_3)
	v_mul_lo_u32 v20, s47, v14
	v_mad_co_u64_u32 v[12:13], null, s46, v14, 0
	v_mul_lo_u32 v21, s46, v15
	s_delay_alu instid0(VALU_DEP_2) | instskip(NEXT) | instid1(VALU_DEP_2)
	v_sub_co_u32 v12, vcc_lo, v22, v12
	v_add3_u32 v13, v13, v21, v20
	v_add_co_u32 v21, s0, v14, 2
	s_wait_alu 0xf1ff
	v_add_co_ci_u32_e64 v22, null, 0, v15, s0
	s_delay_alu instid0(VALU_DEP_3) | instskip(SKIP_3) | instid1(VALU_DEP_3)
	v_sub_nc_u32_e32 v20, v23, v13
	v_sub_co_u32 v24, s0, v12, s46
	s_wait_alu 0xfffd
	v_sub_co_ci_u32_e64 v13, null, v23, v13, vcc_lo
	v_subrev_co_ci_u32_e64 v20, null, s47, v20, vcc_lo
	s_delay_alu instid0(VALU_DEP_3) | instskip(SKIP_1) | instid1(VALU_DEP_2)
	v_cmp_le_u32_e32 vcc_lo, s46, v24
	s_wait_alu 0xf1ff
	v_subrev_co_ci_u32_e64 v20, null, 0, v20, s0
	s_wait_alu 0xfffd
	v_cndmask_b32_e64 v23, 0, -1, vcc_lo
	s_delay_alu instid0(VALU_DEP_2)
	v_cmp_le_u32_e32 vcc_lo, s47, v20
	s_wait_alu 0xfffd
	v_cndmask_b32_e64 v24, 0, -1, vcc_lo
	v_cmp_le_u32_e32 vcc_lo, s46, v12
	s_wait_alu 0xfffd
	v_cndmask_b32_e64 v12, 0, -1, vcc_lo
	;; [unrolled: 3-line block ×3, first 2 shown]
	v_cmp_eq_u32_e32 vcc_lo, s47, v20
	s_wait_alu 0xfffd
	v_cndmask_b32_e32 v20, v24, v23, vcc_lo
	v_add_co_u32 v23, vcc_lo, v14, 1
	s_wait_alu 0xfffd
	v_add_co_ci_u32_e64 v24, null, 0, v15, vcc_lo
	v_cmp_eq_u32_e32 vcc_lo, s47, v13
	s_wait_alu 0xfffd
	v_cndmask_b32_e32 v12, v25, v12, vcc_lo
	v_cmp_ne_u32_e32 vcc_lo, 0, v20
	s_wait_alu 0xfffd
	v_cndmask_b32_e32 v13, v24, v22, vcc_lo
	s_delay_alu instid0(VALU_DEP_3) | instskip(SKIP_2) | instid1(VALU_DEP_2)
	v_cmp_ne_u32_e64 s0, 0, v12
	v_cndmask_b32_e32 v12, v23, v21, vcc_lo
	s_wait_alu 0xf1ff
	v_cndmask_b32_e64 v13, v15, v13, s0
	s_delay_alu instid0(VALU_DEP_2) | instskip(NEXT) | instid1(VALU_DEP_2)
	v_cndmask_b32_e64 v12, v14, v12, s0
	v_xor_b32_e32 v13, v13, v3
	s_delay_alu instid0(VALU_DEP_2) | instskip(NEXT) | instid1(VALU_DEP_1)
	v_xor_b32_e32 v12, v12, v3
	v_sub_co_u32 v12, vcc_lo, v12, v3
	s_wait_alu 0xfffd
	s_delay_alu instid0(VALU_DEP_3)
	v_sub_co_ci_u32_e64 v13, null, v13, v3, vcc_lo
.LBB27_15:                              ;   in Loop: Header=BB27_3 Depth=1
	s_wait_alu 0xfffe
	s_and_not1_saveexec_b32 s0, s1
	s_cbranch_execz .LBB27_17
; %bb.16:                               ;   in Loop: Header=BB27_3 Depth=1
	v_cvt_f32_u32_e32 v3, s42
	s_sub_co_i32 s1, 0, s42
	s_delay_alu instid0(VALU_DEP_1) | instskip(NEXT) | instid1(TRANS32_DEP_1)
	v_rcp_iflag_f32_e32 v3, v3
	v_mul_f32_e32 v3, 0x4f7ffffe, v3
	s_delay_alu instid0(VALU_DEP_1) | instskip(SKIP_1) | instid1(VALU_DEP_1)
	v_cvt_u32_f32_e32 v3, v3
	s_wait_alu 0xfffe
	v_mul_lo_u32 v12, s1, v3
	s_delay_alu instid0(VALU_DEP_1) | instskip(NEXT) | instid1(VALU_DEP_1)
	v_mul_hi_u32 v12, v3, v12
	v_add_nc_u32_e32 v3, v3, v12
	s_delay_alu instid0(VALU_DEP_1) | instskip(NEXT) | instid1(VALU_DEP_1)
	v_mul_hi_u32 v3, v10, v3
	v_mul_lo_u32 v12, v3, s42
	v_add_nc_u32_e32 v13, 1, v3
	s_delay_alu instid0(VALU_DEP_2) | instskip(NEXT) | instid1(VALU_DEP_1)
	v_sub_nc_u32_e32 v12, v10, v12
	v_subrev_nc_u32_e32 v14, s42, v12
	v_cmp_le_u32_e32 vcc_lo, s42, v12
	s_wait_alu 0xfffd
	s_delay_alu instid0(VALU_DEP_2) | instskip(NEXT) | instid1(VALU_DEP_1)
	v_dual_cndmask_b32 v12, v12, v14 :: v_dual_cndmask_b32 v3, v3, v13
	v_cmp_le_u32_e32 vcc_lo, s42, v12
	s_delay_alu instid0(VALU_DEP_2) | instskip(SKIP_1) | instid1(VALU_DEP_1)
	v_add_nc_u32_e32 v13, 1, v3
	s_wait_alu 0xfffd
	v_dual_cndmask_b32 v12, v3, v13 :: v_dual_mov_b32 v13, v2
.LBB27_17:                              ;   in Loop: Header=BB27_3 Depth=1
	s_wait_alu 0xfffe
	s_or_b32 exec_lo, exec_lo, s0
	s_delay_alu instid0(VALU_DEP_1) | instskip(NEXT) | instid1(VALU_DEP_2)
	v_mul_lo_u32 v3, v13, s42
	v_mul_lo_u32 v20, v12, s43
	s_load_b64 s[0:1], s[34:35], 0xd0
	v_mad_co_u64_u32 v[14:15], null, v12, s42, 0
	s_load_b64 s[42:43], s[36:37], 0xd0
	v_add3_u32 v3, v15, v20, v3
	v_sub_co_u32 v10, vcc_lo, v10, v14
	s_wait_alu 0xfffd
	s_delay_alu instid0(VALU_DEP_2) | instskip(SKIP_1) | instid1(VALU_DEP_1)
	v_sub_co_ci_u32_e64 v3, null, v11, v3, vcc_lo
	s_wait_kmcnt 0x0
	v_mul_lo_u32 v11, s0, v3
	v_mul_lo_u32 v14, s1, v10
	v_mad_co_u64_u32 v[8:9], null, s0, v10, v[8:9]
	v_mul_lo_u32 v3, s42, v3
	v_mul_lo_u32 v15, s43, v10
	v_mad_co_u64_u32 v[6:7], null, s42, v10, v[6:7]
	s_mov_b64 s[0:1], s[30:31]
	v_add3_u32 v9, v14, v9, v11
	v_dual_mov_b32 v10, v12 :: v_dual_mov_b32 v11, v13
	v_add3_u32 v7, v15, v7, v3
	s_and_not1_b32 vcc_lo, exec_lo, s61
	s_wait_alu 0xfffe
	s_cbranch_vccz .LBB27_19
	s_branch .LBB27_29
.LBB27_18:                              ;   in Loop: Header=BB27_3 Depth=1
	s_mov_b64 s[0:1], s[28:29]
	s_and_not1_b32 vcc_lo, exec_lo, s61
	s_wait_alu 0xfffe
	s_cbranch_vccnz .LBB27_29
.LBB27_19:                              ;   in Loop: Header=BB27_3 Depth=1
	s_lshl_b64 s[44:45], s[0:1], 3
	s_add_nc_u64 s[46:47], s[0:1], 1
	s_wait_alu 0xfffe
	s_add_nc_u64 s[42:43], s[38:39], s[44:45]
	s_add_nc_u64 s[44:45], s[20:21], s[44:45]
	s_branch .LBB27_21
.LBB27_20:                              ;   in Loop: Header=BB27_21 Depth=2
	s_wait_alu 0xfffe
	s_or_b32 exec_lo, exec_lo, s0
	v_mul_lo_u32 v3, v13, s48
	v_mul_lo_u32 v24, v12, s49
	v_mad_co_u64_u32 v[20:21], null, v12, s48, 0
	s_load_b64 s[0:1], s[44:45], 0xc8
	s_load_b64 s[48:49], s[42:43], 0x0
	v_mul_lo_u32 v25, v15, s54
	v_mul_lo_u32 v26, v14, s55
	v_mad_co_u64_u32 v[22:23], null, v14, s54, 0
	v_add3_u32 v3, v21, v24, v3
	v_sub_co_u32 v10, vcc_lo, v10, v20
	s_add_nc_u64 s[46:47], s[46:47], -2
	s_add_nc_u64 s[42:43], s[42:43], -16
	s_wait_alu 0xfffd
	v_sub_co_ci_u32_e64 v3, null, v11, v3, vcc_lo
	v_mul_lo_u32 v11, s53, v10
	v_mad_co_u64_u32 v[8:9], null, s52, v10, v[8:9]
	s_delay_alu instid0(VALU_DEP_3)
	v_mul_lo_u32 v20, s52, v3
	v_mul_lo_u32 v21, s51, v10
	v_mad_co_u64_u32 v[6:7], null, s50, v10, v[6:7]
	v_mul_lo_u32 v3, s50, v3
	v_add3_u32 v10, v23, v26, v25
	s_wait_alu 0xfffe
	s_cmp_eq_u64 s[46:47], 0
	s_add_nc_u64 s[44:45], s[44:45], -16
	v_add3_u32 v9, v11, v9, v20
	v_sub_co_u32 v11, vcc_lo, v12, v22
	s_wait_alu 0xfffd
	v_sub_co_ci_u32_e64 v10, null, v13, v10, vcc_lo
	v_add3_u32 v7, v21, v7, v3
	s_wait_kmcnt 0x0
	v_mad_co_u64_u32 v[8:9], null, s0, v11, v[8:9]
	s_delay_alu instid0(VALU_DEP_3) | instskip(SKIP_4) | instid1(VALU_DEP_4)
	v_mul_lo_u32 v3, s0, v10
	v_mul_lo_u32 v12, s1, v11
	;; [unrolled: 1-line block ×4, first 2 shown]
	v_mad_co_u64_u32 v[6:7], null, s48, v11, v[6:7]
	v_add3_u32 v9, v12, v9, v3
	s_delay_alu instid0(VALU_DEP_2)
	v_add3_u32 v7, v13, v7, v10
	v_dual_mov_b32 v10, v14 :: v_dual_mov_b32 v11, v15
	s_cbranch_scc1 .LBB27_29
.LBB27_21:                              ;   Parent Loop BB27_3 Depth=1
                                        ; =>  This Inner Loop Header: Depth=2
	s_load_b64 s[48:49], s[44:45], 0x8
                                        ; implicit-def: $vgpr12_vgpr13
	s_mov_b32 s0, exec_lo
	s_wait_kmcnt 0x0
	v_or_b32_e32 v3, s49, v11
	s_delay_alu instid0(VALU_DEP_1)
	v_cmpx_ne_u64_e32 0, v[2:3]
	s_wait_alu 0xfffe
	s_xor_b32 s1, exec_lo, s0
	s_cbranch_execz .LBB27_23
; %bb.22:                               ;   in Loop: Header=BB27_21 Depth=2
	s_ashr_i32 s50, s49, 31
	v_ashrrev_i32_e32 v3, 31, v11
	s_wait_alu 0xfffe
	s_mov_b32 s51, s50
	s_wait_alu 0xfffe
	s_add_nc_u64 s[52:53], s[48:49], s[50:51]
	v_add_co_u32 v12, vcc_lo, v10, v3
	s_wait_alu 0xfffe
	s_xor_b64 s[52:53], s[52:53], s[50:51]
	s_wait_alu 0xfffd
	v_add_co_ci_u32_e64 v13, null, v11, v3, vcc_lo
	s_wait_alu 0xfffe
	s_cvt_f32_u32 s0, s52
	s_cvt_f32_u32 s26, s53
	s_sub_nc_u64 s[56:57], 0, s[52:53]
	v_xor_b32_e32 v22, v12, v3
	v_xor_b32_e32 v23, v13, v3
	s_wait_alu 0xfffe
	s_fmamk_f32 s0, s26, 0x4f800000, s0
	v_xor_b32_e32 v3, s50, v3
	s_wait_alu 0xfffe
	s_delay_alu instid0(SALU_CYCLE_1) | instskip(NEXT) | instid1(TRANS32_DEP_1)
	v_s_rcp_f32 s0, s0
	s_mul_f32 s0, s0, 0x5f7ffffc
	s_wait_alu 0xfffe
	s_delay_alu instid0(SALU_CYCLE_2) | instskip(SKIP_1) | instid1(SALU_CYCLE_2)
	s_mul_f32 s26, s0, 0x2f800000
	s_wait_alu 0xfffe
	s_trunc_f32 s26, s26
	s_wait_alu 0xfffe
	s_delay_alu instid0(SALU_CYCLE_2) | instskip(SKIP_2) | instid1(SALU_CYCLE_1)
	s_fmamk_f32 s0, s26, 0xcf800000, s0
	s_cvt_u32_f32 s55, s26
	s_wait_alu 0xfffe
	s_cvt_u32_f32 s54, s0
	s_wait_alu 0xfffe
	s_delay_alu instid0(SALU_CYCLE_2)
	s_mul_u64 s[58:59], s[56:57], s[54:55]
	s_wait_alu 0xfffe
	s_mul_hi_u32 s65, s54, s59
	s_mul_i32 s64, s54, s59
	s_mul_hi_u32 s26, s54, s58
	s_mul_i32 s41, s55, s58
	s_wait_alu 0xfffe
	s_add_nc_u64 s[64:65], s[26:27], s[64:65]
	s_mul_hi_u32 s0, s55, s58
	s_mul_hi_u32 s51, s55, s59
	s_add_co_u32 s26, s64, s41
	s_wait_alu 0xfffe
	s_add_co_ci_u32 s26, s65, s0
	s_mul_i32 s58, s55, s59
	s_add_co_ci_u32 s59, s51, 0
	s_wait_alu 0xfffe
	s_add_nc_u64 s[58:59], s[26:27], s[58:59]
	s_wait_alu 0xfffe
	s_add_co_u32 s54, s54, s58
	s_cselect_b32 s0, -1, 0
	s_wait_alu 0xfffe
	s_cmp_lg_u32 s0, 0
	s_add_co_ci_u32 s55, s55, s59
	s_wait_alu 0xfffe
	s_mul_u64 s[56:57], s[56:57], s[54:55]
	s_wait_alu 0xfffe
	s_mul_hi_u32 s59, s54, s57
	s_mul_i32 s58, s54, s57
	s_mul_hi_u32 s26, s54, s56
	s_mul_i32 s41, s55, s56
	s_wait_alu 0xfffe
	s_add_nc_u64 s[58:59], s[26:27], s[58:59]
	s_mul_hi_u32 s0, s55, s56
	s_mul_hi_u32 s51, s55, s57
	s_wait_alu 0xfffe
	s_add_co_u32 s26, s58, s41
	s_add_co_ci_u32 s26, s59, s0
	s_mul_i32 s56, s55, s57
	s_add_co_ci_u32 s57, s51, 0
	s_wait_alu 0xfffe
	s_add_nc_u64 s[56:57], s[26:27], s[56:57]
	s_wait_alu 0xfffe
	s_add_co_u32 s0, s54, s56
	s_cselect_b32 s26, -1, 0
	s_wait_alu 0xfffe
	v_mul_hi_u32 v24, v22, s0
	s_cmp_lg_u32 s26, 0
	v_mad_co_u64_u32 v[14:15], null, v23, s0, 0
	s_add_co_ci_u32 s26, s55, s57
	s_wait_alu 0xfffe
	v_mad_co_u64_u32 v[12:13], null, v22, s26, 0
	v_mad_co_u64_u32 v[20:21], null, v23, s26, 0
	s_delay_alu instid0(VALU_DEP_2) | instskip(SKIP_1) | instid1(VALU_DEP_3)
	v_add_co_u32 v12, vcc_lo, v24, v12
	s_wait_alu 0xfffd
	v_add_co_ci_u32_e64 v13, null, 0, v13, vcc_lo
	s_delay_alu instid0(VALU_DEP_2) | instskip(SKIP_1) | instid1(VALU_DEP_2)
	v_add_co_u32 v12, vcc_lo, v12, v14
	s_wait_alu 0xfffd
	v_add_co_ci_u32_e32 v12, vcc_lo, v13, v15, vcc_lo
	s_wait_alu 0xfffd
	v_add_co_ci_u32_e32 v13, vcc_lo, 0, v21, vcc_lo
	s_delay_alu instid0(VALU_DEP_2) | instskip(SKIP_1) | instid1(VALU_DEP_2)
	v_add_co_u32 v14, vcc_lo, v12, v20
	s_wait_alu 0xfffd
	v_add_co_ci_u32_e64 v15, null, 0, v13, vcc_lo
	s_delay_alu instid0(VALU_DEP_2) | instskip(SKIP_1) | instid1(VALU_DEP_3)
	v_mul_lo_u32 v20, s53, v14
	v_mad_co_u64_u32 v[12:13], null, s52, v14, 0
	v_mul_lo_u32 v21, s52, v15
	s_delay_alu instid0(VALU_DEP_2) | instskip(NEXT) | instid1(VALU_DEP_2)
	v_sub_co_u32 v12, vcc_lo, v22, v12
	v_add3_u32 v13, v13, v21, v20
	v_add_co_u32 v21, s0, v14, 2
	s_wait_alu 0xf1ff
	v_add_co_ci_u32_e64 v22, null, 0, v15, s0
	s_delay_alu instid0(VALU_DEP_3) | instskip(SKIP_3) | instid1(VALU_DEP_3)
	v_sub_nc_u32_e32 v20, v23, v13
	v_sub_co_u32 v24, s0, v12, s52
	s_wait_alu 0xfffd
	v_sub_co_ci_u32_e64 v13, null, v23, v13, vcc_lo
	v_subrev_co_ci_u32_e64 v20, null, s53, v20, vcc_lo
	s_delay_alu instid0(VALU_DEP_3) | instskip(SKIP_1) | instid1(VALU_DEP_2)
	v_cmp_le_u32_e32 vcc_lo, s52, v24
	s_wait_alu 0xf1ff
	v_subrev_co_ci_u32_e64 v20, null, 0, v20, s0
	s_wait_alu 0xfffd
	v_cndmask_b32_e64 v23, 0, -1, vcc_lo
	s_delay_alu instid0(VALU_DEP_2)
	v_cmp_le_u32_e32 vcc_lo, s53, v20
	s_wait_alu 0xfffd
	v_cndmask_b32_e64 v24, 0, -1, vcc_lo
	v_cmp_le_u32_e32 vcc_lo, s52, v12
	s_wait_alu 0xfffd
	v_cndmask_b32_e64 v12, 0, -1, vcc_lo
	;; [unrolled: 3-line block ×3, first 2 shown]
	v_cmp_eq_u32_e32 vcc_lo, s53, v20
	s_wait_alu 0xfffd
	v_cndmask_b32_e32 v20, v24, v23, vcc_lo
	v_add_co_u32 v23, vcc_lo, v14, 1
	s_wait_alu 0xfffd
	v_add_co_ci_u32_e64 v24, null, 0, v15, vcc_lo
	v_cmp_eq_u32_e32 vcc_lo, s53, v13
	s_wait_alu 0xfffd
	v_cndmask_b32_e32 v12, v25, v12, vcc_lo
	v_cmp_ne_u32_e32 vcc_lo, 0, v20
	s_wait_alu 0xfffd
	v_cndmask_b32_e32 v13, v24, v22, vcc_lo
	s_delay_alu instid0(VALU_DEP_3) | instskip(SKIP_2) | instid1(VALU_DEP_2)
	v_cmp_ne_u32_e64 s0, 0, v12
	v_cndmask_b32_e32 v12, v23, v21, vcc_lo
	s_wait_alu 0xf1ff
	v_cndmask_b32_e64 v13, v15, v13, s0
	s_delay_alu instid0(VALU_DEP_2) | instskip(NEXT) | instid1(VALU_DEP_2)
	v_cndmask_b32_e64 v12, v14, v12, s0
	v_xor_b32_e32 v13, v13, v3
	s_delay_alu instid0(VALU_DEP_2) | instskip(NEXT) | instid1(VALU_DEP_1)
	v_xor_b32_e32 v12, v12, v3
	v_sub_co_u32 v12, vcc_lo, v12, v3
	s_wait_alu 0xfffd
	s_delay_alu instid0(VALU_DEP_3)
	v_sub_co_ci_u32_e64 v13, null, v13, v3, vcc_lo
.LBB27_23:                              ;   in Loop: Header=BB27_21 Depth=2
	s_wait_alu 0xfffe
	s_and_not1_saveexec_b32 s0, s1
	s_cbranch_execz .LBB27_25
; %bb.24:                               ;   in Loop: Header=BB27_21 Depth=2
	v_cvt_f32_u32_e32 v3, s48
	s_sub_co_i32 s1, 0, s48
	s_delay_alu instid0(VALU_DEP_1) | instskip(NEXT) | instid1(TRANS32_DEP_1)
	v_rcp_iflag_f32_e32 v3, v3
	v_mul_f32_e32 v3, 0x4f7ffffe, v3
	s_delay_alu instid0(VALU_DEP_1) | instskip(SKIP_1) | instid1(VALU_DEP_1)
	v_cvt_u32_f32_e32 v3, v3
	s_wait_alu 0xfffe
	v_mul_lo_u32 v12, s1, v3
	s_delay_alu instid0(VALU_DEP_1) | instskip(NEXT) | instid1(VALU_DEP_1)
	v_mul_hi_u32 v12, v3, v12
	v_add_nc_u32_e32 v3, v3, v12
	s_delay_alu instid0(VALU_DEP_1) | instskip(NEXT) | instid1(VALU_DEP_1)
	v_mul_hi_u32 v3, v10, v3
	v_mul_lo_u32 v12, v3, s48
	v_add_nc_u32_e32 v13, 1, v3
	s_delay_alu instid0(VALU_DEP_2) | instskip(NEXT) | instid1(VALU_DEP_1)
	v_sub_nc_u32_e32 v12, v10, v12
	v_subrev_nc_u32_e32 v14, s48, v12
	v_cmp_le_u32_e32 vcc_lo, s48, v12
	s_wait_alu 0xfffd
	s_delay_alu instid0(VALU_DEP_2) | instskip(NEXT) | instid1(VALU_DEP_1)
	v_dual_cndmask_b32 v12, v12, v14 :: v_dual_cndmask_b32 v3, v3, v13
	v_cmp_le_u32_e32 vcc_lo, s48, v12
	s_delay_alu instid0(VALU_DEP_2) | instskip(SKIP_1) | instid1(VALU_DEP_1)
	v_add_nc_u32_e32 v13, 1, v3
	s_wait_alu 0xfffd
	v_dual_cndmask_b32 v12, v3, v13 :: v_dual_mov_b32 v13, v2
.LBB27_25:                              ;   in Loop: Header=BB27_21 Depth=2
	s_wait_alu 0xfffe
	s_or_b32 exec_lo, exec_lo, s0
	s_clause 0x1
	s_load_b64 s[54:55], s[44:45], 0x0
	s_load_b64 s[52:53], s[44:45], 0xd0
	;; [unrolled: 1-line block ×3, first 2 shown]
                                        ; implicit-def: $vgpr14_vgpr15
	s_mov_b32 s0, exec_lo
	s_wait_kmcnt 0x0
	v_or_b32_e32 v3, s55, v13
	s_delay_alu instid0(VALU_DEP_1)
	v_cmpx_ne_u64_e32 0, v[2:3]
	s_wait_alu 0xfffe
	s_xor_b32 s1, exec_lo, s0
	s_cbranch_execz .LBB27_27
; %bb.26:                               ;   in Loop: Header=BB27_21 Depth=2
	s_ashr_i32 s56, s55, 31
	v_ashrrev_i32_e32 v3, 31, v13
	s_wait_alu 0xfffe
	s_mov_b32 s57, s56
	s_wait_alu 0xfffe
	s_add_nc_u64 s[58:59], s[54:55], s[56:57]
	v_add_co_u32 v14, vcc_lo, v12, v3
	s_wait_alu 0xfffe
	s_xor_b64 s[58:59], s[58:59], s[56:57]
	s_wait_alu 0xfffd
	v_add_co_ci_u32_e64 v15, null, v13, v3, vcc_lo
	s_wait_alu 0xfffe
	s_cvt_f32_u32 s0, s58
	s_cvt_f32_u32 s26, s59
	s_sub_nc_u64 s[66:67], 0, s[58:59]
	v_xor_b32_e32 v24, v14, v3
	v_xor_b32_e32 v25, v15, v3
	s_wait_alu 0xfffe
	s_fmamk_f32 s0, s26, 0x4f800000, s0
	v_xor_b32_e32 v3, s56, v3
	s_wait_alu 0xfffe
	s_delay_alu instid0(SALU_CYCLE_1) | instskip(NEXT) | instid1(TRANS32_DEP_1)
	v_s_rcp_f32 s0, s0
	s_mul_f32 s0, s0, 0x5f7ffffc
	s_wait_alu 0xfffe
	s_delay_alu instid0(SALU_CYCLE_2) | instskip(SKIP_1) | instid1(SALU_CYCLE_2)
	s_mul_f32 s26, s0, 0x2f800000
	s_wait_alu 0xfffe
	s_trunc_f32 s26, s26
	s_wait_alu 0xfffe
	s_delay_alu instid0(SALU_CYCLE_2) | instskip(SKIP_2) | instid1(SALU_CYCLE_1)
	s_fmamk_f32 s0, s26, 0xcf800000, s0
	s_cvt_u32_f32 s65, s26
	s_wait_alu 0xfffe
	s_cvt_u32_f32 s64, s0
	s_delay_alu instid0(SALU_CYCLE_3) | instskip(NEXT) | instid1(SALU_CYCLE_1)
	s_mul_u64 s[68:69], s[66:67], s[64:65]
	s_mul_hi_u32 s71, s64, s69
	s_mul_i32 s70, s64, s69
	s_mul_hi_u32 s26, s64, s68
	s_mul_i32 s41, s65, s68
	s_wait_alu 0xfffe
	s_add_nc_u64 s[70:71], s[26:27], s[70:71]
	s_mul_hi_u32 s0, s65, s68
	s_mul_hi_u32 s57, s65, s69
	s_add_co_u32 s26, s70, s41
	s_wait_alu 0xfffe
	s_add_co_ci_u32 s26, s71, s0
	s_mul_i32 s68, s65, s69
	s_add_co_ci_u32 s69, s57, 0
	s_wait_alu 0xfffe
	s_add_nc_u64 s[68:69], s[26:27], s[68:69]
	s_delay_alu instid0(SALU_CYCLE_1) | instskip(SKIP_4) | instid1(SALU_CYCLE_1)
	s_add_co_u32 s64, s64, s68
	s_cselect_b32 s0, -1, 0
	s_wait_alu 0xfffe
	s_cmp_lg_u32 s0, 0
	s_add_co_ci_u32 s65, s65, s69
	s_mul_u64 s[66:67], s[66:67], s[64:65]
	s_delay_alu instid0(SALU_CYCLE_1)
	s_mul_hi_u32 s69, s64, s67
	s_mul_i32 s68, s64, s67
	s_mul_hi_u32 s26, s64, s66
	s_mul_i32 s41, s65, s66
	s_wait_alu 0xfffe
	s_add_nc_u64 s[68:69], s[26:27], s[68:69]
	s_mul_hi_u32 s0, s65, s66
	s_mul_hi_u32 s57, s65, s67
	s_add_co_u32 s26, s68, s41
	s_wait_alu 0xfffe
	s_add_co_ci_u32 s26, s69, s0
	s_mul_i32 s66, s65, s67
	s_add_co_ci_u32 s67, s57, 0
	s_wait_alu 0xfffe
	s_add_nc_u64 s[66:67], s[26:27], s[66:67]
	s_delay_alu instid0(SALU_CYCLE_1)
	s_add_co_u32 s0, s64, s66
	s_cselect_b32 s26, -1, 0
	s_wait_alu 0xfffe
	v_mul_hi_u32 v26, v24, s0
	s_cmp_lg_u32 s26, 0
	v_mad_co_u64_u32 v[20:21], null, v25, s0, 0
	s_add_co_ci_u32 s26, s65, s67
	s_wait_alu 0xfffe
	v_mad_co_u64_u32 v[14:15], null, v24, s26, 0
	v_mad_co_u64_u32 v[22:23], null, v25, s26, 0
	s_delay_alu instid0(VALU_DEP_2) | instskip(SKIP_1) | instid1(VALU_DEP_3)
	v_add_co_u32 v14, vcc_lo, v26, v14
	s_wait_alu 0xfffd
	v_add_co_ci_u32_e64 v15, null, 0, v15, vcc_lo
	s_delay_alu instid0(VALU_DEP_2) | instskip(SKIP_1) | instid1(VALU_DEP_2)
	v_add_co_u32 v14, vcc_lo, v14, v20
	s_wait_alu 0xfffd
	v_add_co_ci_u32_e32 v14, vcc_lo, v15, v21, vcc_lo
	s_wait_alu 0xfffd
	v_add_co_ci_u32_e32 v15, vcc_lo, 0, v23, vcc_lo
	s_delay_alu instid0(VALU_DEP_2) | instskip(SKIP_1) | instid1(VALU_DEP_2)
	v_add_co_u32 v20, vcc_lo, v14, v22
	s_wait_alu 0xfffd
	v_add_co_ci_u32_e64 v21, null, 0, v15, vcc_lo
	s_delay_alu instid0(VALU_DEP_2) | instskip(SKIP_1) | instid1(VALU_DEP_3)
	v_mul_lo_u32 v22, s59, v20
	v_mad_co_u64_u32 v[14:15], null, s58, v20, 0
	v_mul_lo_u32 v23, s58, v21
	s_delay_alu instid0(VALU_DEP_2) | instskip(NEXT) | instid1(VALU_DEP_2)
	v_sub_co_u32 v14, vcc_lo, v24, v14
	v_add3_u32 v15, v15, v23, v22
	v_add_co_u32 v23, s0, v20, 2
	s_wait_alu 0xf1ff
	v_add_co_ci_u32_e64 v24, null, 0, v21, s0
	s_delay_alu instid0(VALU_DEP_3) | instskip(SKIP_3) | instid1(VALU_DEP_3)
	v_sub_nc_u32_e32 v22, v25, v15
	v_sub_co_u32 v26, s0, v14, s58
	s_wait_alu 0xfffd
	v_sub_co_ci_u32_e64 v15, null, v25, v15, vcc_lo
	v_subrev_co_ci_u32_e64 v22, null, s59, v22, vcc_lo
	s_delay_alu instid0(VALU_DEP_3) | instskip(SKIP_1) | instid1(VALU_DEP_2)
	v_cmp_le_u32_e32 vcc_lo, s58, v26
	s_wait_alu 0xf1ff
	v_subrev_co_ci_u32_e64 v22, null, 0, v22, s0
	s_wait_alu 0xfffd
	v_cndmask_b32_e64 v25, 0, -1, vcc_lo
	s_delay_alu instid0(VALU_DEP_2)
	v_cmp_le_u32_e32 vcc_lo, s59, v22
	s_wait_alu 0xfffd
	v_cndmask_b32_e64 v26, 0, -1, vcc_lo
	v_cmp_le_u32_e32 vcc_lo, s58, v14
	s_wait_alu 0xfffd
	v_cndmask_b32_e64 v14, 0, -1, vcc_lo
	;; [unrolled: 3-line block ×3, first 2 shown]
	v_cmp_eq_u32_e32 vcc_lo, s59, v22
	s_wait_alu 0xfffd
	v_cndmask_b32_e32 v22, v26, v25, vcc_lo
	v_add_co_u32 v25, vcc_lo, v20, 1
	s_wait_alu 0xfffd
	v_add_co_ci_u32_e64 v26, null, 0, v21, vcc_lo
	v_cmp_eq_u32_e32 vcc_lo, s59, v15
	s_wait_alu 0xfffd
	v_cndmask_b32_e32 v14, v27, v14, vcc_lo
	v_cmp_ne_u32_e32 vcc_lo, 0, v22
	s_wait_alu 0xfffd
	v_cndmask_b32_e32 v15, v26, v24, vcc_lo
	s_delay_alu instid0(VALU_DEP_3) | instskip(SKIP_2) | instid1(VALU_DEP_2)
	v_cmp_ne_u32_e64 s0, 0, v14
	v_cndmask_b32_e32 v14, v25, v23, vcc_lo
	s_wait_alu 0xf1ff
	v_cndmask_b32_e64 v15, v21, v15, s0
	s_delay_alu instid0(VALU_DEP_2) | instskip(NEXT) | instid1(VALU_DEP_2)
	v_cndmask_b32_e64 v14, v20, v14, s0
	v_xor_b32_e32 v15, v15, v3
	s_delay_alu instid0(VALU_DEP_2) | instskip(NEXT) | instid1(VALU_DEP_1)
	v_xor_b32_e32 v14, v14, v3
	v_sub_co_u32 v14, vcc_lo, v14, v3
	s_wait_alu 0xfffd
	s_delay_alu instid0(VALU_DEP_3)
	v_sub_co_ci_u32_e64 v15, null, v15, v3, vcc_lo
.LBB27_27:                              ;   in Loop: Header=BB27_21 Depth=2
	s_wait_alu 0xfffe
	s_and_not1_saveexec_b32 s0, s1
	s_cbranch_execz .LBB27_20
; %bb.28:                               ;   in Loop: Header=BB27_21 Depth=2
	v_cvt_f32_u32_e32 v3, s54
	s_sub_co_i32 s1, 0, s54
	s_delay_alu instid0(VALU_DEP_1) | instskip(NEXT) | instid1(TRANS32_DEP_1)
	v_rcp_iflag_f32_e32 v3, v3
	v_mul_f32_e32 v3, 0x4f7ffffe, v3
	s_delay_alu instid0(VALU_DEP_1) | instskip(SKIP_1) | instid1(VALU_DEP_1)
	v_cvt_u32_f32_e32 v3, v3
	s_wait_alu 0xfffe
	v_mul_lo_u32 v14, s1, v3
	s_delay_alu instid0(VALU_DEP_1) | instskip(NEXT) | instid1(VALU_DEP_1)
	v_mul_hi_u32 v14, v3, v14
	v_add_nc_u32_e32 v3, v3, v14
	s_delay_alu instid0(VALU_DEP_1) | instskip(NEXT) | instid1(VALU_DEP_1)
	v_mul_hi_u32 v3, v12, v3
	v_mul_lo_u32 v14, v3, s54
	v_add_nc_u32_e32 v15, 1, v3
	s_delay_alu instid0(VALU_DEP_2) | instskip(NEXT) | instid1(VALU_DEP_1)
	v_sub_nc_u32_e32 v14, v12, v14
	v_subrev_nc_u32_e32 v20, s54, v14
	v_cmp_le_u32_e32 vcc_lo, s54, v14
	s_wait_alu 0xfffd
	s_delay_alu instid0(VALU_DEP_2) | instskip(NEXT) | instid1(VALU_DEP_1)
	v_dual_cndmask_b32 v14, v14, v20 :: v_dual_cndmask_b32 v3, v3, v15
	v_cmp_le_u32_e32 vcc_lo, s54, v14
	s_delay_alu instid0(VALU_DEP_2) | instskip(SKIP_1) | instid1(VALU_DEP_1)
	v_add_nc_u32_e32 v15, 1, v3
	s_wait_alu 0xfffd
	v_dual_cndmask_b32 v14, v3, v15 :: v_dual_mov_b32 v15, v2
	s_branch .LBB27_20
.LBB27_29:                              ;   in Loop: Header=BB27_3 Depth=1
	v_sub_co_u32 v10, vcc_lo, v4, v18
	s_wait_alu 0xfffd
	v_sub_co_ci_u32_e64 v11, null, v5, v19, vcc_lo
	v_dual_mov_b32 v13, 0 :: v_dual_mov_b32 v12, 0
	s_mov_b32 s0, exec_lo
	s_delay_alu instid0(VALU_DEP_2)
	v_cmpx_ge_i64_e64 s[4:5], v[10:11]
	s_cbranch_execz .LBB27_35
; %bb.30:                               ;   in Loop: Header=BB27_3 Depth=1
	v_dual_mov_b32 v12, 0 :: v_dual_mov_b32 v3, 0
	s_mov_b32 s1, exec_lo
	v_cmpx_gt_i64_e64 s[10:11], v[4:5]
	s_cbranch_execz .LBB27_34
; %bb.31:                               ;   in Loop: Header=BB27_3 Depth=1
	v_lshlrev_b64_e32 v[8:9], 2, v[8:9]
	v_mov_b32_e32 v3, 0
	s_mov_b32 s26, exec_lo
	s_delay_alu instid0(VALU_DEP_2) | instskip(SKIP_1) | instid1(VALU_DEP_3)
	v_add_co_u32 v8, vcc_lo, s2, v8
	s_wait_alu 0xfffd
	v_add_co_ci_u32_e64 v9, null, s3, v9, vcc_lo
	v_add_co_u32 v13, vcc_lo, v4, 1
	s_wait_alu 0xfffd
	v_add_co_ci_u32_e64 v14, null, 0, v5, vcc_lo
	global_load_b32 v12, v[8:9], off
	v_cmpx_gt_i64_e64 s[10:11], v[13:14]
	s_wait_alu 0xfffe
	s_xor_b32 s26, exec_lo, s26
	s_cbranch_execz .LBB27_33
; %bb.32:                               ;   in Loop: Header=BB27_3 Depth=1
	s_lshl_b64 s[42:43], s[14:15], 2
	s_wait_alu 0xfffe
	v_add_co_u32 v8, vcc_lo, v8, s42
	s_wait_alu 0xfffd
	v_add_co_ci_u32_e64 v9, null, s43, v9, vcc_lo
	global_load_b32 v3, v[8:9], off
.LBB27_33:                              ;   in Loop: Header=BB27_3 Depth=1
	s_wait_alu 0xfffe
	s_or_b32 exec_lo, exec_lo, s26
.LBB27_34:                              ;   in Loop: Header=BB27_3 Depth=1
	s_wait_alu 0xfffe
	s_or_b32 exec_lo, exec_lo, s1
	v_add_co_u32 v8, vcc_lo, v10, 1
	s_wait_alu 0xfffd
	v_add_co_ci_u32_e64 v9, null, 0, v11, vcc_lo
	s_delay_alu instid0(VALU_DEP_1)
	v_cmp_ge_i64_e32 vcc_lo, s[4:5], v[8:9]
	s_wait_loadcnt 0x0
	s_wait_alu 0xfffd
	v_cndmask_b32_e32 v13, 0, v3, vcc_lo
.LBB27_35:                              ;   in Loop: Header=BB27_3 Depth=1
	s_wait_alu 0xfffe
	s_or_b32 exec_lo, exec_lo, s0
	s_delay_alu instid0(SALU_CYCLE_1)
	s_mov_b32 s0, exec_lo
	v_cmpx_gt_i64_e64 s[10:11], v[4:5]
	s_cbranch_execz .LBB27_2
; %bb.36:                               ;   in Loop: Header=BB27_3 Depth=1
	v_lshlrev_b64_e32 v[6:7], 2, v[6:7]
	v_add_co_u32 v8, vcc_lo, v4, 1
	s_wait_alu 0xfffd
	v_add_co_ci_u32_e64 v9, null, 0, v5, vcc_lo
	s_mov_b32 s1, exec_lo
	v_add_co_u32 v3, vcc_lo, s24, v6
	s_wait_alu 0xfffd
	v_add_co_ci_u32_e64 v4, null, s25, v7, vcc_lo
	global_store_b32 v[3:4], v12, off
	v_cmpx_gt_i64_e64 s[10:11], v[8:9]
	s_wait_alu 0xfffe
	s_xor_b32 s1, exec_lo, s1
	s_cbranch_execz .LBB27_2
; %bb.37:                               ;   in Loop: Header=BB27_3 Depth=1
	s_lshl_b64 s[42:43], s[18:19], 2
	s_wait_alu 0xfffe
	v_add_co_u32 v3, vcc_lo, v3, s42
	s_wait_alu 0xfffd
	v_add_co_ci_u32_e64 v4, null, s43, v4, vcc_lo
	global_store_b32 v[3:4], v13, off
	s_branch .LBB27_2
.LBB27_38:
	s_endpgm
	.section	.rodata,"a",@progbits
	.p2align	6, 0x0
	.amdhsa_kernel _ZN2at6native16triu_tril_kernelIflLb0ELi2ELb0EEEvNS_4cuda6detail10TensorInfoIT_T0_EENS4_IKS5_S6_EEllS6_
		.amdhsa_group_segment_fixed_size 0
		.amdhsa_private_segment_fixed_size 0
		.amdhsa_kernarg_size 1112
		.amdhsa_user_sgpr_count 2
		.amdhsa_user_sgpr_dispatch_ptr 0
		.amdhsa_user_sgpr_queue_ptr 0
		.amdhsa_user_sgpr_kernarg_segment_ptr 1
		.amdhsa_user_sgpr_dispatch_id 0
		.amdhsa_user_sgpr_private_segment_size 0
		.amdhsa_wavefront_size32 1
		.amdhsa_uses_dynamic_stack 0
		.amdhsa_enable_private_segment 0
		.amdhsa_system_sgpr_workgroup_id_x 1
		.amdhsa_system_sgpr_workgroup_id_y 0
		.amdhsa_system_sgpr_workgroup_id_z 0
		.amdhsa_system_sgpr_workgroup_info 0
		.amdhsa_system_vgpr_workitem_id 0
		.amdhsa_next_free_vgpr 28
		.amdhsa_next_free_sgpr 72
		.amdhsa_reserve_vcc 1
		.amdhsa_float_round_mode_32 0
		.amdhsa_float_round_mode_16_64 0
		.amdhsa_float_denorm_mode_32 3
		.amdhsa_float_denorm_mode_16_64 3
		.amdhsa_fp16_overflow 0
		.amdhsa_workgroup_processor_mode 1
		.amdhsa_memory_ordered 1
		.amdhsa_forward_progress 1
		.amdhsa_inst_pref_size 51
		.amdhsa_round_robin_scheduling 0
		.amdhsa_exception_fp_ieee_invalid_op 0
		.amdhsa_exception_fp_denorm_src 0
		.amdhsa_exception_fp_ieee_div_zero 0
		.amdhsa_exception_fp_ieee_overflow 0
		.amdhsa_exception_fp_ieee_underflow 0
		.amdhsa_exception_fp_ieee_inexact 0
		.amdhsa_exception_int_div_zero 0
	.end_amdhsa_kernel
	.section	.text._ZN2at6native16triu_tril_kernelIflLb0ELi2ELb0EEEvNS_4cuda6detail10TensorInfoIT_T0_EENS4_IKS5_S6_EEllS6_,"axG",@progbits,_ZN2at6native16triu_tril_kernelIflLb0ELi2ELb0EEEvNS_4cuda6detail10TensorInfoIT_T0_EENS4_IKS5_S6_EEllS6_,comdat
.Lfunc_end27:
	.size	_ZN2at6native16triu_tril_kernelIflLb0ELi2ELb0EEEvNS_4cuda6detail10TensorInfoIT_T0_EENS4_IKS5_S6_EEllS6_, .Lfunc_end27-_ZN2at6native16triu_tril_kernelIflLb0ELi2ELb0EEEvNS_4cuda6detail10TensorInfoIT_T0_EENS4_IKS5_S6_EEllS6_
                                        ; -- End function
	.set _ZN2at6native16triu_tril_kernelIflLb0ELi2ELb0EEEvNS_4cuda6detail10TensorInfoIT_T0_EENS4_IKS5_S6_EEllS6_.num_vgpr, 28
	.set _ZN2at6native16triu_tril_kernelIflLb0ELi2ELb0EEEvNS_4cuda6detail10TensorInfoIT_T0_EENS4_IKS5_S6_EEllS6_.num_agpr, 0
	.set _ZN2at6native16triu_tril_kernelIflLb0ELi2ELb0EEEvNS_4cuda6detail10TensorInfoIT_T0_EENS4_IKS5_S6_EEllS6_.numbered_sgpr, 72
	.set _ZN2at6native16triu_tril_kernelIflLb0ELi2ELb0EEEvNS_4cuda6detail10TensorInfoIT_T0_EENS4_IKS5_S6_EEllS6_.num_named_barrier, 0
	.set _ZN2at6native16triu_tril_kernelIflLb0ELi2ELb0EEEvNS_4cuda6detail10TensorInfoIT_T0_EENS4_IKS5_S6_EEllS6_.private_seg_size, 0
	.set _ZN2at6native16triu_tril_kernelIflLb0ELi2ELb0EEEvNS_4cuda6detail10TensorInfoIT_T0_EENS4_IKS5_S6_EEllS6_.uses_vcc, 1
	.set _ZN2at6native16triu_tril_kernelIflLb0ELi2ELb0EEEvNS_4cuda6detail10TensorInfoIT_T0_EENS4_IKS5_S6_EEllS6_.uses_flat_scratch, 0
	.set _ZN2at6native16triu_tril_kernelIflLb0ELi2ELb0EEEvNS_4cuda6detail10TensorInfoIT_T0_EENS4_IKS5_S6_EEllS6_.has_dyn_sized_stack, 0
	.set _ZN2at6native16triu_tril_kernelIflLb0ELi2ELb0EEEvNS_4cuda6detail10TensorInfoIT_T0_EENS4_IKS5_S6_EEllS6_.has_recursion, 0
	.set _ZN2at6native16triu_tril_kernelIflLb0ELi2ELb0EEEvNS_4cuda6detail10TensorInfoIT_T0_EENS4_IKS5_S6_EEllS6_.has_indirect_call, 0
	.section	.AMDGPU.csdata,"",@progbits
; Kernel info:
; codeLenInByte = 6472
; TotalNumSgprs: 74
; NumVgprs: 28
; ScratchSize: 0
; MemoryBound: 0
; FloatMode: 240
; IeeeMode: 1
; LDSByteSize: 0 bytes/workgroup (compile time only)
; SGPRBlocks: 0
; VGPRBlocks: 3
; NumSGPRsForWavesPerEU: 74
; NumVGPRsForWavesPerEU: 28
; Occupancy: 16
; WaveLimiterHint : 0
; COMPUTE_PGM_RSRC2:SCRATCH_EN: 0
; COMPUTE_PGM_RSRC2:USER_SGPR: 2
; COMPUTE_PGM_RSRC2:TRAP_HANDLER: 0
; COMPUTE_PGM_RSRC2:TGID_X_EN: 1
; COMPUTE_PGM_RSRC2:TGID_Y_EN: 0
; COMPUTE_PGM_RSRC2:TGID_Z_EN: 0
; COMPUTE_PGM_RSRC2:TIDIG_COMP_CNT: 0
	.section	.text._ZN2at6native16triu_tril_kernelIN3c107complexIdEEiLb0ELi1ELb1EEEvNS_4cuda6detail10TensorInfoIT_T0_EENS7_IKS8_S9_EEllS9_,"axG",@progbits,_ZN2at6native16triu_tril_kernelIN3c107complexIdEEiLb0ELi1ELb1EEEvNS_4cuda6detail10TensorInfoIT_T0_EENS7_IKS8_S9_EEllS9_,comdat
	.protected	_ZN2at6native16triu_tril_kernelIN3c107complexIdEEiLb0ELi1ELb1EEEvNS_4cuda6detail10TensorInfoIT_T0_EENS7_IKS8_S9_EEllS9_ ; -- Begin function _ZN2at6native16triu_tril_kernelIN3c107complexIdEEiLb0ELi1ELb1EEEvNS_4cuda6detail10TensorInfoIT_T0_EENS7_IKS8_S9_EEllS9_
	.globl	_ZN2at6native16triu_tril_kernelIN3c107complexIdEEiLb0ELi1ELb1EEEvNS_4cuda6detail10TensorInfoIT_T0_EENS7_IKS8_S9_EEllS9_
	.p2align	8
	.type	_ZN2at6native16triu_tril_kernelIN3c107complexIdEEiLb0ELi1ELb1EEEvNS_4cuda6detail10TensorInfoIT_T0_EENS7_IKS8_S9_EEllS9_,@function
_ZN2at6native16triu_tril_kernelIN3c107complexIdEEiLb0ELi1ELb1EEEvNS_4cuda6detail10TensorInfoIT_T0_EENS7_IKS8_S9_EEllS9_: ; @_ZN2at6native16triu_tril_kernelIN3c107complexIdEEiLb0ELi1ELb1EEEvNS_4cuda6detail10TensorInfoIT_T0_EENS7_IKS8_S9_EEllS9_
; %bb.0:
	s_clause 0x1
	s_load_b32 s2, s[0:1], 0x1d4
	s_load_b128 s[4:7], s[0:1], 0x1b0
	v_mov_b32_e32 v2, 0
	s_mov_b32 s3, exec_lo
	s_delay_alu instid0(VALU_DEP_1)
	v_mov_b32_e32 v1, v2
	s_wait_kmcnt 0x0
	s_and_b32 s2, s2, 0xffff
	s_delay_alu instid0(VALU_DEP_1) | instid1(SALU_CYCLE_1)
	v_mad_co_u64_u32 v[0:1], null, s2, ttmp9, v[0:1]
	s_delay_alu instid0(VALU_DEP_1)
	v_cmpx_gt_i64_e64 s[6:7], v[0:1]
	s_cbranch_execz .LBB28_58
; %bb.1:
	s_clause 0x1
	s_load_b32 s20, s[0:1], 0x1a8
	s_load_b32 s8, s[0:1], 0x1c0
	s_add_nc_u64 s[10:11], s[0:1], 0xd8
	s_add_nc_u64 s[18:19], s[0:1], 0x1c8
	s_mov_b32 s56, 0
	s_wait_kmcnt 0x0
	s_ashr_i32 s21, s20, 31
	v_cvt_f32_u32_e32 v3, s8
	s_lshl_b64 s[22:23], s[20:21], 2
	s_add_co_i32 s9, s20, 6
	s_add_nc_u64 s[12:13], s[10:11], s[22:23]
	s_add_co_i32 s3, s20, -3
	s_clause 0x1
	s_load_b32 s14, s[12:13], 0x0
	s_load_b64 s[16:17], s[0:1], 0x0
	v_rcp_iflag_f32_e32 v3, v3
	s_load_b32 s18, s[18:19], 0x0
	s_and_b32 s19, s20, 7
	s_and_b32 s33, s9, 7
	s_ashr_i32 s9, s8, 31
	v_cmp_gt_i64_e64 s55, s[20:21], 2
	s_add_nc_u64 s[20:21], s[0:1], s[22:23]
	s_wait_kmcnt 0x0
	v_cvt_f32_u32_e32 v4, s14
	s_ashr_i32 s15, s14, 31
	s_cmp_lg_u32 s19, 2
	s_mul_i32 s54, s18, s2
	s_cselect_b32 s52, -1, 0
	v_rcp_iflag_f32_e32 v4, v4
	v_mul_f32_e32 v3, 0x4f7ffffe, v3
	s_cmp_gt_u32 s3, 6
	s_cselect_b32 s53, -1, 0
	s_sub_co_i32 s19, 0, s8
	s_wait_alu 0xfffe
	s_ashr_i32 s22, s9, 31
	s_ashr_i32 s24, s15, 31
	s_delay_alu instid0(TRANS32_DEP_1) | instskip(SKIP_1) | instid1(VALU_DEP_2)
	v_mul_f32_e32 v4, 0x4f7ffffe, v4
	v_cvt_u32_f32_e32 v3, v3
	v_cvt_u32_f32_e32 v26, v4
	s_delay_alu instid0(VALU_DEP_2) | instskip(SKIP_1) | instid1(VALU_DEP_1)
	v_mul_lo_u32 v5, s19, v3
	s_mov_b32 s19, 0
	v_mul_hi_u32 v5, v3, v5
	s_delay_alu instid0(VALU_DEP_1)
	v_add_nc_u32_e32 v27, v3, v5
	s_branch .LBB28_3
.LBB28_2:                               ;   in Loop: Header=BB28_3 Depth=1
	s_wait_alu 0xfffe
	s_or_b32 exec_lo, exec_lo, s23
	v_add_co_u32 v0, vcc_lo, v0, s54
	s_wait_alu 0xfffd
	v_add_co_ci_u32_e64 v1, null, 0, v1, vcc_lo
	s_delay_alu instid0(VALU_DEP_1) | instskip(SKIP_1) | instid1(SALU_CYCLE_1)
	v_cmp_le_i64_e32 vcc_lo, s[6:7], v[0:1]
	s_or_b32 s56, vcc_lo, s56
	s_and_not1_b32 exec_lo, exec_lo, s56
	s_cbranch_execz .LBB28_58
.LBB28_3:                               ; =>This Loop Header: Depth=1
                                        ;     Child Loop BB28_16 Depth 2
                                        ;     Child Loop BB28_22 Depth 2
	v_or_b32_e32 v3, s9, v1
                                        ; implicit-def: $vgpr4_vgpr5
	s_mov_b32 s2, exec_lo
	s_delay_alu instid0(VALU_DEP_1)
	v_cmpx_ne_u64_e32 0, v[2:3]
	s_wait_alu 0xfffe
	s_xor_b32 s25, exec_lo, s2
	s_cbranch_execz .LBB28_5
; %bb.4:                                ;   in Loop: Header=BB28_3 Depth=1
	s_mov_b32 s23, s22
	v_ashrrev_i32_e32 v9, 31, v1
	s_wait_alu 0xfffe
	s_add_nc_u64 s[26:27], s[8:9], s[22:23]
	s_wait_alu 0xfffe
	s_xor_b64 s[26:27], s[26:27], s[22:23]
	v_add_co_u32 v3, vcc_lo, v0, v9
	s_wait_alu 0xfffe
	s_cvt_f32_u32 s2, s26
	s_cvt_f32_u32 s18, s27
	s_sub_nc_u64 s[30:31], 0, s[26:27]
	s_wait_alu 0xfffd
	v_add_co_ci_u32_e64 v4, null, v1, v9, vcc_lo
	s_wait_alu 0xfffe
	s_fmamk_f32 s2, s18, 0x4f800000, s2
	v_xor_b32_e32 v10, v3, v9
	s_delay_alu instid0(VALU_DEP_2) | instskip(SKIP_2) | instid1(TRANS32_DEP_1)
	v_xor_b32_e32 v11, v4, v9
	s_wait_alu 0xfffe
	v_s_rcp_f32 s2, s2
	s_mul_f32 s2, s2, 0x5f7ffffc
	s_wait_alu 0xfffe
	s_delay_alu instid0(SALU_CYCLE_2) | instskip(SKIP_1) | instid1(SALU_CYCLE_2)
	s_mul_f32 s18, s2, 0x2f800000
	s_wait_alu 0xfffe
	s_trunc_f32 s18, s18
	s_wait_alu 0xfffe
	s_delay_alu instid0(SALU_CYCLE_2) | instskip(SKIP_2) | instid1(SALU_CYCLE_1)
	s_fmamk_f32 s2, s18, 0xcf800000, s2
	s_cvt_u32_f32 s29, s18
	s_wait_alu 0xfffe
	s_cvt_u32_f32 s28, s2
	s_wait_alu 0xfffe
	s_delay_alu instid0(SALU_CYCLE_2)
	s_mul_u64 s[34:35], s[30:31], s[28:29]
	s_wait_alu 0xfffe
	s_mul_hi_u32 s37, s28, s35
	s_mul_i32 s36, s28, s35
	s_mul_hi_u32 s18, s28, s34
	s_mul_i32 s23, s29, s34
	s_wait_alu 0xfffe
	s_add_nc_u64 s[36:37], s[18:19], s[36:37]
	s_mul_hi_u32 s2, s29, s34
	s_mul_hi_u32 s38, s29, s35
	s_wait_alu 0xfffe
	s_add_co_u32 s18, s36, s23
	s_add_co_ci_u32 s18, s37, s2
	s_mul_i32 s34, s29, s35
	s_add_co_ci_u32 s35, s38, 0
	s_wait_alu 0xfffe
	s_add_nc_u64 s[34:35], s[18:19], s[34:35]
	s_wait_alu 0xfffe
	s_add_co_u32 s28, s28, s34
	s_cselect_b32 s2, -1, 0
	s_wait_alu 0xfffe
	s_cmp_lg_u32 s2, 0
	s_add_co_ci_u32 s29, s29, s35
	s_wait_alu 0xfffe
	s_mul_u64 s[30:31], s[30:31], s[28:29]
	s_wait_alu 0xfffe
	s_mul_hi_u32 s35, s28, s31
	s_mul_i32 s34, s28, s31
	s_mul_hi_u32 s18, s28, s30
	s_mul_i32 s23, s29, s30
	s_wait_alu 0xfffe
	s_add_nc_u64 s[34:35], s[18:19], s[34:35]
	s_mul_hi_u32 s2, s29, s30
	s_mul_hi_u32 s36, s29, s31
	s_wait_alu 0xfffe
	s_add_co_u32 s18, s34, s23
	s_add_co_ci_u32 s18, s35, s2
	s_mul_i32 s30, s29, s31
	s_add_co_ci_u32 s31, s36, 0
	s_wait_alu 0xfffe
	s_add_nc_u64 s[30:31], s[18:19], s[30:31]
	s_wait_alu 0xfffe
	s_add_co_u32 s2, s28, s30
	s_cselect_b32 s18, -1, 0
	s_wait_alu 0xfffe
	v_mul_hi_u32 v12, v10, s2
	s_cmp_lg_u32 s18, 0
	v_mad_co_u64_u32 v[5:6], null, v11, s2, 0
	s_add_co_ci_u32 s18, s29, s31
	s_wait_alu 0xfffe
	v_mad_co_u64_u32 v[3:4], null, v10, s18, 0
	v_mad_co_u64_u32 v[7:8], null, v11, s18, 0
	s_delay_alu instid0(VALU_DEP_2) | instskip(SKIP_1) | instid1(VALU_DEP_3)
	v_add_co_u32 v3, vcc_lo, v12, v3
	s_wait_alu 0xfffd
	v_add_co_ci_u32_e64 v4, null, 0, v4, vcc_lo
	s_delay_alu instid0(VALU_DEP_2) | instskip(SKIP_1) | instid1(VALU_DEP_2)
	v_add_co_u32 v3, vcc_lo, v3, v5
	s_wait_alu 0xfffd
	v_add_co_ci_u32_e32 v3, vcc_lo, v4, v6, vcc_lo
	s_wait_alu 0xfffd
	v_add_co_ci_u32_e32 v4, vcc_lo, 0, v8, vcc_lo
	s_delay_alu instid0(VALU_DEP_2) | instskip(SKIP_1) | instid1(VALU_DEP_2)
	v_add_co_u32 v5, vcc_lo, v3, v7
	s_wait_alu 0xfffd
	v_add_co_ci_u32_e64 v6, null, 0, v4, vcc_lo
	s_delay_alu instid0(VALU_DEP_2) | instskip(SKIP_1) | instid1(VALU_DEP_3)
	v_mul_lo_u32 v7, s27, v5
	v_mad_co_u64_u32 v[3:4], null, s26, v5, 0
	v_mul_lo_u32 v8, s26, v6
	s_delay_alu instid0(VALU_DEP_2) | instskip(NEXT) | instid1(VALU_DEP_2)
	v_sub_co_u32 v3, vcc_lo, v10, v3
	v_add3_u32 v4, v4, v8, v7
	v_add_co_u32 v8, s2, v5, 2
	s_wait_alu 0xf1ff
	v_add_co_ci_u32_e64 v10, null, 0, v6, s2
	s_delay_alu instid0(VALU_DEP_3) | instskip(SKIP_3) | instid1(VALU_DEP_3)
	v_sub_nc_u32_e32 v7, v11, v4
	v_sub_co_u32 v12, s2, v3, s26
	s_wait_alu 0xfffd
	v_sub_co_ci_u32_e64 v4, null, v11, v4, vcc_lo
	v_subrev_co_ci_u32_e64 v7, null, s27, v7, vcc_lo
	s_delay_alu instid0(VALU_DEP_3) | instskip(SKIP_1) | instid1(VALU_DEP_2)
	v_cmp_le_u32_e32 vcc_lo, s26, v12
	s_wait_alu 0xf1ff
	v_subrev_co_ci_u32_e64 v7, null, 0, v7, s2
	s_wait_alu 0xfffd
	v_cndmask_b32_e64 v11, 0, -1, vcc_lo
	s_delay_alu instid0(VALU_DEP_2)
	v_cmp_le_u32_e32 vcc_lo, s27, v7
	s_wait_alu 0xfffd
	v_cndmask_b32_e64 v12, 0, -1, vcc_lo
	v_cmp_le_u32_e32 vcc_lo, s26, v3
	s_wait_alu 0xfffd
	v_cndmask_b32_e64 v3, 0, -1, vcc_lo
	;; [unrolled: 3-line block ×3, first 2 shown]
	v_cmp_eq_u32_e32 vcc_lo, s27, v7
	s_wait_alu 0xfffd
	v_cndmask_b32_e32 v7, v12, v11, vcc_lo
	v_add_co_u32 v11, vcc_lo, v5, 1
	s_wait_alu 0xfffd
	v_add_co_ci_u32_e64 v12, null, 0, v6, vcc_lo
	v_cmp_eq_u32_e32 vcc_lo, s27, v4
	s_wait_alu 0xfffd
	v_cndmask_b32_e32 v3, v13, v3, vcc_lo
	v_cmp_ne_u32_e32 vcc_lo, 0, v7
	v_xor_b32_e32 v7, s22, v9
	s_wait_alu 0xfffd
	v_cndmask_b32_e32 v4, v12, v10, vcc_lo
	v_cmp_ne_u32_e64 s2, 0, v3
	v_cndmask_b32_e32 v3, v11, v8, vcc_lo
	s_wait_alu 0xf1ff
	s_delay_alu instid0(VALU_DEP_2) | instskip(NEXT) | instid1(VALU_DEP_2)
	v_cndmask_b32_e64 v4, v6, v4, s2
	v_cndmask_b32_e64 v3, v5, v3, s2
	s_delay_alu instid0(VALU_DEP_2) | instskip(NEXT) | instid1(VALU_DEP_2)
	v_xor_b32_e32 v5, v4, v7
	v_xor_b32_e32 v3, v3, v7
	s_delay_alu instid0(VALU_DEP_1) | instskip(SKIP_1) | instid1(VALU_DEP_3)
	v_sub_co_u32 v4, vcc_lo, v3, v7
	s_wait_alu 0xfffd
	v_sub_co_ci_u32_e64 v5, null, v5, v7, vcc_lo
.LBB28_5:                               ;   in Loop: Header=BB28_3 Depth=1
	s_wait_alu 0xfffe
	s_and_not1_saveexec_b32 s2, s25
	s_cbranch_execz .LBB28_7
; %bb.6:                                ;   in Loop: Header=BB28_3 Depth=1
	v_mul_hi_u32 v3, v0, v27
	s_delay_alu instid0(VALU_DEP_1) | instskip(NEXT) | instid1(VALU_DEP_1)
	v_mul_lo_u32 v4, v3, s8
	v_sub_nc_u32_e32 v4, v0, v4
	s_delay_alu instid0(VALU_DEP_1) | instskip(SKIP_2) | instid1(VALU_DEP_2)
	v_subrev_nc_u32_e32 v6, s8, v4
	v_cmp_le_u32_e32 vcc_lo, s8, v4
	s_wait_alu 0xfffd
	v_dual_cndmask_b32 v4, v4, v6 :: v_dual_add_nc_u32 v5, 1, v3
	s_delay_alu instid0(VALU_DEP_1) | instskip(NEXT) | instid1(VALU_DEP_2)
	v_cndmask_b32_e32 v3, v3, v5, vcc_lo
	v_cmp_le_u32_e32 vcc_lo, s8, v4
	s_delay_alu instid0(VALU_DEP_2) | instskip(SKIP_1) | instid1(VALU_DEP_1)
	v_add_nc_u32_e32 v5, 1, v3
	s_wait_alu 0xfffd
	v_dual_cndmask_b32 v4, v3, v5 :: v_dual_mov_b32 v5, v2
.LBB28_7:                               ;   in Loop: Header=BB28_3 Depth=1
	s_wait_alu 0xfffe
	s_or_b32 exec_lo, exec_lo, s2
	s_delay_alu instid0(VALU_DEP_1) | instskip(SKIP_1) | instid1(VALU_DEP_1)
	v_or_b32_e32 v3, s15, v5
                                        ; implicit-def: $vgpr8_vgpr9
	s_mov_b32 s2, exec_lo
	v_cmpx_ne_u64_e32 0, v[2:3]
	s_wait_alu 0xfffe
	s_xor_b32 s23, exec_lo, s2
	s_cbranch_execz .LBB28_9
; %bb.8:                                ;   in Loop: Header=BB28_3 Depth=1
	s_mov_b32 s25, s24
	v_ashrrev_i32_e32 v3, 31, v5
	s_wait_alu 0xfffe
	s_add_nc_u64 s[26:27], s[14:15], s[24:25]
	s_wait_alu 0xfffe
	s_xor_b64 s[26:27], s[26:27], s[24:25]
	v_add_co_u32 v6, vcc_lo, v4, v3
	s_wait_alu 0xfffe
	s_cvt_f32_u32 s2, s26
	s_cvt_f32_u32 s18, s27
	s_sub_nc_u64 s[30:31], 0, s[26:27]
	s_wait_alu 0xfffd
	v_add_co_ci_u32_e64 v5, null, v5, v3, vcc_lo
	s_wait_alu 0xfffe
	s_fmamk_f32 s2, s18, 0x4f800000, s2
	v_xor_b32_e32 v11, v6, v3
	s_delay_alu instid0(VALU_DEP_2) | instskip(SKIP_3) | instid1(TRANS32_DEP_1)
	v_xor_b32_e32 v12, v5, v3
	s_wait_alu 0xfffe
	v_s_rcp_f32 s2, s2
	v_xor_b32_e32 v3, s24, v3
	s_mul_f32 s2, s2, 0x5f7ffffc
	s_wait_alu 0xfffe
	s_delay_alu instid0(SALU_CYCLE_2) | instskip(SKIP_1) | instid1(SALU_CYCLE_2)
	s_mul_f32 s18, s2, 0x2f800000
	s_wait_alu 0xfffe
	s_trunc_f32 s18, s18
	s_wait_alu 0xfffe
	s_delay_alu instid0(SALU_CYCLE_2) | instskip(SKIP_2) | instid1(SALU_CYCLE_1)
	s_fmamk_f32 s2, s18, 0xcf800000, s2
	s_cvt_u32_f32 s29, s18
	s_wait_alu 0xfffe
	s_cvt_u32_f32 s28, s2
	s_wait_alu 0xfffe
	s_delay_alu instid0(SALU_CYCLE_2)
	s_mul_u64 s[34:35], s[30:31], s[28:29]
	s_wait_alu 0xfffe
	s_mul_hi_u32 s37, s28, s35
	s_mul_i32 s36, s28, s35
	s_mul_hi_u32 s18, s28, s34
	s_mul_i32 s25, s29, s34
	s_wait_alu 0xfffe
	s_add_nc_u64 s[36:37], s[18:19], s[36:37]
	s_mul_hi_u32 s2, s29, s34
	s_mul_hi_u32 s38, s29, s35
	s_wait_alu 0xfffe
	s_add_co_u32 s18, s36, s25
	s_add_co_ci_u32 s18, s37, s2
	s_mul_i32 s34, s29, s35
	s_add_co_ci_u32 s35, s38, 0
	s_wait_alu 0xfffe
	s_add_nc_u64 s[34:35], s[18:19], s[34:35]
	s_wait_alu 0xfffe
	s_add_co_u32 s28, s28, s34
	s_cselect_b32 s2, -1, 0
	s_wait_alu 0xfffe
	s_cmp_lg_u32 s2, 0
	s_add_co_ci_u32 s29, s29, s35
	s_wait_alu 0xfffe
	s_mul_u64 s[30:31], s[30:31], s[28:29]
	s_wait_alu 0xfffe
	s_mul_hi_u32 s35, s28, s31
	s_mul_i32 s34, s28, s31
	s_mul_hi_u32 s18, s28, s30
	s_mul_i32 s25, s29, s30
	s_wait_alu 0xfffe
	s_add_nc_u64 s[34:35], s[18:19], s[34:35]
	s_mul_hi_u32 s2, s29, s30
	s_mul_hi_u32 s36, s29, s31
	s_wait_alu 0xfffe
	s_add_co_u32 s18, s34, s25
	s_add_co_ci_u32 s18, s35, s2
	s_mul_i32 s30, s29, s31
	s_add_co_ci_u32 s31, s36, 0
	s_wait_alu 0xfffe
	s_add_nc_u64 s[30:31], s[18:19], s[30:31]
	s_wait_alu 0xfffe
	s_add_co_u32 s2, s28, s30
	s_cselect_b32 s18, -1, 0
	s_wait_alu 0xfffe
	v_mul_hi_u32 v13, v11, s2
	s_cmp_lg_u32 s18, 0
	v_mad_co_u64_u32 v[7:8], null, v12, s2, 0
	s_add_co_ci_u32 s18, s29, s31
	s_wait_alu 0xfffe
	v_mad_co_u64_u32 v[5:6], null, v11, s18, 0
	v_mad_co_u64_u32 v[9:10], null, v12, s18, 0
	s_delay_alu instid0(VALU_DEP_2) | instskip(SKIP_1) | instid1(VALU_DEP_3)
	v_add_co_u32 v5, vcc_lo, v13, v5
	s_wait_alu 0xfffd
	v_add_co_ci_u32_e64 v6, null, 0, v6, vcc_lo
	s_delay_alu instid0(VALU_DEP_2) | instskip(SKIP_1) | instid1(VALU_DEP_2)
	v_add_co_u32 v5, vcc_lo, v5, v7
	s_wait_alu 0xfffd
	v_add_co_ci_u32_e32 v5, vcc_lo, v6, v8, vcc_lo
	s_wait_alu 0xfffd
	v_add_co_ci_u32_e32 v6, vcc_lo, 0, v10, vcc_lo
	s_delay_alu instid0(VALU_DEP_2) | instskip(SKIP_1) | instid1(VALU_DEP_2)
	v_add_co_u32 v7, vcc_lo, v5, v9
	s_wait_alu 0xfffd
	v_add_co_ci_u32_e64 v8, null, 0, v6, vcc_lo
	s_delay_alu instid0(VALU_DEP_2) | instskip(SKIP_1) | instid1(VALU_DEP_3)
	v_mul_lo_u32 v9, s27, v7
	v_mad_co_u64_u32 v[5:6], null, s26, v7, 0
	v_mul_lo_u32 v10, s26, v8
	s_delay_alu instid0(VALU_DEP_2) | instskip(NEXT) | instid1(VALU_DEP_2)
	v_sub_co_u32 v5, vcc_lo, v11, v5
	v_add3_u32 v6, v6, v10, v9
	v_add_co_u32 v10, s2, v7, 2
	s_wait_alu 0xf1ff
	v_add_co_ci_u32_e64 v11, null, 0, v8, s2
	s_delay_alu instid0(VALU_DEP_3) | instskip(SKIP_3) | instid1(VALU_DEP_3)
	v_sub_nc_u32_e32 v9, v12, v6
	v_sub_co_u32 v13, s2, v5, s26
	s_wait_alu 0xfffd
	v_sub_co_ci_u32_e64 v6, null, v12, v6, vcc_lo
	v_subrev_co_ci_u32_e64 v9, null, s27, v9, vcc_lo
	s_delay_alu instid0(VALU_DEP_3) | instskip(SKIP_1) | instid1(VALU_DEP_2)
	v_cmp_le_u32_e32 vcc_lo, s26, v13
	s_wait_alu 0xf1ff
	v_subrev_co_ci_u32_e64 v9, null, 0, v9, s2
	s_wait_alu 0xfffd
	v_cndmask_b32_e64 v12, 0, -1, vcc_lo
	s_delay_alu instid0(VALU_DEP_2)
	v_cmp_le_u32_e32 vcc_lo, s27, v9
	s_wait_alu 0xfffd
	v_cndmask_b32_e64 v13, 0, -1, vcc_lo
	v_cmp_le_u32_e32 vcc_lo, s26, v5
	s_wait_alu 0xfffd
	v_cndmask_b32_e64 v5, 0, -1, vcc_lo
	;; [unrolled: 3-line block ×3, first 2 shown]
	v_cmp_eq_u32_e32 vcc_lo, s27, v9
	s_wait_alu 0xfffd
	v_cndmask_b32_e32 v9, v13, v12, vcc_lo
	v_add_co_u32 v12, vcc_lo, v7, 1
	s_wait_alu 0xfffd
	v_add_co_ci_u32_e64 v13, null, 0, v8, vcc_lo
	v_cmp_eq_u32_e32 vcc_lo, s27, v6
	s_wait_alu 0xfffd
	v_cndmask_b32_e32 v5, v14, v5, vcc_lo
	v_cmp_ne_u32_e32 vcc_lo, 0, v9
	s_wait_alu 0xfffd
	v_cndmask_b32_e32 v6, v13, v11, vcc_lo
	s_delay_alu instid0(VALU_DEP_3) | instskip(SKIP_2) | instid1(VALU_DEP_2)
	v_cmp_ne_u32_e64 s2, 0, v5
	v_cndmask_b32_e32 v5, v12, v10, vcc_lo
	s_wait_alu 0xf1ff
	v_cndmask_b32_e64 v6, v8, v6, s2
	s_delay_alu instid0(VALU_DEP_2) | instskip(NEXT) | instid1(VALU_DEP_2)
	v_cndmask_b32_e64 v5, v7, v5, s2
	v_xor_b32_e32 v6, v6, v3
	s_delay_alu instid0(VALU_DEP_2) | instskip(NEXT) | instid1(VALU_DEP_1)
	v_xor_b32_e32 v5, v5, v3
	v_sub_co_u32 v8, vcc_lo, v5, v3
	s_wait_alu 0xfffd
	s_delay_alu instid0(VALU_DEP_3)
	v_sub_co_ci_u32_e64 v9, null, v6, v3, vcc_lo
.LBB28_9:                               ;   in Loop: Header=BB28_3 Depth=1
	s_wait_alu 0xfffe
	s_and_not1_saveexec_b32 s2, s23
	s_cbranch_execz .LBB28_11
; %bb.10:                               ;   in Loop: Header=BB28_3 Depth=1
	s_sub_co_i32 s18, 0, s14
	v_mov_b32_e32 v9, v2
	s_wait_alu 0xfffe
	v_mul_lo_u32 v3, s18, v26
	s_delay_alu instid0(VALU_DEP_1) | instskip(NEXT) | instid1(VALU_DEP_1)
	v_mul_hi_u32 v3, v26, v3
	v_add_nc_u32_e32 v3, v26, v3
	s_delay_alu instid0(VALU_DEP_1) | instskip(NEXT) | instid1(VALU_DEP_1)
	v_mul_hi_u32 v3, v4, v3
	v_mul_lo_u32 v5, v3, s14
	v_add_nc_u32_e32 v6, 1, v3
	s_delay_alu instid0(VALU_DEP_2) | instskip(NEXT) | instid1(VALU_DEP_1)
	v_sub_nc_u32_e32 v5, v4, v5
	v_cmp_le_u32_e32 vcc_lo, s14, v5
	v_subrev_nc_u32_e32 v7, s14, v5
	s_wait_alu 0xfffd
	v_cndmask_b32_e32 v3, v3, v6, vcc_lo
	s_delay_alu instid0(VALU_DEP_1) | instskip(NEXT) | instid1(VALU_DEP_3)
	v_add_nc_u32_e32 v6, 1, v3
	v_cndmask_b32_e32 v5, v5, v7, vcc_lo
	s_delay_alu instid0(VALU_DEP_1) | instskip(SKIP_1) | instid1(VALU_DEP_3)
	v_cmp_le_u32_e32 vcc_lo, s14, v5
	s_wait_alu 0xfffd
	v_cndmask_b32_e32 v8, v3, v6, vcc_lo
.LBB28_11:                              ;   in Loop: Header=BB28_3 Depth=1
	s_wait_alu 0xfffe
	s_or_b32 exec_lo, exec_lo, s2
	v_mad_co_u64_u32 v[5:6], null, v4, s8, 0
	s_delay_alu instid0(VALU_DEP_2) | instskip(SKIP_3) | instid1(VALU_DEP_1)
	v_mad_co_u64_u32 v[6:7], null, v8, s14, 0
	s_mov_b32 s23, exec_lo
	v_sub_co_u32 v28, null, v0, v5
	v_sub_co_u32 v3, null, v4, v6
	v_sub_nc_u32_e32 v4, v28, v3
	s_delay_alu instid0(VALU_DEP_1) | instskip(NEXT) | instid1(VALU_DEP_1)
	v_add_nc_u32_e32 v5, 1, v4
	v_ashrrev_i32_e32 v6, 31, v5
	s_delay_alu instid0(VALU_DEP_1)
	v_cmpx_lt_i64_e64 s[4:5], v[5:6]
	s_cbranch_execz .LBB28_2
; %bb.12:                               ;   in Loop: Header=BB28_3 Depth=1
	s_load_b64 s[26:27], s[20:21], 0x64
	s_and_not1_b32 vcc_lo, exec_lo, s55
	s_wait_kmcnt 0x0
	v_mul_lo_u32 v5, s27, v28
	s_delay_alu instid0(VALU_DEP_1)
	v_mad_co_u64_u32 v[6:7], null, s26, v3, v[5:6]
	s_wait_alu 0xfffe
	s_cbranch_vccnz .LBB28_56
; %bb.13:                               ;   in Loop: Header=BB28_3 Depth=1
	s_mov_b32 s25, s33
	s_and_not1_b32 vcc_lo, exec_lo, s52
	s_mov_b32 s18, s3
	s_mov_b32 s2, s3
	s_wait_alu 0xfffe
	s_cbranch_vccz .LBB28_16
; %bb.14:                               ;   in Loop: Header=BB28_3 Depth=1
	s_and_not1_b32 vcc_lo, exec_lo, s53
	s_wait_alu 0xfffe
	s_cbranch_vccz .LBB28_21
	s_branch .LBB28_56
.LBB28_15:                              ;   in Loop: Header=BB28_16 Depth=2
	s_wait_alu 0xfffe
	s_or_b32 exec_lo, exec_lo, s2
	s_add_nc_u64 s[26:27], s[0:1], s[26:27]
	v_mul_lo_u32 v3, v10, s28
	s_load_b32 s2, s[26:27], 0x6c
	s_add_co_i32 s25, s25, -1
	s_add_co_i32 s18, s18, -1
	s_wait_alu 0xfffe
	s_cmp_lg_u32 s25, 0
	s_delay_alu instid0(VALU_DEP_1) | instskip(SKIP_2) | instid1(VALU_DEP_2)
	v_sub_nc_u32_e32 v3, v8, v3
	v_dual_mov_b32 v8, v10 :: v_dual_mov_b32 v9, v11
	s_wait_kmcnt 0x0
	v_mad_co_u64_u32 v[6:7], null, s2, v3, v[6:7]
	s_cbranch_scc0 .LBB28_20
.LBB28_16:                              ;   Parent Loop BB28_3 Depth=1
                                        ; =>  This Inner Loop Header: Depth=2
	s_lshl_b64 s[26:27], s[18:19], 2
                                        ; implicit-def: $vgpr10_vgpr11
	s_mov_b32 s2, exec_lo
	s_wait_alu 0xfffe
	s_add_nc_u64 s[28:29], s[10:11], s[26:27]
	s_load_b32 s28, s[28:29], 0x8
	s_wait_kmcnt 0x0
	s_ashr_i32 s29, s28, 31
	s_wait_alu 0xfffe
	v_or_b32_e32 v3, s29, v9
	s_delay_alu instid0(VALU_DEP_1)
	v_cmpx_ne_u64_e32 0, v[2:3]
	s_xor_b32 s36, exec_lo, s2
	s_cbranch_execz .LBB28_18
; %bb.17:                               ;   in Loop: Header=BB28_16 Depth=2
	s_ashr_i32 s30, s29, 31
	s_mov_b32 s43, s19
	s_wait_alu 0xfffe
	s_mov_b32 s31, s30
	s_mov_b32 s47, s19
	s_wait_alu 0xfffe
	s_add_nc_u64 s[34:35], s[28:29], s[30:31]
	v_ashrrev_i32_e32 v3, 31, v9
	s_wait_alu 0xfffe
	s_xor_b64 s[34:35], s[34:35], s[30:31]
	s_wait_alu 0xfffe
	s_cvt_f32_u32 s2, s34
	s_cvt_f32_u32 s29, s35
	s_sub_nc_u64 s[40:41], 0, s[34:35]
	v_add_co_u32 v5, vcc_lo, v8, v3
	s_wait_alu 0xfffe
	s_fmamk_f32 s2, s29, 0x4f800000, s2
	s_wait_alu 0xfffd
	v_add_co_ci_u32_e64 v7, null, v9, v3, vcc_lo
	v_xor_b32_e32 v5, v5, v3
	s_wait_alu 0xfffe
	v_s_rcp_f32 s2, s2
	s_delay_alu instid0(VALU_DEP_2) | instskip(SKIP_1) | instid1(TRANS32_DEP_1)
	v_xor_b32_e32 v7, v7, v3
	v_xor_b32_e32 v3, s30, v3
	s_mul_f32 s2, s2, 0x5f7ffffc
	s_wait_alu 0xfffe
	s_delay_alu instid0(SALU_CYCLE_2) | instskip(SKIP_1) | instid1(SALU_CYCLE_2)
	s_mul_f32 s29, s2, 0x2f800000
	s_wait_alu 0xfffe
	s_trunc_f32 s29, s29
	s_wait_alu 0xfffe
	s_delay_alu instid0(SALU_CYCLE_2) | instskip(SKIP_2) | instid1(SALU_CYCLE_1)
	s_fmamk_f32 s2, s29, 0xcf800000, s2
	s_cvt_u32_f32 s39, s29
	s_wait_alu 0xfffe
	s_cvt_u32_f32 s38, s2
	s_wait_alu 0xfffe
	s_delay_alu instid0(SALU_CYCLE_2)
	s_mul_u64 s[44:45], s[40:41], s[38:39]
	s_wait_alu 0xfffe
	s_mul_hi_u32 s49, s38, s45
	s_mul_i32 s48, s38, s45
	s_mul_hi_u32 s42, s38, s44
	s_mul_i32 s29, s39, s44
	s_wait_alu 0xfffe
	s_add_nc_u64 s[42:43], s[42:43], s[48:49]
	s_mul_hi_u32 s2, s39, s44
	s_mul_hi_u32 s31, s39, s45
	s_wait_alu 0xfffe
	s_add_co_u32 s29, s42, s29
	s_add_co_ci_u32 s46, s43, s2
	s_mul_i32 s44, s39, s45
	s_add_co_ci_u32 s45, s31, 0
	s_wait_alu 0xfffe
	s_add_nc_u64 s[42:43], s[46:47], s[44:45]
	s_mov_b32 s45, s19
	s_wait_alu 0xfffe
	s_add_co_u32 s38, s38, s42
	s_cselect_b32 s2, -1, 0
	s_wait_alu 0xfffe
	s_cmp_lg_u32 s2, 0
	s_add_co_ci_u32 s39, s39, s43
	s_mov_b32 s43, s19
	s_wait_alu 0xfffe
	s_mul_u64 s[40:41], s[40:41], s[38:39]
	s_wait_alu 0xfffe
	s_mul_hi_u32 s47, s38, s41
	s_mul_i32 s46, s38, s41
	s_mul_hi_u32 s44, s38, s40
	s_mul_i32 s29, s39, s40
	s_wait_alu 0xfffe
	s_add_nc_u64 s[44:45], s[44:45], s[46:47]
	s_mul_hi_u32 s2, s39, s40
	s_mul_hi_u32 s31, s39, s41
	s_wait_alu 0xfffe
	s_add_co_u32 s29, s44, s29
	s_add_co_ci_u32 s42, s45, s2
	s_mul_i32 s40, s39, s41
	s_add_co_ci_u32 s41, s31, 0
	s_wait_alu 0xfffe
	s_add_nc_u64 s[40:41], s[42:43], s[40:41]
	s_wait_alu 0xfffe
	s_add_co_u32 s2, s38, s40
	s_cselect_b32 s29, -1, 0
	s_wait_alu 0xfffe
	v_mul_hi_u32 v15, v5, s2
	s_cmp_lg_u32 s29, 0
	v_mad_co_u64_u32 v[11:12], null, v7, s2, 0
	s_add_co_ci_u32 s29, s39, s41
	s_wait_alu 0xfffe
	v_mad_co_u64_u32 v[9:10], null, v5, s29, 0
	v_mad_co_u64_u32 v[13:14], null, v7, s29, 0
	s_delay_alu instid0(VALU_DEP_2) | instskip(SKIP_1) | instid1(VALU_DEP_3)
	v_add_co_u32 v9, vcc_lo, v15, v9
	s_wait_alu 0xfffd
	v_add_co_ci_u32_e64 v10, null, 0, v10, vcc_lo
	s_delay_alu instid0(VALU_DEP_2) | instskip(SKIP_1) | instid1(VALU_DEP_2)
	v_add_co_u32 v9, vcc_lo, v9, v11
	s_wait_alu 0xfffd
	v_add_co_ci_u32_e32 v9, vcc_lo, v10, v12, vcc_lo
	s_wait_alu 0xfffd
	v_add_co_ci_u32_e32 v10, vcc_lo, 0, v14, vcc_lo
	s_delay_alu instid0(VALU_DEP_2) | instskip(SKIP_1) | instid1(VALU_DEP_2)
	v_add_co_u32 v11, vcc_lo, v9, v13
	s_wait_alu 0xfffd
	v_add_co_ci_u32_e64 v12, null, 0, v10, vcc_lo
	s_delay_alu instid0(VALU_DEP_2) | instskip(SKIP_1) | instid1(VALU_DEP_3)
	v_mul_lo_u32 v13, s35, v11
	v_mad_co_u64_u32 v[9:10], null, s34, v11, 0
	v_mul_lo_u32 v14, s34, v12
	s_delay_alu instid0(VALU_DEP_2) | instskip(NEXT) | instid1(VALU_DEP_2)
	v_sub_co_u32 v5, vcc_lo, v5, v9
	v_add3_u32 v10, v10, v14, v13
	s_delay_alu instid0(VALU_DEP_1) | instskip(SKIP_2) | instid1(VALU_DEP_2)
	v_sub_nc_u32_e32 v13, v7, v10
	s_wait_alu 0xfffd
	v_sub_co_ci_u32_e64 v7, null, v7, v10, vcc_lo
	v_subrev_co_ci_u32_e64 v9, null, s35, v13, vcc_lo
	v_add_co_u32 v13, s2, v11, 2
	s_wait_alu 0xf1ff
	v_add_co_ci_u32_e64 v14, null, 0, v12, s2
	v_sub_co_u32 v15, s2, v5, s34
	s_wait_alu 0xf1ff
	v_subrev_co_ci_u32_e64 v9, null, 0, v9, s2
	s_delay_alu instid0(VALU_DEP_2) | instskip(SKIP_2) | instid1(VALU_DEP_3)
	v_cmp_le_u32_e32 vcc_lo, s34, v15
	s_wait_alu 0xfffd
	v_cndmask_b32_e64 v10, 0, -1, vcc_lo
	v_cmp_le_u32_e32 vcc_lo, s35, v9
	s_wait_alu 0xfffd
	v_cndmask_b32_e64 v15, 0, -1, vcc_lo
	;; [unrolled: 3-line block ×4, first 2 shown]
	v_cmp_eq_u32_e32 vcc_lo, s35, v9
	s_wait_alu 0xfffd
	v_cndmask_b32_e32 v9, v15, v10, vcc_lo
	v_add_co_u32 v10, vcc_lo, v11, 1
	s_wait_alu 0xfffd
	v_add_co_ci_u32_e64 v15, null, 0, v12, vcc_lo
	v_cmp_eq_u32_e32 vcc_lo, s35, v7
	s_wait_alu 0xfffd
	v_cndmask_b32_e32 v5, v16, v5, vcc_lo
	v_cmp_ne_u32_e32 vcc_lo, 0, v9
	s_delay_alu instid0(VALU_DEP_2) | instskip(SKIP_4) | instid1(VALU_DEP_2)
	v_cmp_ne_u32_e64 s2, 0, v5
	s_wait_alu 0xfffd
	v_cndmask_b32_e32 v5, v10, v13, vcc_lo
	v_cndmask_b32_e32 v7, v15, v14, vcc_lo
	s_wait_alu 0xf1ff
	v_cndmask_b32_e64 v5, v11, v5, s2
	s_delay_alu instid0(VALU_DEP_2) | instskip(NEXT) | instid1(VALU_DEP_2)
	v_cndmask_b32_e64 v7, v12, v7, s2
	v_xor_b32_e32 v5, v5, v3
	s_delay_alu instid0(VALU_DEP_2) | instskip(NEXT) | instid1(VALU_DEP_2)
	v_xor_b32_e32 v7, v7, v3
	v_sub_co_u32 v10, vcc_lo, v5, v3
	s_wait_alu 0xfffd
	s_delay_alu instid0(VALU_DEP_2)
	v_sub_co_ci_u32_e64 v11, null, v7, v3, vcc_lo
.LBB28_18:                              ;   in Loop: Header=BB28_16 Depth=2
	s_wait_alu 0xfffe
	s_and_not1_saveexec_b32 s2, s36
	s_cbranch_execz .LBB28_15
; %bb.19:                               ;   in Loop: Header=BB28_16 Depth=2
	v_cvt_f32_u32_e32 v3, s28
	s_sub_co_i32 s29, 0, s28
	v_mov_b32_e32 v11, v2
	s_delay_alu instid0(VALU_DEP_2) | instskip(NEXT) | instid1(TRANS32_DEP_1)
	v_rcp_iflag_f32_e32 v3, v3
	v_mul_f32_e32 v3, 0x4f7ffffe, v3
	s_delay_alu instid0(VALU_DEP_1) | instskip(SKIP_1) | instid1(VALU_DEP_1)
	v_cvt_u32_f32_e32 v3, v3
	s_wait_alu 0xfffe
	v_mul_lo_u32 v5, s29, v3
	s_delay_alu instid0(VALU_DEP_1) | instskip(NEXT) | instid1(VALU_DEP_1)
	v_mul_hi_u32 v5, v3, v5
	v_add_nc_u32_e32 v3, v3, v5
	s_delay_alu instid0(VALU_DEP_1) | instskip(NEXT) | instid1(VALU_DEP_1)
	v_mul_hi_u32 v3, v8, v3
	v_mul_lo_u32 v5, v3, s28
	v_add_nc_u32_e32 v7, 1, v3
	s_delay_alu instid0(VALU_DEP_2) | instskip(NEXT) | instid1(VALU_DEP_1)
	v_sub_nc_u32_e32 v5, v8, v5
	v_cmp_le_u32_e32 vcc_lo, s28, v5
	v_subrev_nc_u32_e32 v9, s28, v5
	s_wait_alu 0xfffd
	v_cndmask_b32_e32 v3, v3, v7, vcc_lo
	s_delay_alu instid0(VALU_DEP_1) | instskip(NEXT) | instid1(VALU_DEP_3)
	v_add_nc_u32_e32 v7, 1, v3
	v_cndmask_b32_e32 v5, v5, v9, vcc_lo
	s_delay_alu instid0(VALU_DEP_1) | instskip(SKIP_1) | instid1(VALU_DEP_3)
	v_cmp_le_u32_e32 vcc_lo, s28, v5
	s_wait_alu 0xfffd
	v_cndmask_b32_e32 v10, v3, v7, vcc_lo
	s_branch .LBB28_15
.LBB28_20:                              ;   in Loop: Header=BB28_3 Depth=1
	s_mov_b32 s2, s18
	s_and_not1_b32 vcc_lo, exec_lo, s53
	s_wait_alu 0xfffe
	s_cbranch_vccnz .LBB28_56
.LBB28_21:                              ;   in Loop: Header=BB28_3 Depth=1
	s_add_co_i32 s26, s2, -7
.LBB28_22:                              ;   Parent Loop BB28_3 Depth=1
                                        ; =>  This Inner Loop Header: Depth=2
	s_wait_alu 0xfffe
	s_add_co_i32 s18, s26, 7
                                        ; implicit-def: $vgpr10_vgpr11
	s_mov_b32 s2, exec_lo
	s_wait_alu 0xfffe
	s_lshl_b64 s[34:35], s[18:19], 2
	s_wait_alu 0xfffe
	s_add_nc_u64 s[28:29], s[10:11], s[34:35]
	s_load_b32 s28, s[28:29], 0x8
	s_wait_kmcnt 0x0
	s_ashr_i32 s29, s28, 31
	s_wait_alu 0xfffe
	v_or_b32_e32 v3, s29, v9
	s_delay_alu instid0(VALU_DEP_1)
	v_cmpx_ne_u64_e32 0, v[2:3]
	s_xor_b32 s25, exec_lo, s2
	s_cbranch_execz .LBB28_24
; %bb.23:                               ;   in Loop: Header=BB28_22 Depth=2
	s_ashr_i32 s30, s29, 31
	v_ashrrev_i32_e32 v3, 31, v9
	s_wait_alu 0xfffe
	s_mov_b32 s31, s30
	s_wait_alu 0xfffe
	s_add_nc_u64 s[36:37], s[28:29], s[30:31]
	v_add_co_u32 v5, vcc_lo, v8, v3
	s_wait_alu 0xfffe
	s_xor_b64 s[36:37], s[36:37], s[30:31]
	s_wait_alu 0xfffd
	v_add_co_ci_u32_e64 v7, null, v9, v3, vcc_lo
	s_wait_alu 0xfffe
	s_cvt_f32_u32 s2, s36
	s_cvt_f32_u32 s18, s37
	s_sub_nc_u64 s[40:41], 0, s[36:37]
	v_xor_b32_e32 v5, v5, v3
	v_xor_b32_e32 v7, v7, v3
	s_wait_alu 0xfffe
	s_fmamk_f32 s2, s18, 0x4f800000, s2
	v_xor_b32_e32 v3, s30, v3
	s_wait_alu 0xfffe
	s_delay_alu instid0(SALU_CYCLE_1) | instskip(NEXT) | instid1(TRANS32_DEP_1)
	v_s_rcp_f32 s2, s2
	s_mul_f32 s2, s2, 0x5f7ffffc
	s_wait_alu 0xfffe
	s_delay_alu instid0(SALU_CYCLE_2) | instskip(SKIP_1) | instid1(SALU_CYCLE_2)
	s_mul_f32 s18, s2, 0x2f800000
	s_wait_alu 0xfffe
	s_trunc_f32 s18, s18
	s_wait_alu 0xfffe
	s_delay_alu instid0(SALU_CYCLE_2) | instskip(SKIP_2) | instid1(SALU_CYCLE_1)
	s_fmamk_f32 s2, s18, 0xcf800000, s2
	s_cvt_u32_f32 s39, s18
	s_wait_alu 0xfffe
	s_cvt_u32_f32 s38, s2
	s_wait_alu 0xfffe
	s_delay_alu instid0(SALU_CYCLE_2)
	s_mul_u64 s[42:43], s[40:41], s[38:39]
	s_wait_alu 0xfffe
	s_mul_hi_u32 s45, s38, s43
	s_mul_i32 s44, s38, s43
	s_mul_hi_u32 s18, s38, s42
	s_mul_i32 s27, s39, s42
	s_wait_alu 0xfffe
	s_add_nc_u64 s[44:45], s[18:19], s[44:45]
	s_mul_hi_u32 s2, s39, s42
	s_mul_hi_u32 s29, s39, s43
	s_wait_alu 0xfffe
	s_add_co_u32 s18, s44, s27
	s_add_co_ci_u32 s18, s45, s2
	s_mul_i32 s42, s39, s43
	s_add_co_ci_u32 s43, s29, 0
	s_wait_alu 0xfffe
	s_add_nc_u64 s[42:43], s[18:19], s[42:43]
	s_wait_alu 0xfffe
	s_add_co_u32 s38, s38, s42
	s_cselect_b32 s2, -1, 0
	s_wait_alu 0xfffe
	s_cmp_lg_u32 s2, 0
	s_add_co_ci_u32 s39, s39, s43
	s_wait_alu 0xfffe
	s_mul_u64 s[40:41], s[40:41], s[38:39]
	s_wait_alu 0xfffe
	s_mul_hi_u32 s43, s38, s41
	s_mul_i32 s42, s38, s41
	s_mul_hi_u32 s18, s38, s40
	s_mul_i32 s27, s39, s40
	s_wait_alu 0xfffe
	s_add_nc_u64 s[42:43], s[18:19], s[42:43]
	s_mul_hi_u32 s2, s39, s40
	s_mul_hi_u32 s29, s39, s41
	s_wait_alu 0xfffe
	s_add_co_u32 s18, s42, s27
	s_add_co_ci_u32 s18, s43, s2
	s_mul_i32 s40, s39, s41
	s_add_co_ci_u32 s41, s29, 0
	s_wait_alu 0xfffe
	s_add_nc_u64 s[40:41], s[18:19], s[40:41]
	s_wait_alu 0xfffe
	s_add_co_u32 s2, s38, s40
	s_cselect_b32 s18, -1, 0
	s_wait_alu 0xfffe
	v_mul_hi_u32 v15, v5, s2
	s_cmp_lg_u32 s18, 0
	v_mad_co_u64_u32 v[11:12], null, v7, s2, 0
	s_add_co_ci_u32 s18, s39, s41
	s_wait_alu 0xfffe
	v_mad_co_u64_u32 v[9:10], null, v5, s18, 0
	v_mad_co_u64_u32 v[13:14], null, v7, s18, 0
	s_delay_alu instid0(VALU_DEP_2) | instskip(SKIP_1) | instid1(VALU_DEP_3)
	v_add_co_u32 v9, vcc_lo, v15, v9
	s_wait_alu 0xfffd
	v_add_co_ci_u32_e64 v10, null, 0, v10, vcc_lo
	s_delay_alu instid0(VALU_DEP_2) | instskip(SKIP_1) | instid1(VALU_DEP_2)
	v_add_co_u32 v9, vcc_lo, v9, v11
	s_wait_alu 0xfffd
	v_add_co_ci_u32_e32 v9, vcc_lo, v10, v12, vcc_lo
	s_wait_alu 0xfffd
	v_add_co_ci_u32_e32 v10, vcc_lo, 0, v14, vcc_lo
	s_delay_alu instid0(VALU_DEP_2) | instskip(SKIP_1) | instid1(VALU_DEP_2)
	v_add_co_u32 v11, vcc_lo, v9, v13
	s_wait_alu 0xfffd
	v_add_co_ci_u32_e64 v12, null, 0, v10, vcc_lo
	s_delay_alu instid0(VALU_DEP_2) | instskip(SKIP_1) | instid1(VALU_DEP_3)
	v_mul_lo_u32 v13, s37, v11
	v_mad_co_u64_u32 v[9:10], null, s36, v11, 0
	v_mul_lo_u32 v14, s36, v12
	s_delay_alu instid0(VALU_DEP_2) | instskip(NEXT) | instid1(VALU_DEP_2)
	v_sub_co_u32 v5, vcc_lo, v5, v9
	v_add3_u32 v10, v10, v14, v13
	s_delay_alu instid0(VALU_DEP_1) | instskip(SKIP_2) | instid1(VALU_DEP_2)
	v_sub_nc_u32_e32 v13, v7, v10
	s_wait_alu 0xfffd
	v_sub_co_ci_u32_e64 v7, null, v7, v10, vcc_lo
	v_subrev_co_ci_u32_e64 v9, null, s37, v13, vcc_lo
	v_add_co_u32 v13, s2, v11, 2
	s_wait_alu 0xf1ff
	v_add_co_ci_u32_e64 v14, null, 0, v12, s2
	v_sub_co_u32 v15, s2, v5, s36
	s_wait_alu 0xf1ff
	v_subrev_co_ci_u32_e64 v9, null, 0, v9, s2
	s_delay_alu instid0(VALU_DEP_2) | instskip(SKIP_2) | instid1(VALU_DEP_3)
	v_cmp_le_u32_e32 vcc_lo, s36, v15
	s_wait_alu 0xfffd
	v_cndmask_b32_e64 v10, 0, -1, vcc_lo
	v_cmp_le_u32_e32 vcc_lo, s37, v9
	s_wait_alu 0xfffd
	v_cndmask_b32_e64 v15, 0, -1, vcc_lo
	v_cmp_le_u32_e32 vcc_lo, s36, v5
	s_wait_alu 0xfffd
	v_cndmask_b32_e64 v5, 0, -1, vcc_lo
	v_cmp_le_u32_e32 vcc_lo, s37, v7
	s_wait_alu 0xfffd
	v_cndmask_b32_e64 v16, 0, -1, vcc_lo
	v_cmp_eq_u32_e32 vcc_lo, s37, v9
	s_wait_alu 0xfffd
	v_cndmask_b32_e32 v9, v15, v10, vcc_lo
	v_add_co_u32 v10, vcc_lo, v11, 1
	s_wait_alu 0xfffd
	v_add_co_ci_u32_e64 v15, null, 0, v12, vcc_lo
	v_cmp_eq_u32_e32 vcc_lo, s37, v7
	s_wait_alu 0xfffd
	v_cndmask_b32_e32 v5, v16, v5, vcc_lo
	v_cmp_ne_u32_e32 vcc_lo, 0, v9
	s_delay_alu instid0(VALU_DEP_2) | instskip(SKIP_4) | instid1(VALU_DEP_2)
	v_cmp_ne_u32_e64 s2, 0, v5
	s_wait_alu 0xfffd
	v_cndmask_b32_e32 v5, v10, v13, vcc_lo
	v_cndmask_b32_e32 v7, v15, v14, vcc_lo
	s_wait_alu 0xf1ff
	v_cndmask_b32_e64 v5, v11, v5, s2
	s_delay_alu instid0(VALU_DEP_2) | instskip(NEXT) | instid1(VALU_DEP_2)
	v_cndmask_b32_e64 v7, v12, v7, s2
	v_xor_b32_e32 v5, v5, v3
	s_delay_alu instid0(VALU_DEP_2) | instskip(NEXT) | instid1(VALU_DEP_2)
	v_xor_b32_e32 v7, v7, v3
	v_sub_co_u32 v10, vcc_lo, v5, v3
	s_wait_alu 0xfffd
	s_delay_alu instid0(VALU_DEP_2)
	v_sub_co_ci_u32_e64 v11, null, v7, v3, vcc_lo
.LBB28_24:                              ;   in Loop: Header=BB28_22 Depth=2
	s_wait_alu 0xfffe
	s_and_not1_saveexec_b32 s2, s25
	s_cbranch_execz .LBB28_26
; %bb.25:                               ;   in Loop: Header=BB28_22 Depth=2
	v_cvt_f32_u32_e32 v3, s28
	s_sub_co_i32 s18, 0, s28
	v_mov_b32_e32 v11, v2
	s_delay_alu instid0(VALU_DEP_2) | instskip(NEXT) | instid1(TRANS32_DEP_1)
	v_rcp_iflag_f32_e32 v3, v3
	v_mul_f32_e32 v3, 0x4f7ffffe, v3
	s_delay_alu instid0(VALU_DEP_1) | instskip(SKIP_1) | instid1(VALU_DEP_1)
	v_cvt_u32_f32_e32 v3, v3
	s_wait_alu 0xfffe
	v_mul_lo_u32 v5, s18, v3
	s_delay_alu instid0(VALU_DEP_1) | instskip(NEXT) | instid1(VALU_DEP_1)
	v_mul_hi_u32 v5, v3, v5
	v_add_nc_u32_e32 v3, v3, v5
	s_delay_alu instid0(VALU_DEP_1) | instskip(NEXT) | instid1(VALU_DEP_1)
	v_mul_hi_u32 v3, v8, v3
	v_mul_lo_u32 v5, v3, s28
	v_add_nc_u32_e32 v7, 1, v3
	s_delay_alu instid0(VALU_DEP_2) | instskip(NEXT) | instid1(VALU_DEP_1)
	v_sub_nc_u32_e32 v5, v8, v5
	v_cmp_le_u32_e32 vcc_lo, s28, v5
	v_subrev_nc_u32_e32 v9, s28, v5
	s_wait_alu 0xfffd
	v_cndmask_b32_e32 v3, v3, v7, vcc_lo
	s_delay_alu instid0(VALU_DEP_1) | instskip(NEXT) | instid1(VALU_DEP_3)
	v_add_nc_u32_e32 v7, 1, v3
	v_cndmask_b32_e32 v5, v5, v9, vcc_lo
	s_delay_alu instid0(VALU_DEP_1) | instskip(SKIP_1) | instid1(VALU_DEP_3)
	v_cmp_le_u32_e32 vcc_lo, s28, v5
	s_wait_alu 0xfffd
	v_cndmask_b32_e32 v10, v3, v7, vcc_lo
.LBB28_26:                              ;   in Loop: Header=BB28_22 Depth=2
	s_wait_alu 0xfffe
	s_or_b32 exec_lo, exec_lo, s2
	s_add_co_i32 s18, s26, 6
	s_add_nc_u64 s[34:35], s[0:1], s[34:35]
	s_wait_alu 0xfffe
	s_lshl_b64 s[36:37], s[18:19], 2
                                        ; implicit-def: $vgpr12_vgpr13
	s_mov_b32 s2, exec_lo
	s_wait_alu 0xfffe
	s_add_nc_u64 s[30:31], s[10:11], s[36:37]
	s_clause 0x1
	s_load_b32 s25, s[34:35], 0x6c
	s_load_b32 s30, s[30:31], 0x8
	s_wait_kmcnt 0x0
	s_ashr_i32 s31, s30, 31
	s_wait_alu 0xfffe
	v_or_b32_e32 v3, s31, v11
	s_delay_alu instid0(VALU_DEP_1)
	v_cmpx_ne_u64_e32 0, v[2:3]
	s_xor_b32 s27, exec_lo, s2
	s_cbranch_execz .LBB28_28
; %bb.27:                               ;   in Loop: Header=BB28_22 Depth=2
	s_ashr_i32 s34, s31, 31
	v_ashrrev_i32_e32 v3, 31, v11
	s_wait_alu 0xfffe
	s_mov_b32 s35, s34
	s_wait_alu 0xfffe
	s_add_nc_u64 s[38:39], s[30:31], s[34:35]
	v_add_co_u32 v5, vcc_lo, v10, v3
	s_wait_alu 0xfffe
	s_xor_b64 s[38:39], s[38:39], s[34:35]
	s_wait_alu 0xfffd
	v_add_co_ci_u32_e64 v7, null, v11, v3, vcc_lo
	s_wait_alu 0xfffe
	s_cvt_f32_u32 s2, s38
	s_cvt_f32_u32 s18, s39
	s_sub_nc_u64 s[42:43], 0, s[38:39]
	v_xor_b32_e32 v5, v5, v3
	v_xor_b32_e32 v7, v7, v3
	s_wait_alu 0xfffe
	s_fmamk_f32 s2, s18, 0x4f800000, s2
	v_xor_b32_e32 v3, s34, v3
	s_wait_alu 0xfffe
	s_delay_alu instid0(SALU_CYCLE_1) | instskip(NEXT) | instid1(TRANS32_DEP_1)
	v_s_rcp_f32 s2, s2
	s_mul_f32 s2, s2, 0x5f7ffffc
	s_wait_alu 0xfffe
	s_delay_alu instid0(SALU_CYCLE_2) | instskip(SKIP_1) | instid1(SALU_CYCLE_2)
	s_mul_f32 s18, s2, 0x2f800000
	s_wait_alu 0xfffe
	s_trunc_f32 s18, s18
	s_wait_alu 0xfffe
	s_delay_alu instid0(SALU_CYCLE_2) | instskip(SKIP_2) | instid1(SALU_CYCLE_1)
	s_fmamk_f32 s2, s18, 0xcf800000, s2
	s_cvt_u32_f32 s41, s18
	s_wait_alu 0xfffe
	s_cvt_u32_f32 s40, s2
	s_wait_alu 0xfffe
	s_delay_alu instid0(SALU_CYCLE_2)
	s_mul_u64 s[44:45], s[42:43], s[40:41]
	s_wait_alu 0xfffe
	s_mul_hi_u32 s47, s40, s45
	s_mul_i32 s46, s40, s45
	s_mul_hi_u32 s18, s40, s44
	s_mul_i32 s29, s41, s44
	s_wait_alu 0xfffe
	s_add_nc_u64 s[46:47], s[18:19], s[46:47]
	s_mul_hi_u32 s2, s41, s44
	s_mul_hi_u32 s31, s41, s45
	s_wait_alu 0xfffe
	s_add_co_u32 s18, s46, s29
	s_add_co_ci_u32 s18, s47, s2
	s_mul_i32 s44, s41, s45
	s_add_co_ci_u32 s45, s31, 0
	s_wait_alu 0xfffe
	s_add_nc_u64 s[44:45], s[18:19], s[44:45]
	s_wait_alu 0xfffe
	s_add_co_u32 s40, s40, s44
	s_cselect_b32 s2, -1, 0
	s_wait_alu 0xfffe
	s_cmp_lg_u32 s2, 0
	s_add_co_ci_u32 s41, s41, s45
	s_wait_alu 0xfffe
	s_mul_u64 s[42:43], s[42:43], s[40:41]
	s_wait_alu 0xfffe
	s_mul_hi_u32 s45, s40, s43
	s_mul_i32 s44, s40, s43
	s_mul_hi_u32 s18, s40, s42
	s_mul_i32 s29, s41, s42
	s_wait_alu 0xfffe
	s_add_nc_u64 s[44:45], s[18:19], s[44:45]
	s_mul_hi_u32 s2, s41, s42
	s_mul_hi_u32 s31, s41, s43
	s_wait_alu 0xfffe
	s_add_co_u32 s18, s44, s29
	s_add_co_ci_u32 s18, s45, s2
	s_mul_i32 s42, s41, s43
	s_add_co_ci_u32 s43, s31, 0
	s_wait_alu 0xfffe
	s_add_nc_u64 s[42:43], s[18:19], s[42:43]
	s_wait_alu 0xfffe
	s_add_co_u32 s2, s40, s42
	s_cselect_b32 s18, -1, 0
	s_wait_alu 0xfffe
	v_mul_hi_u32 v9, v5, s2
	s_cmp_lg_u32 s18, 0
	v_mad_co_u64_u32 v[13:14], null, v7, s2, 0
	s_add_co_ci_u32 s18, s41, s43
	s_wait_alu 0xfffe
	v_mad_co_u64_u32 v[11:12], null, v5, s18, 0
	v_mad_co_u64_u32 v[15:16], null, v7, s18, 0
	s_delay_alu instid0(VALU_DEP_2) | instskip(SKIP_1) | instid1(VALU_DEP_3)
	v_add_co_u32 v9, vcc_lo, v9, v11
	s_wait_alu 0xfffd
	v_add_co_ci_u32_e64 v11, null, 0, v12, vcc_lo
	s_delay_alu instid0(VALU_DEP_2) | instskip(SKIP_1) | instid1(VALU_DEP_2)
	v_add_co_u32 v9, vcc_lo, v9, v13
	s_wait_alu 0xfffd
	v_add_co_ci_u32_e32 v9, vcc_lo, v11, v14, vcc_lo
	s_wait_alu 0xfffd
	v_add_co_ci_u32_e32 v11, vcc_lo, 0, v16, vcc_lo
	s_delay_alu instid0(VALU_DEP_2) | instskip(SKIP_1) | instid1(VALU_DEP_2)
	v_add_co_u32 v9, vcc_lo, v9, v15
	s_wait_alu 0xfffd
	v_add_co_ci_u32_e64 v13, null, 0, v11, vcc_lo
	s_delay_alu instid0(VALU_DEP_2) | instskip(SKIP_1) | instid1(VALU_DEP_3)
	v_mul_lo_u32 v14, s39, v9
	v_mad_co_u64_u32 v[11:12], null, s38, v9, 0
	v_mul_lo_u32 v15, s38, v13
	s_delay_alu instid0(VALU_DEP_2) | instskip(NEXT) | instid1(VALU_DEP_2)
	v_sub_co_u32 v5, vcc_lo, v5, v11
	v_add3_u32 v12, v12, v15, v14
	s_delay_alu instid0(VALU_DEP_1) | instskip(SKIP_2) | instid1(VALU_DEP_2)
	v_sub_nc_u32_e32 v14, v7, v12
	s_wait_alu 0xfffd
	v_sub_co_ci_u32_e64 v7, null, v7, v12, vcc_lo
	v_subrev_co_ci_u32_e64 v11, null, s39, v14, vcc_lo
	v_add_co_u32 v14, s2, v9, 2
	s_wait_alu 0xf1ff
	v_add_co_ci_u32_e64 v15, null, 0, v13, s2
	v_sub_co_u32 v16, s2, v5, s38
	s_wait_alu 0xf1ff
	v_subrev_co_ci_u32_e64 v11, null, 0, v11, s2
	s_delay_alu instid0(VALU_DEP_2) | instskip(SKIP_2) | instid1(VALU_DEP_3)
	v_cmp_le_u32_e32 vcc_lo, s38, v16
	s_wait_alu 0xfffd
	v_cndmask_b32_e64 v12, 0, -1, vcc_lo
	v_cmp_le_u32_e32 vcc_lo, s39, v11
	s_wait_alu 0xfffd
	v_cndmask_b32_e64 v16, 0, -1, vcc_lo
	;; [unrolled: 3-line block ×4, first 2 shown]
	v_cmp_eq_u32_e32 vcc_lo, s39, v11
	s_wait_alu 0xfffd
	v_cndmask_b32_e32 v11, v16, v12, vcc_lo
	v_add_co_u32 v12, vcc_lo, v9, 1
	s_wait_alu 0xfffd
	v_add_co_ci_u32_e64 v16, null, 0, v13, vcc_lo
	v_cmp_eq_u32_e32 vcc_lo, s39, v7
	s_wait_alu 0xfffd
	v_cndmask_b32_e32 v5, v17, v5, vcc_lo
	v_cmp_ne_u32_e32 vcc_lo, 0, v11
	s_delay_alu instid0(VALU_DEP_2) | instskip(SKIP_4) | instid1(VALU_DEP_2)
	v_cmp_ne_u32_e64 s2, 0, v5
	s_wait_alu 0xfffd
	v_cndmask_b32_e32 v5, v12, v14, vcc_lo
	v_cndmask_b32_e32 v7, v16, v15, vcc_lo
	s_wait_alu 0xf1ff
	v_cndmask_b32_e64 v5, v9, v5, s2
	s_delay_alu instid0(VALU_DEP_2) | instskip(NEXT) | instid1(VALU_DEP_2)
	v_cndmask_b32_e64 v7, v13, v7, s2
	v_xor_b32_e32 v5, v5, v3
	s_delay_alu instid0(VALU_DEP_2) | instskip(NEXT) | instid1(VALU_DEP_2)
	v_xor_b32_e32 v7, v7, v3
	v_sub_co_u32 v12, vcc_lo, v5, v3
	s_wait_alu 0xfffd
	s_delay_alu instid0(VALU_DEP_2)
	v_sub_co_ci_u32_e64 v13, null, v7, v3, vcc_lo
.LBB28_28:                              ;   in Loop: Header=BB28_22 Depth=2
	s_wait_alu 0xfffe
	s_and_not1_saveexec_b32 s2, s27
	s_cbranch_execz .LBB28_30
; %bb.29:                               ;   in Loop: Header=BB28_22 Depth=2
	v_cvt_f32_u32_e32 v3, s30
	s_sub_co_i32 s18, 0, s30
	v_mov_b32_e32 v13, v2
	s_delay_alu instid0(VALU_DEP_2) | instskip(NEXT) | instid1(TRANS32_DEP_1)
	v_rcp_iflag_f32_e32 v3, v3
	v_mul_f32_e32 v3, 0x4f7ffffe, v3
	s_delay_alu instid0(VALU_DEP_1) | instskip(SKIP_1) | instid1(VALU_DEP_1)
	v_cvt_u32_f32_e32 v3, v3
	s_wait_alu 0xfffe
	v_mul_lo_u32 v5, s18, v3
	s_delay_alu instid0(VALU_DEP_1) | instskip(NEXT) | instid1(VALU_DEP_1)
	v_mul_hi_u32 v5, v3, v5
	v_add_nc_u32_e32 v3, v3, v5
	s_delay_alu instid0(VALU_DEP_1) | instskip(NEXT) | instid1(VALU_DEP_1)
	v_mul_hi_u32 v3, v10, v3
	v_mul_lo_u32 v5, v3, s30
	v_add_nc_u32_e32 v7, 1, v3
	s_delay_alu instid0(VALU_DEP_2) | instskip(NEXT) | instid1(VALU_DEP_1)
	v_sub_nc_u32_e32 v5, v10, v5
	v_cmp_le_u32_e32 vcc_lo, s30, v5
	v_subrev_nc_u32_e32 v9, s30, v5
	s_wait_alu 0xfffd
	v_cndmask_b32_e32 v3, v3, v7, vcc_lo
	s_delay_alu instid0(VALU_DEP_1) | instskip(NEXT) | instid1(VALU_DEP_3)
	v_add_nc_u32_e32 v7, 1, v3
	v_cndmask_b32_e32 v5, v5, v9, vcc_lo
	s_delay_alu instid0(VALU_DEP_1) | instskip(SKIP_1) | instid1(VALU_DEP_3)
	v_cmp_le_u32_e32 vcc_lo, s30, v5
	s_wait_alu 0xfffd
	v_cndmask_b32_e32 v12, v3, v7, vcc_lo
.LBB28_30:                              ;   in Loop: Header=BB28_22 Depth=2
	s_wait_alu 0xfffe
	s_or_b32 exec_lo, exec_lo, s2
	s_add_co_i32 s18, s26, 5
	s_add_nc_u64 s[36:37], s[0:1], s[36:37]
	s_wait_alu 0xfffe
	s_lshl_b64 s[38:39], s[18:19], 2
                                        ; implicit-def: $vgpr14_vgpr15
	s_mov_b32 s2, exec_lo
	s_wait_alu 0xfffe
	s_add_nc_u64 s[34:35], s[10:11], s[38:39]
	s_clause 0x1
	s_load_b32 s29, s[36:37], 0x6c
	s_load_b32 s34, s[34:35], 0x8
	s_wait_kmcnt 0x0
	s_ashr_i32 s35, s34, 31
	s_wait_alu 0xfffe
	v_or_b32_e32 v3, s35, v13
	s_delay_alu instid0(VALU_DEP_1)
	v_cmpx_ne_u64_e32 0, v[2:3]
	s_xor_b32 s27, exec_lo, s2
	s_cbranch_execz .LBB28_32
; %bb.31:                               ;   in Loop: Header=BB28_22 Depth=2
	s_ashr_i32 s36, s35, 31
	v_ashrrev_i32_e32 v3, 31, v13
	s_wait_alu 0xfffe
	s_mov_b32 s37, s36
	s_wait_alu 0xfffe
	s_add_nc_u64 s[40:41], s[34:35], s[36:37]
	v_add_co_u32 v5, vcc_lo, v12, v3
	s_wait_alu 0xfffe
	s_xor_b64 s[40:41], s[40:41], s[36:37]
	s_wait_alu 0xfffd
	v_add_co_ci_u32_e64 v7, null, v13, v3, vcc_lo
	s_wait_alu 0xfffe
	s_cvt_f32_u32 s2, s40
	s_cvt_f32_u32 s18, s41
	s_sub_nc_u64 s[44:45], 0, s[40:41]
	v_xor_b32_e32 v5, v5, v3
	v_xor_b32_e32 v7, v7, v3
	s_wait_alu 0xfffe
	s_fmamk_f32 s2, s18, 0x4f800000, s2
	v_xor_b32_e32 v3, s36, v3
	s_wait_alu 0xfffe
	s_delay_alu instid0(SALU_CYCLE_1) | instskip(NEXT) | instid1(TRANS32_DEP_1)
	v_s_rcp_f32 s2, s2
	s_mul_f32 s2, s2, 0x5f7ffffc
	s_wait_alu 0xfffe
	s_delay_alu instid0(SALU_CYCLE_2) | instskip(SKIP_1) | instid1(SALU_CYCLE_2)
	s_mul_f32 s18, s2, 0x2f800000
	s_wait_alu 0xfffe
	s_trunc_f32 s18, s18
	s_wait_alu 0xfffe
	s_delay_alu instid0(SALU_CYCLE_2) | instskip(SKIP_2) | instid1(SALU_CYCLE_1)
	s_fmamk_f32 s2, s18, 0xcf800000, s2
	s_cvt_u32_f32 s43, s18
	s_wait_alu 0xfffe
	s_cvt_u32_f32 s42, s2
	s_wait_alu 0xfffe
	s_delay_alu instid0(SALU_CYCLE_2)
	s_mul_u64 s[46:47], s[44:45], s[42:43]
	s_wait_alu 0xfffe
	s_mul_hi_u32 s49, s42, s47
	s_mul_i32 s48, s42, s47
	s_mul_hi_u32 s18, s42, s46
	s_mul_i32 s31, s43, s46
	s_wait_alu 0xfffe
	s_add_nc_u64 s[48:49], s[18:19], s[48:49]
	s_mul_hi_u32 s2, s43, s46
	s_mul_hi_u32 s35, s43, s47
	s_wait_alu 0xfffe
	s_add_co_u32 s18, s48, s31
	s_add_co_ci_u32 s18, s49, s2
	s_mul_i32 s46, s43, s47
	s_add_co_ci_u32 s47, s35, 0
	s_wait_alu 0xfffe
	s_add_nc_u64 s[46:47], s[18:19], s[46:47]
	s_wait_alu 0xfffe
	s_add_co_u32 s42, s42, s46
	s_cselect_b32 s2, -1, 0
	s_wait_alu 0xfffe
	s_cmp_lg_u32 s2, 0
	s_add_co_ci_u32 s43, s43, s47
	s_wait_alu 0xfffe
	s_mul_u64 s[44:45], s[44:45], s[42:43]
	s_wait_alu 0xfffe
	s_mul_hi_u32 s47, s42, s45
	s_mul_i32 s46, s42, s45
	s_mul_hi_u32 s18, s42, s44
	s_mul_i32 s31, s43, s44
	s_wait_alu 0xfffe
	s_add_nc_u64 s[46:47], s[18:19], s[46:47]
	s_mul_hi_u32 s2, s43, s44
	s_mul_hi_u32 s35, s43, s45
	s_wait_alu 0xfffe
	s_add_co_u32 s18, s46, s31
	s_add_co_ci_u32 s18, s47, s2
	s_mul_i32 s44, s43, s45
	s_add_co_ci_u32 s45, s35, 0
	s_wait_alu 0xfffe
	s_add_nc_u64 s[44:45], s[18:19], s[44:45]
	s_wait_alu 0xfffe
	s_add_co_u32 s2, s42, s44
	s_cselect_b32 s18, -1, 0
	s_wait_alu 0xfffe
	v_mul_hi_u32 v9, v5, s2
	s_cmp_lg_u32 s18, 0
	v_mad_co_u64_u32 v[15:16], null, v7, s2, 0
	s_add_co_ci_u32 s18, s43, s45
	s_wait_alu 0xfffe
	v_mad_co_u64_u32 v[13:14], null, v5, s18, 0
	v_mad_co_u64_u32 v[17:18], null, v7, s18, 0
	s_delay_alu instid0(VALU_DEP_2) | instskip(SKIP_1) | instid1(VALU_DEP_3)
	v_add_co_u32 v9, vcc_lo, v9, v13
	s_wait_alu 0xfffd
	v_add_co_ci_u32_e64 v11, null, 0, v14, vcc_lo
	s_delay_alu instid0(VALU_DEP_2) | instskip(SKIP_1) | instid1(VALU_DEP_2)
	v_add_co_u32 v9, vcc_lo, v9, v15
	s_wait_alu 0xfffd
	v_add_co_ci_u32_e32 v9, vcc_lo, v11, v16, vcc_lo
	s_wait_alu 0xfffd
	v_add_co_ci_u32_e32 v11, vcc_lo, 0, v18, vcc_lo
	s_delay_alu instid0(VALU_DEP_2) | instskip(SKIP_1) | instid1(VALU_DEP_2)
	v_add_co_u32 v9, vcc_lo, v9, v17
	s_wait_alu 0xfffd
	v_add_co_ci_u32_e64 v11, null, 0, v11, vcc_lo
	s_delay_alu instid0(VALU_DEP_2) | instskip(SKIP_1) | instid1(VALU_DEP_3)
	v_mul_lo_u32 v15, s41, v9
	v_mad_co_u64_u32 v[13:14], null, s40, v9, 0
	v_mul_lo_u32 v16, s40, v11
	s_delay_alu instid0(VALU_DEP_2) | instskip(NEXT) | instid1(VALU_DEP_2)
	v_sub_co_u32 v5, vcc_lo, v5, v13
	v_add3_u32 v14, v14, v16, v15
	s_delay_alu instid0(VALU_DEP_1) | instskip(SKIP_2) | instid1(VALU_DEP_2)
	v_sub_nc_u32_e32 v15, v7, v14
	s_wait_alu 0xfffd
	v_sub_co_ci_u32_e64 v7, null, v7, v14, vcc_lo
	v_subrev_co_ci_u32_e64 v13, null, s41, v15, vcc_lo
	v_add_co_u32 v15, s2, v9, 2
	s_wait_alu 0xf1ff
	v_add_co_ci_u32_e64 v16, null, 0, v11, s2
	v_sub_co_u32 v17, s2, v5, s40
	s_wait_alu 0xf1ff
	v_subrev_co_ci_u32_e64 v13, null, 0, v13, s2
	s_delay_alu instid0(VALU_DEP_2) | instskip(SKIP_2) | instid1(VALU_DEP_3)
	v_cmp_le_u32_e32 vcc_lo, s40, v17
	s_wait_alu 0xfffd
	v_cndmask_b32_e64 v14, 0, -1, vcc_lo
	v_cmp_le_u32_e32 vcc_lo, s41, v13
	s_wait_alu 0xfffd
	v_cndmask_b32_e64 v17, 0, -1, vcc_lo
	;; [unrolled: 3-line block ×4, first 2 shown]
	v_cmp_eq_u32_e32 vcc_lo, s41, v13
	s_wait_alu 0xfffd
	v_cndmask_b32_e32 v13, v17, v14, vcc_lo
	v_add_co_u32 v14, vcc_lo, v9, 1
	s_wait_alu 0xfffd
	v_add_co_ci_u32_e64 v17, null, 0, v11, vcc_lo
	v_cmp_eq_u32_e32 vcc_lo, s41, v7
	s_wait_alu 0xfffd
	v_cndmask_b32_e32 v5, v18, v5, vcc_lo
	v_cmp_ne_u32_e32 vcc_lo, 0, v13
	s_delay_alu instid0(VALU_DEP_2) | instskip(SKIP_4) | instid1(VALU_DEP_2)
	v_cmp_ne_u32_e64 s2, 0, v5
	s_wait_alu 0xfffd
	v_cndmask_b32_e32 v5, v14, v15, vcc_lo
	v_cndmask_b32_e32 v7, v17, v16, vcc_lo
	s_wait_alu 0xf1ff
	v_cndmask_b32_e64 v5, v9, v5, s2
	s_delay_alu instid0(VALU_DEP_2) | instskip(NEXT) | instid1(VALU_DEP_2)
	v_cndmask_b32_e64 v7, v11, v7, s2
	v_xor_b32_e32 v5, v5, v3
	s_delay_alu instid0(VALU_DEP_2) | instskip(NEXT) | instid1(VALU_DEP_2)
	v_xor_b32_e32 v7, v7, v3
	v_sub_co_u32 v14, vcc_lo, v5, v3
	s_wait_alu 0xfffd
	s_delay_alu instid0(VALU_DEP_2)
	v_sub_co_ci_u32_e64 v15, null, v7, v3, vcc_lo
.LBB28_32:                              ;   in Loop: Header=BB28_22 Depth=2
	s_wait_alu 0xfffe
	s_and_not1_saveexec_b32 s2, s27
	s_cbranch_execz .LBB28_34
; %bb.33:                               ;   in Loop: Header=BB28_22 Depth=2
	v_cvt_f32_u32_e32 v3, s34
	s_sub_co_i32 s18, 0, s34
	v_mov_b32_e32 v15, v2
	s_delay_alu instid0(VALU_DEP_2) | instskip(NEXT) | instid1(TRANS32_DEP_1)
	v_rcp_iflag_f32_e32 v3, v3
	v_mul_f32_e32 v3, 0x4f7ffffe, v3
	s_delay_alu instid0(VALU_DEP_1) | instskip(SKIP_1) | instid1(VALU_DEP_1)
	v_cvt_u32_f32_e32 v3, v3
	s_wait_alu 0xfffe
	v_mul_lo_u32 v5, s18, v3
	s_delay_alu instid0(VALU_DEP_1) | instskip(NEXT) | instid1(VALU_DEP_1)
	v_mul_hi_u32 v5, v3, v5
	v_add_nc_u32_e32 v3, v3, v5
	s_delay_alu instid0(VALU_DEP_1) | instskip(NEXT) | instid1(VALU_DEP_1)
	v_mul_hi_u32 v3, v12, v3
	v_mul_lo_u32 v5, v3, s34
	v_add_nc_u32_e32 v7, 1, v3
	s_delay_alu instid0(VALU_DEP_2) | instskip(NEXT) | instid1(VALU_DEP_1)
	v_sub_nc_u32_e32 v5, v12, v5
	v_cmp_le_u32_e32 vcc_lo, s34, v5
	v_subrev_nc_u32_e32 v9, s34, v5
	s_wait_alu 0xfffd
	v_cndmask_b32_e32 v3, v3, v7, vcc_lo
	s_delay_alu instid0(VALU_DEP_1) | instskip(NEXT) | instid1(VALU_DEP_3)
	v_add_nc_u32_e32 v7, 1, v3
	v_cndmask_b32_e32 v5, v5, v9, vcc_lo
	s_delay_alu instid0(VALU_DEP_1) | instskip(SKIP_1) | instid1(VALU_DEP_3)
	v_cmp_le_u32_e32 vcc_lo, s34, v5
	s_wait_alu 0xfffd
	v_cndmask_b32_e32 v14, v3, v7, vcc_lo
.LBB28_34:                              ;   in Loop: Header=BB28_22 Depth=2
	s_wait_alu 0xfffe
	s_or_b32 exec_lo, exec_lo, s2
	s_add_co_i32 s18, s26, 4
	s_add_nc_u64 s[38:39], s[0:1], s[38:39]
	s_wait_alu 0xfffe
	s_lshl_b64 s[40:41], s[18:19], 2
                                        ; implicit-def: $vgpr16_vgpr17
	s_mov_b32 s2, exec_lo
	s_wait_alu 0xfffe
	s_add_nc_u64 s[36:37], s[10:11], s[40:41]
	s_clause 0x1
	s_load_b32 s31, s[38:39], 0x6c
	s_load_b32 s36, s[36:37], 0x8
	s_wait_kmcnt 0x0
	s_ashr_i32 s37, s36, 31
	s_wait_alu 0xfffe
	v_or_b32_e32 v3, s37, v15
	s_delay_alu instid0(VALU_DEP_1)
	v_cmpx_ne_u64_e32 0, v[2:3]
	s_xor_b32 s27, exec_lo, s2
	s_cbranch_execz .LBB28_36
; %bb.35:                               ;   in Loop: Header=BB28_22 Depth=2
	s_ashr_i32 s38, s37, 31
	v_ashrrev_i32_e32 v3, 31, v15
	s_wait_alu 0xfffe
	s_mov_b32 s39, s38
	s_wait_alu 0xfffe
	s_add_nc_u64 s[42:43], s[36:37], s[38:39]
	v_add_co_u32 v5, vcc_lo, v14, v3
	s_wait_alu 0xfffe
	s_xor_b64 s[42:43], s[42:43], s[38:39]
	s_wait_alu 0xfffd
	v_add_co_ci_u32_e64 v7, null, v15, v3, vcc_lo
	s_wait_alu 0xfffe
	s_cvt_f32_u32 s2, s42
	s_cvt_f32_u32 s18, s43
	s_sub_nc_u64 s[46:47], 0, s[42:43]
	v_xor_b32_e32 v5, v5, v3
	v_xor_b32_e32 v7, v7, v3
	s_wait_alu 0xfffe
	s_fmamk_f32 s2, s18, 0x4f800000, s2
	v_xor_b32_e32 v3, s38, v3
	s_wait_alu 0xfffe
	s_delay_alu instid0(SALU_CYCLE_1) | instskip(NEXT) | instid1(TRANS32_DEP_1)
	v_s_rcp_f32 s2, s2
	s_mul_f32 s2, s2, 0x5f7ffffc
	s_wait_alu 0xfffe
	s_delay_alu instid0(SALU_CYCLE_2) | instskip(SKIP_1) | instid1(SALU_CYCLE_2)
	s_mul_f32 s18, s2, 0x2f800000
	s_wait_alu 0xfffe
	s_trunc_f32 s18, s18
	s_wait_alu 0xfffe
	s_delay_alu instid0(SALU_CYCLE_2) | instskip(SKIP_2) | instid1(SALU_CYCLE_1)
	s_fmamk_f32 s2, s18, 0xcf800000, s2
	s_cvt_u32_f32 s45, s18
	s_wait_alu 0xfffe
	s_cvt_u32_f32 s44, s2
	s_wait_alu 0xfffe
	s_delay_alu instid0(SALU_CYCLE_2)
	s_mul_u64 s[48:49], s[46:47], s[44:45]
	s_wait_alu 0xfffe
	s_mul_hi_u32 s51, s44, s49
	s_mul_i32 s50, s44, s49
	s_mul_hi_u32 s18, s44, s48
	s_mul_i32 s35, s45, s48
	s_wait_alu 0xfffe
	s_add_nc_u64 s[50:51], s[18:19], s[50:51]
	s_mul_hi_u32 s2, s45, s48
	s_mul_hi_u32 s37, s45, s49
	s_wait_alu 0xfffe
	s_add_co_u32 s18, s50, s35
	s_add_co_ci_u32 s18, s51, s2
	s_mul_i32 s48, s45, s49
	s_add_co_ci_u32 s49, s37, 0
	s_wait_alu 0xfffe
	s_add_nc_u64 s[48:49], s[18:19], s[48:49]
	s_wait_alu 0xfffe
	s_add_co_u32 s44, s44, s48
	s_cselect_b32 s2, -1, 0
	s_wait_alu 0xfffe
	s_cmp_lg_u32 s2, 0
	s_add_co_ci_u32 s45, s45, s49
	s_wait_alu 0xfffe
	s_mul_u64 s[46:47], s[46:47], s[44:45]
	s_wait_alu 0xfffe
	s_mul_hi_u32 s49, s44, s47
	s_mul_i32 s48, s44, s47
	s_mul_hi_u32 s18, s44, s46
	s_mul_i32 s35, s45, s46
	s_wait_alu 0xfffe
	s_add_nc_u64 s[48:49], s[18:19], s[48:49]
	s_mul_hi_u32 s2, s45, s46
	s_mul_hi_u32 s37, s45, s47
	s_wait_alu 0xfffe
	s_add_co_u32 s18, s48, s35
	s_add_co_ci_u32 s18, s49, s2
	s_mul_i32 s46, s45, s47
	s_add_co_ci_u32 s47, s37, 0
	s_wait_alu 0xfffe
	s_add_nc_u64 s[46:47], s[18:19], s[46:47]
	s_wait_alu 0xfffe
	s_add_co_u32 s2, s44, s46
	s_cselect_b32 s18, -1, 0
	s_wait_alu 0xfffe
	v_mul_hi_u32 v9, v5, s2
	s_cmp_lg_u32 s18, 0
	v_mad_co_u64_u32 v[17:18], null, v7, s2, 0
	s_add_co_ci_u32 s18, s45, s47
	s_wait_alu 0xfffe
	v_mad_co_u64_u32 v[15:16], null, v5, s18, 0
	v_mad_co_u64_u32 v[19:20], null, v7, s18, 0
	s_delay_alu instid0(VALU_DEP_2) | instskip(SKIP_1) | instid1(VALU_DEP_3)
	v_add_co_u32 v9, vcc_lo, v9, v15
	s_wait_alu 0xfffd
	v_add_co_ci_u32_e64 v11, null, 0, v16, vcc_lo
	s_delay_alu instid0(VALU_DEP_2) | instskip(SKIP_1) | instid1(VALU_DEP_2)
	v_add_co_u32 v9, vcc_lo, v9, v17
	s_wait_alu 0xfffd
	v_add_co_ci_u32_e32 v9, vcc_lo, v11, v18, vcc_lo
	s_wait_alu 0xfffd
	v_add_co_ci_u32_e32 v11, vcc_lo, 0, v20, vcc_lo
	s_delay_alu instid0(VALU_DEP_2) | instskip(SKIP_1) | instid1(VALU_DEP_2)
	v_add_co_u32 v9, vcc_lo, v9, v19
	s_wait_alu 0xfffd
	v_add_co_ci_u32_e64 v11, null, 0, v11, vcc_lo
	s_delay_alu instid0(VALU_DEP_2) | instskip(SKIP_1) | instid1(VALU_DEP_3)
	v_mul_lo_u32 v13, s43, v9
	v_mad_co_u64_u32 v[15:16], null, s42, v9, 0
	v_mul_lo_u32 v17, s42, v11
	s_delay_alu instid0(VALU_DEP_2) | instskip(NEXT) | instid1(VALU_DEP_2)
	v_sub_co_u32 v5, vcc_lo, v5, v15
	v_add3_u32 v13, v16, v17, v13
	s_delay_alu instid0(VALU_DEP_1) | instskip(SKIP_2) | instid1(VALU_DEP_2)
	v_sub_nc_u32_e32 v16, v7, v13
	s_wait_alu 0xfffd
	v_sub_co_ci_u32_e64 v7, null, v7, v13, vcc_lo
	v_subrev_co_ci_u32_e64 v15, null, s43, v16, vcc_lo
	v_add_co_u32 v16, s2, v9, 2
	s_wait_alu 0xf1ff
	v_add_co_ci_u32_e64 v17, null, 0, v11, s2
	v_sub_co_u32 v18, s2, v5, s42
	s_wait_alu 0xf1ff
	v_subrev_co_ci_u32_e64 v15, null, 0, v15, s2
	s_delay_alu instid0(VALU_DEP_2) | instskip(SKIP_2) | instid1(VALU_DEP_3)
	v_cmp_le_u32_e32 vcc_lo, s42, v18
	s_wait_alu 0xfffd
	v_cndmask_b32_e64 v13, 0, -1, vcc_lo
	v_cmp_le_u32_e32 vcc_lo, s43, v15
	s_wait_alu 0xfffd
	v_cndmask_b32_e64 v18, 0, -1, vcc_lo
	;; [unrolled: 3-line block ×4, first 2 shown]
	v_cmp_eq_u32_e32 vcc_lo, s43, v15
	s_wait_alu 0xfffd
	v_cndmask_b32_e32 v13, v18, v13, vcc_lo
	v_add_co_u32 v15, vcc_lo, v9, 1
	s_wait_alu 0xfffd
	v_add_co_ci_u32_e64 v18, null, 0, v11, vcc_lo
	v_cmp_eq_u32_e32 vcc_lo, s43, v7
	s_wait_alu 0xfffd
	v_cndmask_b32_e32 v5, v19, v5, vcc_lo
	v_cmp_ne_u32_e32 vcc_lo, 0, v13
	s_delay_alu instid0(VALU_DEP_2) | instskip(SKIP_4) | instid1(VALU_DEP_2)
	v_cmp_ne_u32_e64 s2, 0, v5
	s_wait_alu 0xfffd
	v_cndmask_b32_e32 v5, v15, v16, vcc_lo
	v_cndmask_b32_e32 v7, v18, v17, vcc_lo
	s_wait_alu 0xf1ff
	v_cndmask_b32_e64 v5, v9, v5, s2
	s_delay_alu instid0(VALU_DEP_2) | instskip(NEXT) | instid1(VALU_DEP_2)
	v_cndmask_b32_e64 v7, v11, v7, s2
	v_xor_b32_e32 v5, v5, v3
	s_delay_alu instid0(VALU_DEP_2) | instskip(NEXT) | instid1(VALU_DEP_2)
	v_xor_b32_e32 v7, v7, v3
	v_sub_co_u32 v16, vcc_lo, v5, v3
	s_wait_alu 0xfffd
	s_delay_alu instid0(VALU_DEP_2)
	v_sub_co_ci_u32_e64 v17, null, v7, v3, vcc_lo
.LBB28_36:                              ;   in Loop: Header=BB28_22 Depth=2
	s_wait_alu 0xfffe
	s_and_not1_saveexec_b32 s2, s27
	s_cbranch_execz .LBB28_38
; %bb.37:                               ;   in Loop: Header=BB28_22 Depth=2
	v_cvt_f32_u32_e32 v3, s36
	s_sub_co_i32 s18, 0, s36
	v_mov_b32_e32 v17, v2
	s_delay_alu instid0(VALU_DEP_2) | instskip(NEXT) | instid1(TRANS32_DEP_1)
	v_rcp_iflag_f32_e32 v3, v3
	v_mul_f32_e32 v3, 0x4f7ffffe, v3
	s_delay_alu instid0(VALU_DEP_1) | instskip(SKIP_1) | instid1(VALU_DEP_1)
	v_cvt_u32_f32_e32 v3, v3
	s_wait_alu 0xfffe
	v_mul_lo_u32 v5, s18, v3
	s_delay_alu instid0(VALU_DEP_1) | instskip(NEXT) | instid1(VALU_DEP_1)
	v_mul_hi_u32 v5, v3, v5
	v_add_nc_u32_e32 v3, v3, v5
	s_delay_alu instid0(VALU_DEP_1) | instskip(NEXT) | instid1(VALU_DEP_1)
	v_mul_hi_u32 v3, v14, v3
	v_mul_lo_u32 v5, v3, s36
	v_add_nc_u32_e32 v7, 1, v3
	s_delay_alu instid0(VALU_DEP_2) | instskip(NEXT) | instid1(VALU_DEP_1)
	v_sub_nc_u32_e32 v5, v14, v5
	v_cmp_le_u32_e32 vcc_lo, s36, v5
	v_subrev_nc_u32_e32 v9, s36, v5
	s_wait_alu 0xfffd
	v_cndmask_b32_e32 v3, v3, v7, vcc_lo
	s_delay_alu instid0(VALU_DEP_1) | instskip(NEXT) | instid1(VALU_DEP_3)
	v_add_nc_u32_e32 v7, 1, v3
	v_cndmask_b32_e32 v5, v5, v9, vcc_lo
	s_delay_alu instid0(VALU_DEP_1) | instskip(SKIP_1) | instid1(VALU_DEP_3)
	v_cmp_le_u32_e32 vcc_lo, s36, v5
	s_wait_alu 0xfffd
	v_cndmask_b32_e32 v16, v3, v7, vcc_lo
.LBB28_38:                              ;   in Loop: Header=BB28_22 Depth=2
	s_wait_alu 0xfffe
	s_or_b32 exec_lo, exec_lo, s2
	s_add_co_i32 s18, s26, 3
	s_add_nc_u64 s[40:41], s[0:1], s[40:41]
	s_wait_alu 0xfffe
	s_lshl_b64 s[42:43], s[18:19], 2
                                        ; implicit-def: $vgpr18_vgpr19
	s_mov_b32 s2, exec_lo
	s_wait_alu 0xfffe
	s_add_nc_u64 s[38:39], s[10:11], s[42:43]
	s_clause 0x1
	s_load_b32 s35, s[40:41], 0x6c
	s_load_b32 s38, s[38:39], 0x8
	s_wait_kmcnt 0x0
	s_ashr_i32 s39, s38, 31
	s_wait_alu 0xfffe
	v_or_b32_e32 v3, s39, v17
	s_delay_alu instid0(VALU_DEP_1)
	v_cmpx_ne_u64_e32 0, v[2:3]
	s_xor_b32 s27, exec_lo, s2
	s_cbranch_execz .LBB28_40
; %bb.39:                               ;   in Loop: Header=BB28_22 Depth=2
	s_ashr_i32 s40, s39, 31
	v_ashrrev_i32_e32 v3, 31, v17
	s_wait_alu 0xfffe
	s_mov_b32 s41, s40
	s_wait_alu 0xfffe
	s_add_nc_u64 s[44:45], s[38:39], s[40:41]
	v_add_co_u32 v5, vcc_lo, v16, v3
	s_wait_alu 0xfffe
	s_xor_b64 s[44:45], s[44:45], s[40:41]
	s_wait_alu 0xfffd
	v_add_co_ci_u32_e64 v7, null, v17, v3, vcc_lo
	s_wait_alu 0xfffe
	s_cvt_f32_u32 s2, s44
	s_cvt_f32_u32 s18, s45
	s_sub_nc_u64 s[48:49], 0, s[44:45]
	v_xor_b32_e32 v5, v5, v3
	v_xor_b32_e32 v7, v7, v3
	s_wait_alu 0xfffe
	s_fmamk_f32 s2, s18, 0x4f800000, s2
	v_xor_b32_e32 v3, s40, v3
	s_wait_alu 0xfffe
	s_delay_alu instid0(SALU_CYCLE_1) | instskip(NEXT) | instid1(TRANS32_DEP_1)
	v_s_rcp_f32 s2, s2
	s_mul_f32 s2, s2, 0x5f7ffffc
	s_wait_alu 0xfffe
	s_delay_alu instid0(SALU_CYCLE_2) | instskip(SKIP_1) | instid1(SALU_CYCLE_2)
	s_mul_f32 s18, s2, 0x2f800000
	s_wait_alu 0xfffe
	s_trunc_f32 s18, s18
	s_wait_alu 0xfffe
	s_delay_alu instid0(SALU_CYCLE_2) | instskip(SKIP_2) | instid1(SALU_CYCLE_1)
	s_fmamk_f32 s2, s18, 0xcf800000, s2
	s_cvt_u32_f32 s47, s18
	s_wait_alu 0xfffe
	s_cvt_u32_f32 s46, s2
	s_wait_alu 0xfffe
	s_delay_alu instid0(SALU_CYCLE_2)
	s_mul_u64 s[50:51], s[48:49], s[46:47]
	s_wait_alu 0xfffe
	s_mul_hi_u32 s59, s46, s51
	s_mul_i32 s58, s46, s51
	s_mul_hi_u32 s18, s46, s50
	s_mul_i32 s37, s47, s50
	s_wait_alu 0xfffe
	s_add_nc_u64 s[58:59], s[18:19], s[58:59]
	s_mul_hi_u32 s2, s47, s50
	s_mul_hi_u32 s39, s47, s51
	s_add_co_u32 s18, s58, s37
	s_wait_alu 0xfffe
	s_add_co_ci_u32 s18, s59, s2
	s_mul_i32 s50, s47, s51
	s_add_co_ci_u32 s51, s39, 0
	s_wait_alu 0xfffe
	s_add_nc_u64 s[50:51], s[18:19], s[50:51]
	s_wait_alu 0xfffe
	s_add_co_u32 s46, s46, s50
	s_cselect_b32 s2, -1, 0
	s_wait_alu 0xfffe
	s_cmp_lg_u32 s2, 0
	s_add_co_ci_u32 s47, s47, s51
	s_wait_alu 0xfffe
	s_mul_u64 s[48:49], s[48:49], s[46:47]
	s_wait_alu 0xfffe
	s_mul_hi_u32 s51, s46, s49
	s_mul_i32 s50, s46, s49
	s_mul_hi_u32 s18, s46, s48
	s_mul_i32 s37, s47, s48
	s_wait_alu 0xfffe
	s_add_nc_u64 s[50:51], s[18:19], s[50:51]
	s_mul_hi_u32 s2, s47, s48
	s_mul_hi_u32 s39, s47, s49
	s_wait_alu 0xfffe
	s_add_co_u32 s18, s50, s37
	s_add_co_ci_u32 s18, s51, s2
	s_mul_i32 s48, s47, s49
	s_add_co_ci_u32 s49, s39, 0
	s_wait_alu 0xfffe
	s_add_nc_u64 s[48:49], s[18:19], s[48:49]
	s_wait_alu 0xfffe
	s_add_co_u32 s2, s46, s48
	s_cselect_b32 s18, -1, 0
	s_wait_alu 0xfffe
	v_mul_hi_u32 v9, v5, s2
	s_cmp_lg_u32 s18, 0
	v_mad_co_u64_u32 v[19:20], null, v7, s2, 0
	s_add_co_ci_u32 s18, s47, s49
	s_wait_alu 0xfffe
	v_mad_co_u64_u32 v[17:18], null, v5, s18, 0
	v_mad_co_u64_u32 v[21:22], null, v7, s18, 0
	s_delay_alu instid0(VALU_DEP_2) | instskip(SKIP_1) | instid1(VALU_DEP_3)
	v_add_co_u32 v9, vcc_lo, v9, v17
	s_wait_alu 0xfffd
	v_add_co_ci_u32_e64 v11, null, 0, v18, vcc_lo
	s_delay_alu instid0(VALU_DEP_2) | instskip(SKIP_1) | instid1(VALU_DEP_2)
	v_add_co_u32 v9, vcc_lo, v9, v19
	s_wait_alu 0xfffd
	v_add_co_ci_u32_e32 v9, vcc_lo, v11, v20, vcc_lo
	s_wait_alu 0xfffd
	v_add_co_ci_u32_e32 v11, vcc_lo, 0, v22, vcc_lo
	s_delay_alu instid0(VALU_DEP_2) | instskip(SKIP_1) | instid1(VALU_DEP_2)
	v_add_co_u32 v9, vcc_lo, v9, v21
	s_wait_alu 0xfffd
	v_add_co_ci_u32_e64 v11, null, 0, v11, vcc_lo
	s_delay_alu instid0(VALU_DEP_2) | instskip(SKIP_1) | instid1(VALU_DEP_3)
	v_mul_lo_u32 v13, s45, v9
	v_mad_co_u64_u32 v[17:18], null, s44, v9, 0
	v_mul_lo_u32 v15, s44, v11
	s_delay_alu instid0(VALU_DEP_2) | instskip(NEXT) | instid1(VALU_DEP_2)
	v_sub_co_u32 v5, vcc_lo, v5, v17
	v_add3_u32 v13, v18, v15, v13
	v_add_co_u32 v17, s2, v9, 2
	s_wait_alu 0xf1ff
	v_add_co_ci_u32_e64 v18, null, 0, v11, s2
	s_delay_alu instid0(VALU_DEP_3) | instskip(SKIP_3) | instid1(VALU_DEP_3)
	v_sub_nc_u32_e32 v15, v7, v13
	v_sub_co_u32 v19, s2, v5, s44
	s_wait_alu 0xfffd
	v_sub_co_ci_u32_e64 v7, null, v7, v13, vcc_lo
	v_subrev_co_ci_u32_e64 v15, null, s45, v15, vcc_lo
	s_delay_alu instid0(VALU_DEP_3) | instskip(SKIP_1) | instid1(VALU_DEP_2)
	v_cmp_le_u32_e32 vcc_lo, s44, v19
	s_wait_alu 0xf1ff
	v_subrev_co_ci_u32_e64 v15, null, 0, v15, s2
	s_wait_alu 0xfffd
	v_cndmask_b32_e64 v13, 0, -1, vcc_lo
	s_delay_alu instid0(VALU_DEP_2)
	v_cmp_le_u32_e32 vcc_lo, s45, v15
	s_wait_alu 0xfffd
	v_cndmask_b32_e64 v19, 0, -1, vcc_lo
	v_cmp_le_u32_e32 vcc_lo, s44, v5
	s_wait_alu 0xfffd
	v_cndmask_b32_e64 v5, 0, -1, vcc_lo
	;; [unrolled: 3-line block ×3, first 2 shown]
	v_cmp_eq_u32_e32 vcc_lo, s45, v15
	s_wait_alu 0xfffd
	v_cndmask_b32_e32 v13, v19, v13, vcc_lo
	v_add_co_u32 v15, vcc_lo, v9, 1
	s_wait_alu 0xfffd
	v_add_co_ci_u32_e64 v19, null, 0, v11, vcc_lo
	v_cmp_eq_u32_e32 vcc_lo, s45, v7
	s_wait_alu 0xfffd
	v_cndmask_b32_e32 v5, v20, v5, vcc_lo
	v_cmp_ne_u32_e32 vcc_lo, 0, v13
	s_delay_alu instid0(VALU_DEP_2) | instskip(SKIP_4) | instid1(VALU_DEP_2)
	v_cmp_ne_u32_e64 s2, 0, v5
	s_wait_alu 0xfffd
	v_cndmask_b32_e32 v5, v15, v17, vcc_lo
	v_cndmask_b32_e32 v7, v19, v18, vcc_lo
	s_wait_alu 0xf1ff
	v_cndmask_b32_e64 v5, v9, v5, s2
	s_delay_alu instid0(VALU_DEP_2) | instskip(NEXT) | instid1(VALU_DEP_2)
	v_cndmask_b32_e64 v7, v11, v7, s2
	v_xor_b32_e32 v5, v5, v3
	s_delay_alu instid0(VALU_DEP_2) | instskip(NEXT) | instid1(VALU_DEP_2)
	v_xor_b32_e32 v7, v7, v3
	v_sub_co_u32 v18, vcc_lo, v5, v3
	s_wait_alu 0xfffd
	s_delay_alu instid0(VALU_DEP_2)
	v_sub_co_ci_u32_e64 v19, null, v7, v3, vcc_lo
.LBB28_40:                              ;   in Loop: Header=BB28_22 Depth=2
	s_wait_alu 0xfffe
	s_and_not1_saveexec_b32 s2, s27
	s_cbranch_execz .LBB28_42
; %bb.41:                               ;   in Loop: Header=BB28_22 Depth=2
	v_cvt_f32_u32_e32 v3, s38
	s_sub_co_i32 s18, 0, s38
	v_mov_b32_e32 v19, v2
	s_delay_alu instid0(VALU_DEP_2) | instskip(NEXT) | instid1(TRANS32_DEP_1)
	v_rcp_iflag_f32_e32 v3, v3
	v_mul_f32_e32 v3, 0x4f7ffffe, v3
	s_delay_alu instid0(VALU_DEP_1) | instskip(SKIP_1) | instid1(VALU_DEP_1)
	v_cvt_u32_f32_e32 v3, v3
	s_wait_alu 0xfffe
	v_mul_lo_u32 v5, s18, v3
	s_delay_alu instid0(VALU_DEP_1) | instskip(NEXT) | instid1(VALU_DEP_1)
	v_mul_hi_u32 v5, v3, v5
	v_add_nc_u32_e32 v3, v3, v5
	s_delay_alu instid0(VALU_DEP_1) | instskip(NEXT) | instid1(VALU_DEP_1)
	v_mul_hi_u32 v3, v16, v3
	v_mul_lo_u32 v5, v3, s38
	v_add_nc_u32_e32 v7, 1, v3
	s_delay_alu instid0(VALU_DEP_2) | instskip(NEXT) | instid1(VALU_DEP_1)
	v_sub_nc_u32_e32 v5, v16, v5
	v_cmp_le_u32_e32 vcc_lo, s38, v5
	v_subrev_nc_u32_e32 v9, s38, v5
	s_wait_alu 0xfffd
	v_cndmask_b32_e32 v3, v3, v7, vcc_lo
	s_delay_alu instid0(VALU_DEP_1) | instskip(NEXT) | instid1(VALU_DEP_3)
	v_add_nc_u32_e32 v7, 1, v3
	v_cndmask_b32_e32 v5, v5, v9, vcc_lo
	s_delay_alu instid0(VALU_DEP_1) | instskip(SKIP_1) | instid1(VALU_DEP_3)
	v_cmp_le_u32_e32 vcc_lo, s38, v5
	s_wait_alu 0xfffd
	v_cndmask_b32_e32 v18, v3, v7, vcc_lo
.LBB28_42:                              ;   in Loop: Header=BB28_22 Depth=2
	s_wait_alu 0xfffe
	s_or_b32 exec_lo, exec_lo, s2
	s_add_co_i32 s18, s26, 2
	s_add_nc_u64 s[42:43], s[0:1], s[42:43]
	s_wait_alu 0xfffe
	s_lshl_b64 s[44:45], s[18:19], 2
                                        ; implicit-def: $vgpr20_vgpr21
	s_mov_b32 s2, exec_lo
	s_wait_alu 0xfffe
	s_add_nc_u64 s[40:41], s[10:11], s[44:45]
	s_clause 0x1
	s_load_b32 s37, s[42:43], 0x6c
	s_load_b32 s40, s[40:41], 0x8
	s_wait_kmcnt 0x0
	s_ashr_i32 s41, s40, 31
	s_wait_alu 0xfffe
	v_or_b32_e32 v3, s41, v19
	s_delay_alu instid0(VALU_DEP_1)
	v_cmpx_ne_u64_e32 0, v[2:3]
	s_xor_b32 s27, exec_lo, s2
	s_cbranch_execz .LBB28_44
; %bb.43:                               ;   in Loop: Header=BB28_22 Depth=2
	s_ashr_i32 s42, s41, 31
	v_ashrrev_i32_e32 v3, 31, v19
	s_wait_alu 0xfffe
	s_mov_b32 s43, s42
	s_wait_alu 0xfffe
	s_add_nc_u64 s[46:47], s[40:41], s[42:43]
	v_add_co_u32 v5, vcc_lo, v18, v3
	s_wait_alu 0xfffe
	s_xor_b64 s[46:47], s[46:47], s[42:43]
	s_wait_alu 0xfffd
	v_add_co_ci_u32_e64 v7, null, v19, v3, vcc_lo
	s_wait_alu 0xfffe
	s_cvt_f32_u32 s2, s46
	s_cvt_f32_u32 s18, s47
	s_sub_nc_u64 s[50:51], 0, s[46:47]
	v_xor_b32_e32 v5, v5, v3
	v_xor_b32_e32 v7, v7, v3
	s_wait_alu 0xfffe
	s_fmamk_f32 s2, s18, 0x4f800000, s2
	v_xor_b32_e32 v3, s42, v3
	s_wait_alu 0xfffe
	s_delay_alu instid0(SALU_CYCLE_1) | instskip(NEXT) | instid1(TRANS32_DEP_1)
	v_s_rcp_f32 s2, s2
	s_mul_f32 s2, s2, 0x5f7ffffc
	s_wait_alu 0xfffe
	s_delay_alu instid0(SALU_CYCLE_2) | instskip(SKIP_1) | instid1(SALU_CYCLE_2)
	s_mul_f32 s18, s2, 0x2f800000
	s_wait_alu 0xfffe
	s_trunc_f32 s18, s18
	s_wait_alu 0xfffe
	s_delay_alu instid0(SALU_CYCLE_2) | instskip(SKIP_2) | instid1(SALU_CYCLE_1)
	s_fmamk_f32 s2, s18, 0xcf800000, s2
	s_cvt_u32_f32 s49, s18
	s_wait_alu 0xfffe
	s_cvt_u32_f32 s48, s2
	s_wait_alu 0xfffe
	s_delay_alu instid0(SALU_CYCLE_2) | instskip(NEXT) | instid1(SALU_CYCLE_1)
	s_mul_u64 s[58:59], s[50:51], s[48:49]
	s_mul_hi_u32 s61, s48, s59
	s_mul_i32 s60, s48, s59
	s_mul_hi_u32 s18, s48, s58
	s_mul_i32 s39, s49, s58
	s_wait_alu 0xfffe
	s_add_nc_u64 s[60:61], s[18:19], s[60:61]
	s_mul_hi_u32 s2, s49, s58
	s_mul_hi_u32 s41, s49, s59
	s_add_co_u32 s18, s60, s39
	s_wait_alu 0xfffe
	s_add_co_ci_u32 s18, s61, s2
	s_mul_i32 s58, s49, s59
	s_add_co_ci_u32 s59, s41, 0
	s_wait_alu 0xfffe
	s_add_nc_u64 s[58:59], s[18:19], s[58:59]
	s_delay_alu instid0(SALU_CYCLE_1)
	s_add_co_u32 s48, s48, s58
	s_cselect_b32 s2, -1, 0
	s_wait_alu 0xfffe
	s_cmp_lg_u32 s2, 0
	s_add_co_ci_u32 s49, s49, s59
	s_wait_alu 0xfffe
	s_mul_u64 s[50:51], s[50:51], s[48:49]
	s_wait_alu 0xfffe
	s_mul_hi_u32 s59, s48, s51
	s_mul_i32 s58, s48, s51
	s_mul_hi_u32 s18, s48, s50
	s_mul_i32 s39, s49, s50
	s_wait_alu 0xfffe
	s_add_nc_u64 s[58:59], s[18:19], s[58:59]
	s_mul_hi_u32 s2, s49, s50
	s_mul_hi_u32 s41, s49, s51
	s_add_co_u32 s18, s58, s39
	s_wait_alu 0xfffe
	s_add_co_ci_u32 s18, s59, s2
	s_mul_i32 s50, s49, s51
	s_add_co_ci_u32 s51, s41, 0
	s_wait_alu 0xfffe
	s_add_nc_u64 s[50:51], s[18:19], s[50:51]
	s_wait_alu 0xfffe
	s_add_co_u32 s2, s48, s50
	s_cselect_b32 s18, -1, 0
	s_wait_alu 0xfffe
	v_mul_hi_u32 v9, v5, s2
	s_cmp_lg_u32 s18, 0
	v_mad_co_u64_u32 v[21:22], null, v7, s2, 0
	s_add_co_ci_u32 s18, s49, s51
	s_wait_alu 0xfffe
	v_mad_co_u64_u32 v[19:20], null, v5, s18, 0
	v_mad_co_u64_u32 v[23:24], null, v7, s18, 0
	s_delay_alu instid0(VALU_DEP_2) | instskip(SKIP_1) | instid1(VALU_DEP_3)
	v_add_co_u32 v9, vcc_lo, v9, v19
	s_wait_alu 0xfffd
	v_add_co_ci_u32_e64 v11, null, 0, v20, vcc_lo
	s_delay_alu instid0(VALU_DEP_2) | instskip(SKIP_1) | instid1(VALU_DEP_2)
	v_add_co_u32 v9, vcc_lo, v9, v21
	s_wait_alu 0xfffd
	v_add_co_ci_u32_e32 v9, vcc_lo, v11, v22, vcc_lo
	s_wait_alu 0xfffd
	v_add_co_ci_u32_e32 v11, vcc_lo, 0, v24, vcc_lo
	s_delay_alu instid0(VALU_DEP_2) | instskip(SKIP_1) | instid1(VALU_DEP_2)
	v_add_co_u32 v9, vcc_lo, v9, v23
	s_wait_alu 0xfffd
	v_add_co_ci_u32_e64 v11, null, 0, v11, vcc_lo
	s_delay_alu instid0(VALU_DEP_2) | instskip(SKIP_1) | instid1(VALU_DEP_3)
	v_mul_lo_u32 v13, s47, v9
	v_mad_co_u64_u32 v[19:20], null, s46, v9, 0
	v_mul_lo_u32 v15, s46, v11
	v_add_co_u32 v17, s2, v9, 2
	s_delay_alu instid0(VALU_DEP_3) | instskip(NEXT) | instid1(VALU_DEP_3)
	v_sub_co_u32 v5, vcc_lo, v5, v19
	v_add3_u32 v13, v20, v15, v13
	s_wait_alu 0xf1ff
	v_add_co_ci_u32_e64 v19, null, 0, v11, s2
	s_delay_alu instid0(VALU_DEP_3) | instskip(NEXT) | instid1(VALU_DEP_3)
	v_sub_co_u32 v20, s2, v5, s46
	v_sub_nc_u32_e32 v15, v7, v13
	s_wait_alu 0xfffd
	v_sub_co_ci_u32_e64 v7, null, v7, v13, vcc_lo
	s_delay_alu instid0(VALU_DEP_2) | instskip(SKIP_2) | instid1(VALU_DEP_2)
	v_subrev_co_ci_u32_e64 v15, null, s47, v15, vcc_lo
	v_cmp_le_u32_e32 vcc_lo, s46, v20
	s_wait_alu 0xf1ff
	v_subrev_co_ci_u32_e64 v15, null, 0, v15, s2
	s_wait_alu 0xfffd
	v_cndmask_b32_e64 v13, 0, -1, vcc_lo
	s_delay_alu instid0(VALU_DEP_2)
	v_cmp_le_u32_e32 vcc_lo, s47, v15
	s_wait_alu 0xfffd
	v_cndmask_b32_e64 v20, 0, -1, vcc_lo
	v_cmp_le_u32_e32 vcc_lo, s46, v5
	s_wait_alu 0xfffd
	v_cndmask_b32_e64 v5, 0, -1, vcc_lo
	;; [unrolled: 3-line block ×3, first 2 shown]
	v_cmp_eq_u32_e32 vcc_lo, s47, v15
	s_wait_alu 0xfffd
	v_cndmask_b32_e32 v13, v20, v13, vcc_lo
	v_add_co_u32 v15, vcc_lo, v9, 1
	s_wait_alu 0xfffd
	v_add_co_ci_u32_e64 v20, null, 0, v11, vcc_lo
	v_cmp_eq_u32_e32 vcc_lo, s47, v7
	s_wait_alu 0xfffd
	v_cndmask_b32_e32 v5, v21, v5, vcc_lo
	v_cmp_ne_u32_e32 vcc_lo, 0, v13
	s_delay_alu instid0(VALU_DEP_2) | instskip(SKIP_4) | instid1(VALU_DEP_2)
	v_cmp_ne_u32_e64 s2, 0, v5
	s_wait_alu 0xfffd
	v_cndmask_b32_e32 v5, v15, v17, vcc_lo
	v_cndmask_b32_e32 v7, v20, v19, vcc_lo
	s_wait_alu 0xf1ff
	v_cndmask_b32_e64 v5, v9, v5, s2
	s_delay_alu instid0(VALU_DEP_2) | instskip(NEXT) | instid1(VALU_DEP_2)
	v_cndmask_b32_e64 v7, v11, v7, s2
	v_xor_b32_e32 v5, v5, v3
	s_delay_alu instid0(VALU_DEP_2) | instskip(NEXT) | instid1(VALU_DEP_2)
	v_xor_b32_e32 v7, v7, v3
	v_sub_co_u32 v20, vcc_lo, v5, v3
	s_wait_alu 0xfffd
	s_delay_alu instid0(VALU_DEP_2)
	v_sub_co_ci_u32_e64 v21, null, v7, v3, vcc_lo
.LBB28_44:                              ;   in Loop: Header=BB28_22 Depth=2
	s_wait_alu 0xfffe
	s_and_not1_saveexec_b32 s2, s27
	s_cbranch_execz .LBB28_46
; %bb.45:                               ;   in Loop: Header=BB28_22 Depth=2
	v_cvt_f32_u32_e32 v3, s40
	s_sub_co_i32 s18, 0, s40
	v_mov_b32_e32 v21, v2
	s_delay_alu instid0(VALU_DEP_2) | instskip(NEXT) | instid1(TRANS32_DEP_1)
	v_rcp_iflag_f32_e32 v3, v3
	v_mul_f32_e32 v3, 0x4f7ffffe, v3
	s_delay_alu instid0(VALU_DEP_1) | instskip(SKIP_1) | instid1(VALU_DEP_1)
	v_cvt_u32_f32_e32 v3, v3
	s_wait_alu 0xfffe
	v_mul_lo_u32 v5, s18, v3
	s_delay_alu instid0(VALU_DEP_1) | instskip(NEXT) | instid1(VALU_DEP_1)
	v_mul_hi_u32 v5, v3, v5
	v_add_nc_u32_e32 v3, v3, v5
	s_delay_alu instid0(VALU_DEP_1) | instskip(NEXT) | instid1(VALU_DEP_1)
	v_mul_hi_u32 v3, v18, v3
	v_mul_lo_u32 v5, v3, s40
	v_add_nc_u32_e32 v7, 1, v3
	s_delay_alu instid0(VALU_DEP_2) | instskip(NEXT) | instid1(VALU_DEP_1)
	v_sub_nc_u32_e32 v5, v18, v5
	v_cmp_le_u32_e32 vcc_lo, s40, v5
	v_subrev_nc_u32_e32 v9, s40, v5
	s_wait_alu 0xfffd
	v_cndmask_b32_e32 v3, v3, v7, vcc_lo
	s_delay_alu instid0(VALU_DEP_1) | instskip(NEXT) | instid1(VALU_DEP_3)
	v_add_nc_u32_e32 v7, 1, v3
	v_cndmask_b32_e32 v5, v5, v9, vcc_lo
	s_delay_alu instid0(VALU_DEP_1) | instskip(SKIP_1) | instid1(VALU_DEP_3)
	v_cmp_le_u32_e32 vcc_lo, s40, v5
	s_wait_alu 0xfffd
	v_cndmask_b32_e32 v20, v3, v7, vcc_lo
.LBB28_46:                              ;   in Loop: Header=BB28_22 Depth=2
	s_wait_alu 0xfffe
	s_or_b32 exec_lo, exec_lo, s2
	s_add_co_i32 s18, s26, 1
	s_add_nc_u64 s[44:45], s[0:1], s[44:45]
	s_wait_alu 0xfffe
	s_lshl_b64 s[48:49], s[18:19], 2
                                        ; implicit-def: $vgpr22_vgpr23
	s_mov_b32 s2, exec_lo
	s_wait_alu 0xfffe
	s_add_nc_u64 s[42:43], s[10:11], s[48:49]
	s_clause 0x1
	s_load_b32 s39, s[44:45], 0x6c
	s_load_b32 s42, s[42:43], 0x8
	s_wait_kmcnt 0x0
	s_ashr_i32 s43, s42, 31
	s_wait_alu 0xfffe
	v_or_b32_e32 v3, s43, v21
	s_delay_alu instid0(VALU_DEP_1)
	v_cmpx_ne_u64_e32 0, v[2:3]
	s_xor_b32 s27, exec_lo, s2
	s_cbranch_execz .LBB28_48
; %bb.47:                               ;   in Loop: Header=BB28_22 Depth=2
	s_ashr_i32 s44, s43, 31
	v_ashrrev_i32_e32 v3, 31, v21
	s_wait_alu 0xfffe
	s_mov_b32 s45, s44
	s_wait_alu 0xfffe
	s_add_nc_u64 s[46:47], s[42:43], s[44:45]
	v_add_co_u32 v5, vcc_lo, v20, v3
	s_wait_alu 0xfffe
	s_xor_b64 s[46:47], s[46:47], s[44:45]
	s_wait_alu 0xfffd
	v_add_co_ci_u32_e64 v7, null, v21, v3, vcc_lo
	s_wait_alu 0xfffe
	s_cvt_f32_u32 s2, s46
	s_cvt_f32_u32 s18, s47
	s_sub_nc_u64 s[58:59], 0, s[46:47]
	v_xor_b32_e32 v5, v5, v3
	v_xor_b32_e32 v7, v7, v3
	s_wait_alu 0xfffe
	s_fmamk_f32 s2, s18, 0x4f800000, s2
	v_xor_b32_e32 v3, s44, v3
	s_wait_alu 0xfffe
	s_delay_alu instid0(SALU_CYCLE_1) | instskip(NEXT) | instid1(TRANS32_DEP_1)
	v_s_rcp_f32 s2, s2
	s_mul_f32 s2, s2, 0x5f7ffffc
	s_wait_alu 0xfffe
	s_delay_alu instid0(SALU_CYCLE_2) | instskip(SKIP_1) | instid1(SALU_CYCLE_2)
	s_mul_f32 s18, s2, 0x2f800000
	s_wait_alu 0xfffe
	s_trunc_f32 s18, s18
	s_wait_alu 0xfffe
	s_delay_alu instid0(SALU_CYCLE_2) | instskip(SKIP_2) | instid1(SALU_CYCLE_1)
	s_fmamk_f32 s2, s18, 0xcf800000, s2
	s_cvt_u32_f32 s51, s18
	s_wait_alu 0xfffe
	s_cvt_u32_f32 s50, s2
	s_wait_alu 0xfffe
	s_delay_alu instid0(SALU_CYCLE_2) | instskip(NEXT) | instid1(SALU_CYCLE_1)
	s_mul_u64 s[60:61], s[58:59], s[50:51]
	s_mul_hi_u32 s63, s50, s61
	s_mul_i32 s62, s50, s61
	s_mul_hi_u32 s18, s50, s60
	s_mul_i32 s41, s51, s60
	s_wait_alu 0xfffe
	s_add_nc_u64 s[62:63], s[18:19], s[62:63]
	s_mul_hi_u32 s2, s51, s60
	s_mul_hi_u32 s43, s51, s61
	s_add_co_u32 s18, s62, s41
	s_wait_alu 0xfffe
	s_add_co_ci_u32 s18, s63, s2
	s_mul_i32 s60, s51, s61
	s_add_co_ci_u32 s61, s43, 0
	s_wait_alu 0xfffe
	s_add_nc_u64 s[60:61], s[18:19], s[60:61]
	s_delay_alu instid0(SALU_CYCLE_1)
	s_add_co_u32 s50, s50, s60
	s_cselect_b32 s2, -1, 0
	s_wait_alu 0xfffe
	s_cmp_lg_u32 s2, 0
	s_add_co_ci_u32 s51, s51, s61
	s_wait_alu 0xfffe
	s_mul_u64 s[58:59], s[58:59], s[50:51]
	s_delay_alu instid0(SALU_CYCLE_1)
	s_mul_hi_u32 s61, s50, s59
	s_mul_i32 s60, s50, s59
	s_mul_hi_u32 s18, s50, s58
	s_mul_i32 s41, s51, s58
	s_wait_alu 0xfffe
	s_add_nc_u64 s[60:61], s[18:19], s[60:61]
	s_mul_hi_u32 s2, s51, s58
	s_mul_hi_u32 s43, s51, s59
	s_add_co_u32 s18, s60, s41
	s_wait_alu 0xfffe
	s_add_co_ci_u32 s18, s61, s2
	s_mul_i32 s58, s51, s59
	s_add_co_ci_u32 s59, s43, 0
	s_wait_alu 0xfffe
	s_add_nc_u64 s[58:59], s[18:19], s[58:59]
	s_delay_alu instid0(SALU_CYCLE_1)
	s_add_co_u32 s2, s50, s58
	s_cselect_b32 s18, -1, 0
	s_wait_alu 0xfffe
	v_mul_hi_u32 v9, v5, s2
	s_cmp_lg_u32 s18, 0
	v_mad_co_u64_u32 v[23:24], null, v7, s2, 0
	s_add_co_ci_u32 s18, s51, s59
	s_wait_alu 0xfffe
	v_mad_co_u64_u32 v[21:22], null, v5, s18, 0
	v_mad_co_u64_u32 v[29:30], null, v7, s18, 0
	s_delay_alu instid0(VALU_DEP_2) | instskip(SKIP_1) | instid1(VALU_DEP_3)
	v_add_co_u32 v9, vcc_lo, v9, v21
	s_wait_alu 0xfffd
	v_add_co_ci_u32_e64 v11, null, 0, v22, vcc_lo
	s_delay_alu instid0(VALU_DEP_2) | instskip(SKIP_1) | instid1(VALU_DEP_2)
	v_add_co_u32 v9, vcc_lo, v9, v23
	s_wait_alu 0xfffd
	v_add_co_ci_u32_e32 v9, vcc_lo, v11, v24, vcc_lo
	s_wait_alu 0xfffd
	v_add_co_ci_u32_e32 v11, vcc_lo, 0, v30, vcc_lo
	s_delay_alu instid0(VALU_DEP_2) | instskip(SKIP_1) | instid1(VALU_DEP_2)
	v_add_co_u32 v9, vcc_lo, v9, v29
	s_wait_alu 0xfffd
	v_add_co_ci_u32_e64 v11, null, 0, v11, vcc_lo
	s_delay_alu instid0(VALU_DEP_2) | instskip(SKIP_1) | instid1(VALU_DEP_3)
	v_mul_lo_u32 v13, s47, v9
	v_mad_co_u64_u32 v[21:22], null, s46, v9, 0
	v_mul_lo_u32 v15, s46, v11
	v_add_co_u32 v17, s2, v9, 2
	s_wait_alu 0xf1ff
	v_add_co_ci_u32_e64 v19, null, 0, v11, s2
	s_delay_alu instid0(VALU_DEP_4) | instskip(NEXT) | instid1(VALU_DEP_4)
	v_sub_co_u32 v5, vcc_lo, v5, v21
	v_add3_u32 v13, v22, v15, v13
	s_delay_alu instid0(VALU_DEP_2) | instskip(NEXT) | instid1(VALU_DEP_2)
	v_sub_co_u32 v21, s2, v5, s46
	v_sub_nc_u32_e32 v15, v7, v13
	s_wait_alu 0xfffd
	v_sub_co_ci_u32_e64 v7, null, v7, v13, vcc_lo
	s_delay_alu instid0(VALU_DEP_2) | instskip(SKIP_2) | instid1(VALU_DEP_2)
	v_subrev_co_ci_u32_e64 v15, null, s47, v15, vcc_lo
	v_cmp_le_u32_e32 vcc_lo, s46, v21
	s_wait_alu 0xf1ff
	v_subrev_co_ci_u32_e64 v15, null, 0, v15, s2
	s_wait_alu 0xfffd
	v_cndmask_b32_e64 v13, 0, -1, vcc_lo
	s_delay_alu instid0(VALU_DEP_2)
	v_cmp_le_u32_e32 vcc_lo, s47, v15
	s_wait_alu 0xfffd
	v_cndmask_b32_e64 v21, 0, -1, vcc_lo
	v_cmp_le_u32_e32 vcc_lo, s46, v5
	s_wait_alu 0xfffd
	v_cndmask_b32_e64 v5, 0, -1, vcc_lo
	;; [unrolled: 3-line block ×3, first 2 shown]
	v_cmp_eq_u32_e32 vcc_lo, s47, v15
	s_wait_alu 0xfffd
	v_cndmask_b32_e32 v13, v21, v13, vcc_lo
	v_add_co_u32 v15, vcc_lo, v9, 1
	s_wait_alu 0xfffd
	v_add_co_ci_u32_e64 v21, null, 0, v11, vcc_lo
	v_cmp_eq_u32_e32 vcc_lo, s47, v7
	s_wait_alu 0xfffd
	v_cndmask_b32_e32 v5, v22, v5, vcc_lo
	v_cmp_ne_u32_e32 vcc_lo, 0, v13
	s_delay_alu instid0(VALU_DEP_2) | instskip(SKIP_4) | instid1(VALU_DEP_2)
	v_cmp_ne_u32_e64 s2, 0, v5
	s_wait_alu 0xfffd
	v_cndmask_b32_e32 v5, v15, v17, vcc_lo
	v_cndmask_b32_e32 v7, v21, v19, vcc_lo
	s_wait_alu 0xf1ff
	v_cndmask_b32_e64 v5, v9, v5, s2
	s_delay_alu instid0(VALU_DEP_2) | instskip(NEXT) | instid1(VALU_DEP_2)
	v_cndmask_b32_e64 v7, v11, v7, s2
	v_xor_b32_e32 v5, v5, v3
	s_delay_alu instid0(VALU_DEP_2) | instskip(NEXT) | instid1(VALU_DEP_2)
	v_xor_b32_e32 v7, v7, v3
	v_sub_co_u32 v22, vcc_lo, v5, v3
	s_wait_alu 0xfffd
	s_delay_alu instid0(VALU_DEP_2)
	v_sub_co_ci_u32_e64 v23, null, v7, v3, vcc_lo
.LBB28_48:                              ;   in Loop: Header=BB28_22 Depth=2
	s_wait_alu 0xfffe
	s_and_not1_saveexec_b32 s2, s27
	s_cbranch_execz .LBB28_50
; %bb.49:                               ;   in Loop: Header=BB28_22 Depth=2
	v_cvt_f32_u32_e32 v3, s42
	s_sub_co_i32 s18, 0, s42
	v_mov_b32_e32 v23, v2
	s_delay_alu instid0(VALU_DEP_2) | instskip(NEXT) | instid1(TRANS32_DEP_1)
	v_rcp_iflag_f32_e32 v3, v3
	v_mul_f32_e32 v3, 0x4f7ffffe, v3
	s_delay_alu instid0(VALU_DEP_1) | instskip(SKIP_1) | instid1(VALU_DEP_1)
	v_cvt_u32_f32_e32 v3, v3
	s_wait_alu 0xfffe
	v_mul_lo_u32 v5, s18, v3
	s_delay_alu instid0(VALU_DEP_1) | instskip(NEXT) | instid1(VALU_DEP_1)
	v_mul_hi_u32 v5, v3, v5
	v_add_nc_u32_e32 v3, v3, v5
	s_delay_alu instid0(VALU_DEP_1) | instskip(NEXT) | instid1(VALU_DEP_1)
	v_mul_hi_u32 v3, v20, v3
	v_mul_lo_u32 v5, v3, s42
	v_add_nc_u32_e32 v7, 1, v3
	s_delay_alu instid0(VALU_DEP_2) | instskip(NEXT) | instid1(VALU_DEP_1)
	v_sub_nc_u32_e32 v5, v20, v5
	v_cmp_le_u32_e32 vcc_lo, s42, v5
	v_subrev_nc_u32_e32 v9, s42, v5
	s_wait_alu 0xfffd
	v_cndmask_b32_e32 v3, v3, v7, vcc_lo
	s_delay_alu instid0(VALU_DEP_1) | instskip(NEXT) | instid1(VALU_DEP_3)
	v_add_nc_u32_e32 v7, 1, v3
	v_cndmask_b32_e32 v5, v5, v9, vcc_lo
	s_delay_alu instid0(VALU_DEP_1) | instskip(SKIP_1) | instid1(VALU_DEP_3)
	v_cmp_le_u32_e32 vcc_lo, s42, v5
	s_wait_alu 0xfffd
	v_cndmask_b32_e32 v22, v3, v7, vcc_lo
.LBB28_50:                              ;   in Loop: Header=BB28_22 Depth=2
	s_wait_alu 0xfffe
	s_or_b32 exec_lo, exec_lo, s2
	s_mov_b32 s27, s19
	s_add_nc_u64 s[48:49], s[0:1], s[48:49]
	s_wait_alu 0xfffe
	s_lshl_b64 s[46:47], s[26:27], 2
                                        ; implicit-def: $vgpr24_vgpr25
	s_mov_b32 s2, exec_lo
	s_wait_alu 0xfffe
	s_add_nc_u64 s[44:45], s[10:11], s[46:47]
	s_clause 0x1
	s_load_b32 s27, s[48:49], 0x6c
	s_load_b32 s44, s[44:45], 0x8
	s_wait_kmcnt 0x0
	s_ashr_i32 s45, s44, 31
	s_wait_alu 0xfffe
	v_or_b32_e32 v3, s45, v23
	s_delay_alu instid0(VALU_DEP_1)
	v_cmpx_ne_u64_e32 0, v[2:3]
	s_xor_b32 s41, exec_lo, s2
	s_cbranch_execz .LBB28_52
; %bb.51:                               ;   in Loop: Header=BB28_22 Depth=2
	s_ashr_i32 s48, s45, 31
	v_ashrrev_i32_e32 v3, 31, v23
	s_wait_alu 0xfffe
	s_mov_b32 s49, s48
	s_wait_alu 0xfffe
	s_add_nc_u64 s[50:51], s[44:45], s[48:49]
	v_add_co_u32 v5, vcc_lo, v22, v3
	s_wait_alu 0xfffe
	s_xor_b64 s[50:51], s[50:51], s[48:49]
	s_wait_alu 0xfffd
	v_add_co_ci_u32_e64 v7, null, v23, v3, vcc_lo
	s_wait_alu 0xfffe
	s_cvt_f32_u32 s2, s50
	s_cvt_f32_u32 s18, s51
	s_sub_nc_u64 s[60:61], 0, s[50:51]
	v_xor_b32_e32 v5, v5, v3
	v_xor_b32_e32 v7, v7, v3
	s_wait_alu 0xfffe
	s_fmamk_f32 s2, s18, 0x4f800000, s2
	v_xor_b32_e32 v3, s48, v3
	s_wait_alu 0xfffe
	s_delay_alu instid0(SALU_CYCLE_1) | instskip(NEXT) | instid1(TRANS32_DEP_1)
	v_s_rcp_f32 s2, s2
	s_mul_f32 s2, s2, 0x5f7ffffc
	s_wait_alu 0xfffe
	s_delay_alu instid0(SALU_CYCLE_2) | instskip(SKIP_1) | instid1(SALU_CYCLE_2)
	s_mul_f32 s18, s2, 0x2f800000
	s_wait_alu 0xfffe
	s_trunc_f32 s18, s18
	s_wait_alu 0xfffe
	s_delay_alu instid0(SALU_CYCLE_2) | instskip(SKIP_2) | instid1(SALU_CYCLE_1)
	s_fmamk_f32 s2, s18, 0xcf800000, s2
	s_cvt_u32_f32 s59, s18
	s_wait_alu 0xfffe
	s_cvt_u32_f32 s58, s2
	s_delay_alu instid0(SALU_CYCLE_3) | instskip(NEXT) | instid1(SALU_CYCLE_1)
	s_mul_u64 s[62:63], s[60:61], s[58:59]
	s_mul_hi_u32 s65, s58, s63
	s_mul_i32 s64, s58, s63
	s_mul_hi_u32 s18, s58, s62
	s_mul_i32 s43, s59, s62
	s_wait_alu 0xfffe
	s_add_nc_u64 s[64:65], s[18:19], s[64:65]
	s_mul_hi_u32 s2, s59, s62
	s_mul_hi_u32 s45, s59, s63
	s_add_co_u32 s18, s64, s43
	s_wait_alu 0xfffe
	s_add_co_ci_u32 s18, s65, s2
	s_mul_i32 s62, s59, s63
	s_add_co_ci_u32 s63, s45, 0
	s_wait_alu 0xfffe
	s_add_nc_u64 s[62:63], s[18:19], s[62:63]
	s_delay_alu instid0(SALU_CYCLE_1) | instskip(SKIP_4) | instid1(SALU_CYCLE_1)
	s_add_co_u32 s58, s58, s62
	s_cselect_b32 s2, -1, 0
	s_wait_alu 0xfffe
	s_cmp_lg_u32 s2, 0
	s_add_co_ci_u32 s59, s59, s63
	s_mul_u64 s[60:61], s[60:61], s[58:59]
	s_delay_alu instid0(SALU_CYCLE_1)
	s_mul_hi_u32 s63, s58, s61
	s_mul_i32 s62, s58, s61
	s_mul_hi_u32 s18, s58, s60
	s_mul_i32 s43, s59, s60
	s_wait_alu 0xfffe
	s_add_nc_u64 s[62:63], s[18:19], s[62:63]
	s_mul_hi_u32 s2, s59, s60
	s_mul_hi_u32 s45, s59, s61
	s_add_co_u32 s18, s62, s43
	s_wait_alu 0xfffe
	s_add_co_ci_u32 s18, s63, s2
	s_mul_i32 s60, s59, s61
	s_add_co_ci_u32 s61, s45, 0
	s_wait_alu 0xfffe
	s_add_nc_u64 s[60:61], s[18:19], s[60:61]
	s_delay_alu instid0(SALU_CYCLE_1)
	s_add_co_u32 s2, s58, s60
	s_cselect_b32 s18, -1, 0
	s_wait_alu 0xfffe
	v_mul_hi_u32 v9, v5, s2
	s_cmp_lg_u32 s18, 0
	v_mad_co_u64_u32 v[29:30], null, v7, s2, 0
	s_add_co_ci_u32 s18, s59, s61
	s_wait_alu 0xfffe
	v_mad_co_u64_u32 v[23:24], null, v5, s18, 0
	v_mad_co_u64_u32 v[31:32], null, v7, s18, 0
	s_delay_alu instid0(VALU_DEP_2) | instskip(SKIP_1) | instid1(VALU_DEP_3)
	v_add_co_u32 v9, vcc_lo, v9, v23
	s_wait_alu 0xfffd
	v_add_co_ci_u32_e64 v11, null, 0, v24, vcc_lo
	s_delay_alu instid0(VALU_DEP_2) | instskip(SKIP_1) | instid1(VALU_DEP_2)
	v_add_co_u32 v9, vcc_lo, v9, v29
	s_wait_alu 0xfffd
	v_add_co_ci_u32_e32 v9, vcc_lo, v11, v30, vcc_lo
	s_wait_alu 0xfffd
	v_add_co_ci_u32_e32 v11, vcc_lo, 0, v32, vcc_lo
	s_delay_alu instid0(VALU_DEP_2) | instskip(SKIP_1) | instid1(VALU_DEP_2)
	v_add_co_u32 v9, vcc_lo, v9, v31
	s_wait_alu 0xfffd
	v_add_co_ci_u32_e64 v11, null, 0, v11, vcc_lo
	s_delay_alu instid0(VALU_DEP_2) | instskip(SKIP_1) | instid1(VALU_DEP_3)
	v_mul_lo_u32 v13, s51, v9
	v_mad_co_u64_u32 v[23:24], null, s50, v9, 0
	v_mul_lo_u32 v15, s50, v11
	v_add_co_u32 v17, s2, v9, 2
	s_wait_alu 0xf1ff
	v_add_co_ci_u32_e64 v19, null, 0, v11, s2
	s_delay_alu instid0(VALU_DEP_4) | instskip(NEXT) | instid1(VALU_DEP_4)
	v_sub_co_u32 v5, vcc_lo, v5, v23
	v_add3_u32 v13, v24, v15, v13
	s_delay_alu instid0(VALU_DEP_2) | instskip(NEXT) | instid1(VALU_DEP_2)
	v_sub_co_u32 v21, s2, v5, s50
	v_sub_nc_u32_e32 v15, v7, v13
	s_wait_alu 0xfffd
	v_sub_co_ci_u32_e64 v7, null, v7, v13, vcc_lo
	s_delay_alu instid0(VALU_DEP_2) | instskip(SKIP_2) | instid1(VALU_DEP_2)
	v_subrev_co_ci_u32_e64 v15, null, s51, v15, vcc_lo
	v_cmp_le_u32_e32 vcc_lo, s50, v21
	s_wait_alu 0xf1ff
	v_subrev_co_ci_u32_e64 v15, null, 0, v15, s2
	s_wait_alu 0xfffd
	v_cndmask_b32_e64 v13, 0, -1, vcc_lo
	s_delay_alu instid0(VALU_DEP_2)
	v_cmp_le_u32_e32 vcc_lo, s51, v15
	s_wait_alu 0xfffd
	v_cndmask_b32_e64 v21, 0, -1, vcc_lo
	v_cmp_le_u32_e32 vcc_lo, s50, v5
	s_wait_alu 0xfffd
	v_cndmask_b32_e64 v5, 0, -1, vcc_lo
	;; [unrolled: 3-line block ×3, first 2 shown]
	v_cmp_eq_u32_e32 vcc_lo, s51, v15
	s_wait_alu 0xfffd
	v_cndmask_b32_e32 v13, v21, v13, vcc_lo
	v_add_co_u32 v15, vcc_lo, v9, 1
	s_wait_alu 0xfffd
	v_add_co_ci_u32_e64 v21, null, 0, v11, vcc_lo
	v_cmp_eq_u32_e32 vcc_lo, s51, v7
	s_wait_alu 0xfffd
	v_cndmask_b32_e32 v5, v23, v5, vcc_lo
	v_cmp_ne_u32_e32 vcc_lo, 0, v13
	s_delay_alu instid0(VALU_DEP_2) | instskip(SKIP_4) | instid1(VALU_DEP_2)
	v_cmp_ne_u32_e64 s2, 0, v5
	s_wait_alu 0xfffd
	v_cndmask_b32_e32 v5, v15, v17, vcc_lo
	v_cndmask_b32_e32 v7, v21, v19, vcc_lo
	s_wait_alu 0xf1ff
	v_cndmask_b32_e64 v5, v9, v5, s2
	s_delay_alu instid0(VALU_DEP_2) | instskip(NEXT) | instid1(VALU_DEP_2)
	v_cndmask_b32_e64 v7, v11, v7, s2
	v_xor_b32_e32 v5, v5, v3
	s_delay_alu instid0(VALU_DEP_2) | instskip(NEXT) | instid1(VALU_DEP_2)
	v_xor_b32_e32 v7, v7, v3
	v_sub_co_u32 v24, vcc_lo, v5, v3
	s_wait_alu 0xfffd
	s_delay_alu instid0(VALU_DEP_2)
	v_sub_co_ci_u32_e64 v25, null, v7, v3, vcc_lo
.LBB28_52:                              ;   in Loop: Header=BB28_22 Depth=2
	s_wait_alu 0xfffe
	s_and_not1_saveexec_b32 s2, s41
	s_cbranch_execz .LBB28_54
; %bb.53:                               ;   in Loop: Header=BB28_22 Depth=2
	v_cvt_f32_u32_e32 v3, s44
	s_sub_co_i32 s18, 0, s44
	v_mov_b32_e32 v25, v2
	s_delay_alu instid0(VALU_DEP_2) | instskip(NEXT) | instid1(TRANS32_DEP_1)
	v_rcp_iflag_f32_e32 v3, v3
	v_mul_f32_e32 v3, 0x4f7ffffe, v3
	s_delay_alu instid0(VALU_DEP_1) | instskip(SKIP_1) | instid1(VALU_DEP_1)
	v_cvt_u32_f32_e32 v3, v3
	s_wait_alu 0xfffe
	v_mul_lo_u32 v5, s18, v3
	s_delay_alu instid0(VALU_DEP_1) | instskip(NEXT) | instid1(VALU_DEP_1)
	v_mul_hi_u32 v5, v3, v5
	v_add_nc_u32_e32 v3, v3, v5
	s_delay_alu instid0(VALU_DEP_1) | instskip(NEXT) | instid1(VALU_DEP_1)
	v_mul_hi_u32 v3, v22, v3
	v_mul_lo_u32 v5, v3, s44
	v_add_nc_u32_e32 v7, 1, v3
	s_delay_alu instid0(VALU_DEP_2) | instskip(NEXT) | instid1(VALU_DEP_1)
	v_sub_nc_u32_e32 v5, v22, v5
	v_cmp_le_u32_e32 vcc_lo, s44, v5
	v_subrev_nc_u32_e32 v9, s44, v5
	s_wait_alu 0xfffd
	v_cndmask_b32_e32 v3, v3, v7, vcc_lo
	s_delay_alu instid0(VALU_DEP_1) | instskip(NEXT) | instid1(VALU_DEP_3)
	v_add_nc_u32_e32 v7, 1, v3
	v_cndmask_b32_e32 v5, v5, v9, vcc_lo
	s_delay_alu instid0(VALU_DEP_1) | instskip(SKIP_1) | instid1(VALU_DEP_3)
	v_cmp_le_u32_e32 vcc_lo, s44, v5
	s_wait_alu 0xfffd
	v_cndmask_b32_e32 v24, v3, v7, vcc_lo
.LBB28_54:                              ;   in Loop: Header=BB28_22 Depth=2
	s_wait_alu 0xfffe
	s_or_b32 exec_lo, exec_lo, s2
	v_mul_lo_u32 v3, v10, s28
	v_mul_lo_u32 v5, v12, s30
	;; [unrolled: 1-line block ×5, first 2 shown]
	s_add_nc_u64 s[40:41], s[0:1], s[46:47]
	v_mul_lo_u32 v11, v18, s38
	s_load_b32 s2, s[40:41], 0x6c
	v_sub_nc_u32_e32 v3, v8, v3
	v_sub_nc_u32_e32 v5, v10, v5
	;; [unrolled: 1-line block ×4, first 2 shown]
	v_mul_lo_u32 v9, v22, s42
	v_mul_lo_u32 v3, s25, v3
	;; [unrolled: 1-line block ×4, first 2 shown]
	v_sub_nc_u32_e32 v11, v16, v11
	v_sub_nc_u32_e32 v12, v18, v13
	v_mul_lo_u32 v7, s31, v7
	v_mul_lo_u32 v8, s35, v8
	s_add_co_i32 s26, s26, -8
	v_mul_lo_u32 v11, s37, v11
	v_add3_u32 v3, v3, v6, v5
	v_sub_nc_u32_e32 v5, v20, v9
	v_sub_nc_u32_e32 v6, v22, v10
	v_mul_lo_u32 v9, s39, v12
	s_wait_alu 0xfffe
	s_cmp_eq_u32 s26, -8
	v_add3_u32 v3, v7, v3, v8
	v_mul_lo_u32 v5, s27, v5
	s_wait_kmcnt 0x0
	v_mul_lo_u32 v6, s2, v6
	s_delay_alu instid0(VALU_DEP_3) | instskip(NEXT) | instid1(VALU_DEP_1)
	v_add3_u32 v3, v11, v3, v9
	v_add3_u32 v6, v5, v3, v6
	s_cbranch_scc1 .LBB28_56
; %bb.55:                               ;   in Loop: Header=BB28_22 Depth=2
	v_dual_mov_b32 v8, v24 :: v_dual_mov_b32 v9, v25
	s_branch .LBB28_22
.LBB28_56:                              ;   in Loop: Header=BB28_3 Depth=1
	s_load_b32 s2, s[12:13], 0x4
	v_ashrrev_i32_e32 v5, 31, v4
	s_delay_alu instid0(VALU_DEP_1)
	v_cmp_lt_i64_e32 vcc_lo, s[4:5], v[4:5]
	s_wait_kmcnt 0x0
	v_cmp_gt_i32_e64 s2, s2, v28
	s_and_b32 s2, s2, vcc_lo
	s_wait_alu 0xfffe
	s_and_b32 exec_lo, exec_lo, s2
	s_cbranch_execz .LBB28_2
; %bb.57:                               ;   in Loop: Header=BB28_3 Depth=1
	v_ashrrev_i32_e32 v7, 31, v6
	v_dual_mov_b32 v3, v2 :: v_dual_mov_b32 v4, v2
	s_delay_alu instid0(VALU_DEP_2) | instskip(NEXT) | instid1(VALU_DEP_1)
	v_lshlrev_b64_e32 v[5:6], 4, v[6:7]
	v_add_co_u32 v7, vcc_lo, s16, v5
	s_wait_alu 0xfffd
	s_delay_alu instid0(VALU_DEP_2)
	v_add_co_ci_u32_e64 v8, null, s17, v6, vcc_lo
	v_mov_b32_e32 v5, v2
	global_store_b128 v[7:8], v[2:5], off
	s_branch .LBB28_2
.LBB28_58:
	s_endpgm
	.section	.rodata,"a",@progbits
	.p2align	6, 0x0
	.amdhsa_kernel _ZN2at6native16triu_tril_kernelIN3c107complexIdEEiLb0ELi1ELb1EEEvNS_4cuda6detail10TensorInfoIT_T0_EENS7_IKS8_S9_EEllS9_
		.amdhsa_group_segment_fixed_size 0
		.amdhsa_private_segment_fixed_size 0
		.amdhsa_kernarg_size 712
		.amdhsa_user_sgpr_count 2
		.amdhsa_user_sgpr_dispatch_ptr 0
		.amdhsa_user_sgpr_queue_ptr 0
		.amdhsa_user_sgpr_kernarg_segment_ptr 1
		.amdhsa_user_sgpr_dispatch_id 0
		.amdhsa_user_sgpr_private_segment_size 0
		.amdhsa_wavefront_size32 1
		.amdhsa_uses_dynamic_stack 0
		.amdhsa_enable_private_segment 0
		.amdhsa_system_sgpr_workgroup_id_x 1
		.amdhsa_system_sgpr_workgroup_id_y 0
		.amdhsa_system_sgpr_workgroup_id_z 0
		.amdhsa_system_sgpr_workgroup_info 0
		.amdhsa_system_vgpr_workitem_id 0
		.amdhsa_next_free_vgpr 33
		.amdhsa_next_free_sgpr 66
		.amdhsa_reserve_vcc 1
		.amdhsa_float_round_mode_32 0
		.amdhsa_float_round_mode_16_64 0
		.amdhsa_float_denorm_mode_32 3
		.amdhsa_float_denorm_mode_16_64 3
		.amdhsa_fp16_overflow 0
		.amdhsa_workgroup_processor_mode 1
		.amdhsa_memory_ordered 1
		.amdhsa_forward_progress 1
		.amdhsa_inst_pref_size 95
		.amdhsa_round_robin_scheduling 0
		.amdhsa_exception_fp_ieee_invalid_op 0
		.amdhsa_exception_fp_denorm_src 0
		.amdhsa_exception_fp_ieee_div_zero 0
		.amdhsa_exception_fp_ieee_overflow 0
		.amdhsa_exception_fp_ieee_underflow 0
		.amdhsa_exception_fp_ieee_inexact 0
		.amdhsa_exception_int_div_zero 0
	.end_amdhsa_kernel
	.section	.text._ZN2at6native16triu_tril_kernelIN3c107complexIdEEiLb0ELi1ELb1EEEvNS_4cuda6detail10TensorInfoIT_T0_EENS7_IKS8_S9_EEllS9_,"axG",@progbits,_ZN2at6native16triu_tril_kernelIN3c107complexIdEEiLb0ELi1ELb1EEEvNS_4cuda6detail10TensorInfoIT_T0_EENS7_IKS8_S9_EEllS9_,comdat
.Lfunc_end28:
	.size	_ZN2at6native16triu_tril_kernelIN3c107complexIdEEiLb0ELi1ELb1EEEvNS_4cuda6detail10TensorInfoIT_T0_EENS7_IKS8_S9_EEllS9_, .Lfunc_end28-_ZN2at6native16triu_tril_kernelIN3c107complexIdEEiLb0ELi1ELb1EEEvNS_4cuda6detail10TensorInfoIT_T0_EENS7_IKS8_S9_EEllS9_
                                        ; -- End function
	.set _ZN2at6native16triu_tril_kernelIN3c107complexIdEEiLb0ELi1ELb1EEEvNS_4cuda6detail10TensorInfoIT_T0_EENS7_IKS8_S9_EEllS9_.num_vgpr, 33
	.set _ZN2at6native16triu_tril_kernelIN3c107complexIdEEiLb0ELi1ELb1EEEvNS_4cuda6detail10TensorInfoIT_T0_EENS7_IKS8_S9_EEllS9_.num_agpr, 0
	.set _ZN2at6native16triu_tril_kernelIN3c107complexIdEEiLb0ELi1ELb1EEEvNS_4cuda6detail10TensorInfoIT_T0_EENS7_IKS8_S9_EEllS9_.numbered_sgpr, 66
	.set _ZN2at6native16triu_tril_kernelIN3c107complexIdEEiLb0ELi1ELb1EEEvNS_4cuda6detail10TensorInfoIT_T0_EENS7_IKS8_S9_EEllS9_.num_named_barrier, 0
	.set _ZN2at6native16triu_tril_kernelIN3c107complexIdEEiLb0ELi1ELb1EEEvNS_4cuda6detail10TensorInfoIT_T0_EENS7_IKS8_S9_EEllS9_.private_seg_size, 0
	.set _ZN2at6native16triu_tril_kernelIN3c107complexIdEEiLb0ELi1ELb1EEEvNS_4cuda6detail10TensorInfoIT_T0_EENS7_IKS8_S9_EEllS9_.uses_vcc, 1
	.set _ZN2at6native16triu_tril_kernelIN3c107complexIdEEiLb0ELi1ELb1EEEvNS_4cuda6detail10TensorInfoIT_T0_EENS7_IKS8_S9_EEllS9_.uses_flat_scratch, 0
	.set _ZN2at6native16triu_tril_kernelIN3c107complexIdEEiLb0ELi1ELb1EEEvNS_4cuda6detail10TensorInfoIT_T0_EENS7_IKS8_S9_EEllS9_.has_dyn_sized_stack, 0
	.set _ZN2at6native16triu_tril_kernelIN3c107complexIdEEiLb0ELi1ELb1EEEvNS_4cuda6detail10TensorInfoIT_T0_EENS7_IKS8_S9_EEllS9_.has_recursion, 0
	.set _ZN2at6native16triu_tril_kernelIN3c107complexIdEEiLb0ELi1ELb1EEEvNS_4cuda6detail10TensorInfoIT_T0_EENS7_IKS8_S9_EEllS9_.has_indirect_call, 0
	.section	.AMDGPU.csdata,"",@progbits
; Kernel info:
; codeLenInByte = 12092
; TotalNumSgprs: 68
; NumVgprs: 33
; ScratchSize: 0
; MemoryBound: 0
; FloatMode: 240
; IeeeMode: 1
; LDSByteSize: 0 bytes/workgroup (compile time only)
; SGPRBlocks: 0
; VGPRBlocks: 4
; NumSGPRsForWavesPerEU: 68
; NumVGPRsForWavesPerEU: 33
; Occupancy: 16
; WaveLimiterHint : 0
; COMPUTE_PGM_RSRC2:SCRATCH_EN: 0
; COMPUTE_PGM_RSRC2:USER_SGPR: 2
; COMPUTE_PGM_RSRC2:TRAP_HANDLER: 0
; COMPUTE_PGM_RSRC2:TGID_X_EN: 1
; COMPUTE_PGM_RSRC2:TGID_Y_EN: 0
; COMPUTE_PGM_RSRC2:TGID_Z_EN: 0
; COMPUTE_PGM_RSRC2:TIDIG_COMP_CNT: 0
	.section	.text._ZN2at6native16triu_tril_kernelIN3c107complexIdEEiLb0ELi1ELb0EEEvNS_4cuda6detail10TensorInfoIT_T0_EENS7_IKS8_S9_EEllS9_,"axG",@progbits,_ZN2at6native16triu_tril_kernelIN3c107complexIdEEiLb0ELi1ELb0EEEvNS_4cuda6detail10TensorInfoIT_T0_EENS7_IKS8_S9_EEllS9_,comdat
	.protected	_ZN2at6native16triu_tril_kernelIN3c107complexIdEEiLb0ELi1ELb0EEEvNS_4cuda6detail10TensorInfoIT_T0_EENS7_IKS8_S9_EEllS9_ ; -- Begin function _ZN2at6native16triu_tril_kernelIN3c107complexIdEEiLb0ELi1ELb0EEEvNS_4cuda6detail10TensorInfoIT_T0_EENS7_IKS8_S9_EEllS9_
	.globl	_ZN2at6native16triu_tril_kernelIN3c107complexIdEEiLb0ELi1ELb0EEEvNS_4cuda6detail10TensorInfoIT_T0_EENS7_IKS8_S9_EEllS9_
	.p2align	8
	.type	_ZN2at6native16triu_tril_kernelIN3c107complexIdEEiLb0ELi1ELb0EEEvNS_4cuda6detail10TensorInfoIT_T0_EENS7_IKS8_S9_EEllS9_,@function
_ZN2at6native16triu_tril_kernelIN3c107complexIdEEiLb0ELi1ELb0EEEvNS_4cuda6detail10TensorInfoIT_T0_EENS7_IKS8_S9_EEllS9_: ; @_ZN2at6native16triu_tril_kernelIN3c107complexIdEEiLb0ELi1ELb0EEEvNS_4cuda6detail10TensorInfoIT_T0_EENS7_IKS8_S9_EEllS9_
; %bb.0:
	s_clause 0x1
	s_load_b32 s2, s[0:1], 0x1d4
	s_load_b128 s[4:7], s[0:1], 0x1b0
	v_mov_b32_e32 v4, 0
	s_delay_alu instid0(VALU_DEP_1) | instskip(SKIP_3) | instid1(VALU_DEP_1)
	v_mov_b32_e32 v1, v4
	s_wait_kmcnt 0x0
	s_and_b32 s22, s2, 0xffff
	s_mov_b32 s2, exec_lo
	v_mad_co_u64_u32 v[6:7], null, s22, ttmp9, v[0:1]
	s_delay_alu instid0(VALU_DEP_1)
	v_cmpx_gt_i64_e64 s[6:7], v[6:7]
	s_cbranch_execz .LBB29_42
; %bb.1:
	s_clause 0x2
	s_load_b32 s24, s[0:1], 0x1a8
	s_load_b32 s8, s[0:1], 0x1c0
	s_load_b64 s[10:11], s[0:1], 0xd8
	s_add_nc_u64 s[12:13], s[0:1], 0xd8
	s_add_nc_u64 s[18:19], s[0:1], 0x1c8
	s_mov_b32 s23, 0
	s_load_b32 s26, s[18:19], 0x0
	s_mov_b32 s51, 0
	s_load_b64 s[20:21], s[0:1], 0x0
	s_wait_kmcnt 0x0
	s_ashr_i32 s25, s24, 31
	v_cvt_f32_u32_e32 v0, s8
	s_lshl_b64 s[14:15], s[24:25], 2
	s_and_b32 s46, s24, 3
	s_add_nc_u64 s[16:17], s[12:13], s[14:15]
	s_add_nc_u64 s[18:19], s[0:1], s[14:15]
	s_clause 0x2
	s_load_b64 s[2:3], s[16:17], 0x0
	s_load_b64 s[14:15], s[16:17], 0x64
	s_load_b64 s[16:17], s[18:19], 0x64
	v_rcp_iflag_f32_e32 v0, v0
	s_ashr_i32 s9, s8, 31
	s_add_co_i32 s33, s24, -3
	v_cmp_gt_i64_e64 s50, s[24:25], 2
	s_mul_i32 s49, s26, s22
	s_wait_kmcnt 0x0
	s_mov_b32 s18, s2
	s_ashr_i32 s19, s2, 31
	v_cvt_f32_u32_e32 v1, s18
	s_cmp_lg_u32 s46, 2
	s_cselect_b32 s47, -1, 0
	s_cmp_gt_u32 s33, 2
	s_delay_alu instid0(VALU_DEP_1)
	v_rcp_iflag_f32_e32 v1, v1
	v_mul_f32_e32 v0, 0x4f7ffffe, v0
	s_cselect_b32 s48, -1, 0
	s_sub_co_i32 s2, 0, s8
	s_wait_alu 0xfffe
	s_ashr_i32 s24, s9, 31
	s_ashr_i32 s26, s19, 31
	s_delay_alu instid0(TRANS32_DEP_1) | instskip(SKIP_1) | instid1(VALU_DEP_2)
	v_mul_f32_e32 v1, 0x4f7ffffe, v1
	v_cvt_u32_f32_e32 v0, v0
	v_cvt_u32_f32_e32 v17, v1
	s_delay_alu instid0(VALU_DEP_2) | instskip(NEXT) | instid1(VALU_DEP_1)
	v_mul_lo_u32 v2, s2, v0
	v_mul_hi_u32 v2, v0, v2
	s_delay_alu instid0(VALU_DEP_1)
	v_add_nc_u32_e32 v18, v0, v2
	s_branch .LBB29_3
.LBB29_2:                               ;   in Loop: Header=BB29_3 Depth=1
	s_wait_alu 0xfffe
	s_or_b32 exec_lo, exec_lo, s2
	v_add_co_u32 v6, vcc_lo, v6, s49
	s_wait_alu 0xfffd
	v_add_co_ci_u32_e64 v7, null, 0, v7, vcc_lo
	s_delay_alu instid0(VALU_DEP_1) | instskip(SKIP_1) | instid1(SALU_CYCLE_1)
	v_cmp_le_i64_e32 vcc_lo, s[6:7], v[6:7]
	s_or_b32 s51, vcc_lo, s51
	s_and_not1_b32 exec_lo, exec_lo, s51
	s_cbranch_execz .LBB29_42
.LBB29_3:                               ; =>This Loop Header: Depth=1
                                        ;     Child Loop BB29_15 Depth 2
                                        ;     Child Loop BB29_20 Depth 2
	v_or_b32_e32 v5, s9, v7
                                        ; implicit-def: $vgpr2_vgpr3
	s_mov_b32 s2, exec_lo
	s_delay_alu instid0(VALU_DEP_1)
	v_cmpx_ne_u64_e32 0, v[4:5]
	s_wait_alu 0xfffe
	s_xor_b32 s27, exec_lo, s2
	s_cbranch_execz .LBB29_5
; %bb.4:                                ;   in Loop: Header=BB29_3 Depth=1
	s_mov_b32 s25, s24
	v_ashrrev_i32_e32 v5, 31, v7
	s_wait_alu 0xfffe
	s_add_nc_u64 s[28:29], s[8:9], s[24:25]
	s_wait_alu 0xfffe
	s_xor_b64 s[28:29], s[28:29], s[24:25]
	s_wait_loadcnt 0x0
	v_add_co_u32 v0, vcc_lo, v6, v5
	s_wait_alu 0xfffe
	s_cvt_f32_u32 s2, s28
	s_cvt_f32_u32 s22, s29
	s_sub_nc_u64 s[34:35], 0, s[28:29]
	s_wait_alu 0xfffd
	v_add_co_ci_u32_e64 v1, null, v7, v5, vcc_lo
	s_wait_alu 0xfffe
	s_fmamk_f32 s2, s22, 0x4f800000, s2
	v_xor_b32_e32 v10, v0, v5
	s_delay_alu instid0(VALU_DEP_2) | instskip(SKIP_3) | instid1(TRANS32_DEP_1)
	v_xor_b32_e32 v11, v1, v5
	s_wait_alu 0xfffe
	v_s_rcp_f32 s2, s2
	v_xor_b32_e32 v5, s24, v5
	s_mul_f32 s2, s2, 0x5f7ffffc
	s_wait_alu 0xfffe
	s_delay_alu instid0(SALU_CYCLE_2) | instskip(SKIP_1) | instid1(SALU_CYCLE_2)
	s_mul_f32 s22, s2, 0x2f800000
	s_wait_alu 0xfffe
	s_trunc_f32 s22, s22
	s_wait_alu 0xfffe
	s_delay_alu instid0(SALU_CYCLE_2) | instskip(SKIP_2) | instid1(SALU_CYCLE_1)
	s_fmamk_f32 s2, s22, 0xcf800000, s2
	s_cvt_u32_f32 s31, s22
	s_wait_alu 0xfffe
	s_cvt_u32_f32 s30, s2
	s_wait_alu 0xfffe
	s_delay_alu instid0(SALU_CYCLE_2)
	s_mul_u64 s[36:37], s[34:35], s[30:31]
	s_wait_alu 0xfffe
	s_mul_hi_u32 s39, s30, s37
	s_mul_i32 s38, s30, s37
	s_mul_hi_u32 s22, s30, s36
	s_mul_i32 s25, s31, s36
	s_wait_alu 0xfffe
	s_add_nc_u64 s[38:39], s[22:23], s[38:39]
	s_mul_hi_u32 s2, s31, s36
	s_mul_hi_u32 s40, s31, s37
	s_wait_alu 0xfffe
	s_add_co_u32 s22, s38, s25
	s_add_co_ci_u32 s22, s39, s2
	s_mul_i32 s36, s31, s37
	s_add_co_ci_u32 s37, s40, 0
	s_wait_alu 0xfffe
	s_add_nc_u64 s[36:37], s[22:23], s[36:37]
	s_wait_alu 0xfffe
	s_add_co_u32 s30, s30, s36
	s_cselect_b32 s2, -1, 0
	s_wait_alu 0xfffe
	s_cmp_lg_u32 s2, 0
	s_add_co_ci_u32 s31, s31, s37
	s_wait_alu 0xfffe
	s_mul_u64 s[34:35], s[34:35], s[30:31]
	s_wait_alu 0xfffe
	s_mul_hi_u32 s37, s30, s35
	s_mul_i32 s36, s30, s35
	s_mul_hi_u32 s22, s30, s34
	s_mul_i32 s25, s31, s34
	s_wait_alu 0xfffe
	s_add_nc_u64 s[36:37], s[22:23], s[36:37]
	s_mul_hi_u32 s2, s31, s34
	s_mul_hi_u32 s38, s31, s35
	s_wait_alu 0xfffe
	s_add_co_u32 s22, s36, s25
	s_add_co_ci_u32 s22, s37, s2
	s_mul_i32 s34, s31, s35
	s_add_co_ci_u32 s35, s38, 0
	s_wait_alu 0xfffe
	s_add_nc_u64 s[34:35], s[22:23], s[34:35]
	s_wait_alu 0xfffe
	s_add_co_u32 s2, s30, s34
	s_cselect_b32 s22, -1, 0
	s_wait_alu 0xfffe
	v_mul_hi_u32 v12, v10, s2
	s_cmp_lg_u32 s22, 0
	v_mad_co_u64_u32 v[2:3], null, v11, s2, 0
	s_add_co_ci_u32 s22, s31, s35
	s_wait_alu 0xfffe
	v_mad_co_u64_u32 v[0:1], null, v10, s22, 0
	v_mad_co_u64_u32 v[8:9], null, v11, s22, 0
	s_delay_alu instid0(VALU_DEP_2) | instskip(SKIP_1) | instid1(VALU_DEP_3)
	v_add_co_u32 v0, vcc_lo, v12, v0
	s_wait_alu 0xfffd
	v_add_co_ci_u32_e64 v1, null, 0, v1, vcc_lo
	s_delay_alu instid0(VALU_DEP_2) | instskip(SKIP_1) | instid1(VALU_DEP_2)
	v_add_co_u32 v0, vcc_lo, v0, v2
	s_wait_alu 0xfffd
	v_add_co_ci_u32_e32 v0, vcc_lo, v1, v3, vcc_lo
	s_wait_alu 0xfffd
	v_add_co_ci_u32_e32 v1, vcc_lo, 0, v9, vcc_lo
	s_delay_alu instid0(VALU_DEP_2) | instskip(SKIP_1) | instid1(VALU_DEP_2)
	v_add_co_u32 v2, vcc_lo, v0, v8
	s_wait_alu 0xfffd
	v_add_co_ci_u32_e64 v3, null, 0, v1, vcc_lo
	s_delay_alu instid0(VALU_DEP_2) | instskip(SKIP_1) | instid1(VALU_DEP_3)
	v_mul_lo_u32 v8, s29, v2
	v_mad_co_u64_u32 v[0:1], null, s28, v2, 0
	v_mul_lo_u32 v9, s28, v3
	s_delay_alu instid0(VALU_DEP_2) | instskip(NEXT) | instid1(VALU_DEP_2)
	v_sub_co_u32 v0, vcc_lo, v10, v0
	v_add3_u32 v1, v1, v9, v8
	v_add_co_u32 v9, s2, v2, 2
	s_wait_alu 0xf1ff
	v_add_co_ci_u32_e64 v10, null, 0, v3, s2
	s_delay_alu instid0(VALU_DEP_3) | instskip(SKIP_3) | instid1(VALU_DEP_3)
	v_sub_nc_u32_e32 v8, v11, v1
	v_sub_co_u32 v12, s2, v0, s28
	s_wait_alu 0xfffd
	v_sub_co_ci_u32_e64 v1, null, v11, v1, vcc_lo
	v_subrev_co_ci_u32_e64 v8, null, s29, v8, vcc_lo
	s_delay_alu instid0(VALU_DEP_3) | instskip(SKIP_1) | instid1(VALU_DEP_2)
	v_cmp_le_u32_e32 vcc_lo, s28, v12
	s_wait_alu 0xf1ff
	v_subrev_co_ci_u32_e64 v8, null, 0, v8, s2
	s_wait_alu 0xfffd
	v_cndmask_b32_e64 v11, 0, -1, vcc_lo
	s_delay_alu instid0(VALU_DEP_2)
	v_cmp_le_u32_e32 vcc_lo, s29, v8
	s_wait_alu 0xfffd
	v_cndmask_b32_e64 v12, 0, -1, vcc_lo
	v_cmp_le_u32_e32 vcc_lo, s28, v0
	s_wait_alu 0xfffd
	v_cndmask_b32_e64 v0, 0, -1, vcc_lo
	;; [unrolled: 3-line block ×3, first 2 shown]
	v_cmp_eq_u32_e32 vcc_lo, s29, v8
	s_wait_alu 0xfffd
	v_cndmask_b32_e32 v8, v12, v11, vcc_lo
	v_add_co_u32 v11, vcc_lo, v2, 1
	s_wait_alu 0xfffd
	v_add_co_ci_u32_e64 v12, null, 0, v3, vcc_lo
	v_cmp_eq_u32_e32 vcc_lo, s29, v1
	s_wait_alu 0xfffd
	v_cndmask_b32_e32 v0, v13, v0, vcc_lo
	v_cmp_ne_u32_e32 vcc_lo, 0, v8
	s_wait_alu 0xfffd
	v_cndmask_b32_e32 v1, v12, v10, vcc_lo
	s_delay_alu instid0(VALU_DEP_3) | instskip(SKIP_2) | instid1(VALU_DEP_2)
	v_cmp_ne_u32_e64 s2, 0, v0
	v_cndmask_b32_e32 v0, v11, v9, vcc_lo
	s_wait_alu 0xf1ff
	v_cndmask_b32_e64 v1, v3, v1, s2
	s_delay_alu instid0(VALU_DEP_2) | instskip(NEXT) | instid1(VALU_DEP_2)
	v_cndmask_b32_e64 v0, v2, v0, s2
	v_xor_b32_e32 v1, v1, v5
	s_delay_alu instid0(VALU_DEP_2) | instskip(NEXT) | instid1(VALU_DEP_1)
	v_xor_b32_e32 v0, v0, v5
	v_sub_co_u32 v2, vcc_lo, v0, v5
	s_wait_alu 0xfffd
	s_delay_alu instid0(VALU_DEP_3)
	v_sub_co_ci_u32_e64 v3, null, v1, v5, vcc_lo
.LBB29_5:                               ;   in Loop: Header=BB29_3 Depth=1
	s_wait_alu 0xfffe
	s_and_not1_saveexec_b32 s2, s27
	s_cbranch_execz .LBB29_7
; %bb.6:                                ;   in Loop: Header=BB29_3 Depth=1
	s_wait_loadcnt 0x0
	v_mul_hi_u32 v0, v6, v18
	s_delay_alu instid0(VALU_DEP_1) | instskip(NEXT) | instid1(VALU_DEP_1)
	v_mul_lo_u32 v1, v0, s8
	v_sub_nc_u32_e32 v1, v6, v1
	s_delay_alu instid0(VALU_DEP_1) | instskip(SKIP_2) | instid1(VALU_DEP_2)
	v_subrev_nc_u32_e32 v3, s8, v1
	v_cmp_le_u32_e32 vcc_lo, s8, v1
	s_wait_alu 0xfffd
	v_dual_cndmask_b32 v1, v1, v3 :: v_dual_add_nc_u32 v2, 1, v0
	s_delay_alu instid0(VALU_DEP_1) | instskip(SKIP_1) | instid1(VALU_DEP_3)
	v_cndmask_b32_e32 v0, v0, v2, vcc_lo
	v_mov_b32_e32 v3, v4
	v_cmp_le_u32_e32 vcc_lo, s8, v1
	s_delay_alu instid0(VALU_DEP_3) | instskip(SKIP_1) | instid1(VALU_DEP_1)
	v_add_nc_u32_e32 v2, 1, v0
	s_wait_alu 0xfffd
	v_cndmask_b32_e32 v2, v0, v2, vcc_lo
.LBB29_7:                               ;   in Loop: Header=BB29_3 Depth=1
	s_wait_alu 0xfffe
	s_or_b32 exec_lo, exec_lo, s2
	s_wait_loadcnt 0x0
	v_or_b32_e32 v5, s19, v3
                                        ; implicit-def: $vgpr0_vgpr1
	s_mov_b32 s2, exec_lo
	s_delay_alu instid0(VALU_DEP_1)
	v_cmpx_ne_u64_e32 0, v[4:5]
	s_wait_alu 0xfffe
	s_xor_b32 s25, exec_lo, s2
	s_cbranch_execz .LBB29_9
; %bb.8:                                ;   in Loop: Header=BB29_3 Depth=1
	s_mov_b32 s27, s26
	v_ashrrev_i32_e32 v5, 31, v3
	s_wait_alu 0xfffe
	s_add_nc_u64 s[28:29], s[18:19], s[26:27]
	s_wait_alu 0xfffe
	s_xor_b64 s[28:29], s[28:29], s[26:27]
	v_add_co_u32 v0, vcc_lo, v2, v5
	s_wait_alu 0xfffe
	s_cvt_f32_u32 s2, s28
	s_cvt_f32_u32 s22, s29
	s_sub_nc_u64 s[34:35], 0, s[28:29]
	s_wait_alu 0xfffd
	v_add_co_ci_u32_e64 v1, null, v3, v5, vcc_lo
	s_wait_alu 0xfffe
	s_fmamk_f32 s2, s22, 0x4f800000, s2
	v_xor_b32_e32 v3, v0, v5
	s_delay_alu instid0(VALU_DEP_2) | instskip(SKIP_2) | instid1(TRANS32_DEP_1)
	v_xor_b32_e32 v12, v1, v5
	s_wait_alu 0xfffe
	v_s_rcp_f32 s2, s2
	s_mul_f32 s2, s2, 0x5f7ffffc
	s_wait_alu 0xfffe
	s_delay_alu instid0(SALU_CYCLE_2) | instskip(SKIP_1) | instid1(SALU_CYCLE_2)
	s_mul_f32 s22, s2, 0x2f800000
	s_wait_alu 0xfffe
	s_trunc_f32 s22, s22
	s_wait_alu 0xfffe
	s_delay_alu instid0(SALU_CYCLE_2) | instskip(SKIP_2) | instid1(SALU_CYCLE_1)
	s_fmamk_f32 s2, s22, 0xcf800000, s2
	s_cvt_u32_f32 s31, s22
	s_wait_alu 0xfffe
	s_cvt_u32_f32 s30, s2
	s_wait_alu 0xfffe
	s_delay_alu instid0(SALU_CYCLE_2)
	s_mul_u64 s[36:37], s[34:35], s[30:31]
	s_wait_alu 0xfffe
	s_mul_hi_u32 s39, s30, s37
	s_mul_i32 s38, s30, s37
	s_mul_hi_u32 s22, s30, s36
	s_mul_i32 s27, s31, s36
	s_wait_alu 0xfffe
	s_add_nc_u64 s[38:39], s[22:23], s[38:39]
	s_mul_hi_u32 s2, s31, s36
	s_mul_hi_u32 s40, s31, s37
	s_wait_alu 0xfffe
	s_add_co_u32 s22, s38, s27
	s_add_co_ci_u32 s22, s39, s2
	s_mul_i32 s36, s31, s37
	s_add_co_ci_u32 s37, s40, 0
	s_wait_alu 0xfffe
	s_add_nc_u64 s[36:37], s[22:23], s[36:37]
	s_wait_alu 0xfffe
	s_add_co_u32 s30, s30, s36
	s_cselect_b32 s2, -1, 0
	s_wait_alu 0xfffe
	s_cmp_lg_u32 s2, 0
	s_add_co_ci_u32 s31, s31, s37
	s_wait_alu 0xfffe
	s_mul_u64 s[34:35], s[34:35], s[30:31]
	s_wait_alu 0xfffe
	s_mul_hi_u32 s37, s30, s35
	s_mul_i32 s36, s30, s35
	s_mul_hi_u32 s22, s30, s34
	s_mul_i32 s27, s31, s34
	s_wait_alu 0xfffe
	s_add_nc_u64 s[36:37], s[22:23], s[36:37]
	s_mul_hi_u32 s2, s31, s34
	s_mul_hi_u32 s38, s31, s35
	s_wait_alu 0xfffe
	s_add_co_u32 s22, s36, s27
	s_add_co_ci_u32 s22, s37, s2
	s_mul_i32 s34, s31, s35
	s_add_co_ci_u32 s35, s38, 0
	s_wait_alu 0xfffe
	s_add_nc_u64 s[34:35], s[22:23], s[34:35]
	s_wait_alu 0xfffe
	s_add_co_u32 s2, s30, s34
	s_cselect_b32 s22, -1, 0
	s_wait_alu 0xfffe
	v_mul_hi_u32 v13, v3, s2
	s_cmp_lg_u32 s22, 0
	v_mad_co_u64_u32 v[8:9], null, v12, s2, 0
	s_add_co_ci_u32 s22, s31, s35
	s_wait_alu 0xfffe
	v_mad_co_u64_u32 v[0:1], null, v3, s22, 0
	v_mad_co_u64_u32 v[10:11], null, v12, s22, 0
	s_delay_alu instid0(VALU_DEP_2) | instskip(SKIP_1) | instid1(VALU_DEP_3)
	v_add_co_u32 v0, vcc_lo, v13, v0
	s_wait_alu 0xfffd
	v_add_co_ci_u32_e64 v1, null, 0, v1, vcc_lo
	s_delay_alu instid0(VALU_DEP_2) | instskip(SKIP_1) | instid1(VALU_DEP_2)
	v_add_co_u32 v0, vcc_lo, v0, v8
	s_wait_alu 0xfffd
	v_add_co_ci_u32_e32 v0, vcc_lo, v1, v9, vcc_lo
	s_wait_alu 0xfffd
	v_add_co_ci_u32_e32 v1, vcc_lo, 0, v11, vcc_lo
	s_delay_alu instid0(VALU_DEP_2) | instskip(SKIP_1) | instid1(VALU_DEP_2)
	v_add_co_u32 v8, vcc_lo, v0, v10
	s_wait_alu 0xfffd
	v_add_co_ci_u32_e64 v9, null, 0, v1, vcc_lo
	s_delay_alu instid0(VALU_DEP_2) | instskip(SKIP_1) | instid1(VALU_DEP_3)
	v_mul_lo_u32 v10, s29, v8
	v_mad_co_u64_u32 v[0:1], null, s28, v8, 0
	v_mul_lo_u32 v11, s28, v9
	s_delay_alu instid0(VALU_DEP_2) | instskip(NEXT) | instid1(VALU_DEP_2)
	v_sub_co_u32 v0, vcc_lo, v3, v0
	v_add3_u32 v1, v1, v11, v10
	s_delay_alu instid0(VALU_DEP_1) | instskip(SKIP_2) | instid1(VALU_DEP_2)
	v_sub_nc_u32_e32 v10, v12, v1
	s_wait_alu 0xfffd
	v_sub_co_ci_u32_e64 v1, null, v12, v1, vcc_lo
	v_subrev_co_ci_u32_e64 v3, null, s29, v10, vcc_lo
	v_add_co_u32 v10, s2, v8, 2
	s_wait_alu 0xf1ff
	v_add_co_ci_u32_e64 v11, null, 0, v9, s2
	v_sub_co_u32 v13, s2, v0, s28
	s_wait_alu 0xf1ff
	v_subrev_co_ci_u32_e64 v3, null, 0, v3, s2
	s_delay_alu instid0(VALU_DEP_2) | instskip(SKIP_2) | instid1(VALU_DEP_3)
	v_cmp_le_u32_e32 vcc_lo, s28, v13
	s_wait_alu 0xfffd
	v_cndmask_b32_e64 v12, 0, -1, vcc_lo
	v_cmp_le_u32_e32 vcc_lo, s29, v3
	s_wait_alu 0xfffd
	v_cndmask_b32_e64 v13, 0, -1, vcc_lo
	;; [unrolled: 3-line block ×4, first 2 shown]
	v_cmp_eq_u32_e32 vcc_lo, s29, v3
	s_wait_alu 0xfffd
	v_cndmask_b32_e32 v3, v13, v12, vcc_lo
	v_add_co_u32 v12, vcc_lo, v8, 1
	s_wait_alu 0xfffd
	v_add_co_ci_u32_e64 v13, null, 0, v9, vcc_lo
	v_cmp_eq_u32_e32 vcc_lo, s29, v1
	s_wait_alu 0xfffd
	v_cndmask_b32_e32 v0, v14, v0, vcc_lo
	v_cmp_ne_u32_e32 vcc_lo, 0, v3
	v_xor_b32_e32 v3, s26, v5
	s_wait_alu 0xfffd
	v_cndmask_b32_e32 v1, v13, v11, vcc_lo
	v_cmp_ne_u32_e64 s2, 0, v0
	v_cndmask_b32_e32 v0, v12, v10, vcc_lo
	s_wait_alu 0xf1ff
	s_delay_alu instid0(VALU_DEP_2) | instskip(NEXT) | instid1(VALU_DEP_2)
	v_cndmask_b32_e64 v1, v9, v1, s2
	v_cndmask_b32_e64 v0, v8, v0, s2
	s_delay_alu instid0(VALU_DEP_2) | instskip(NEXT) | instid1(VALU_DEP_2)
	v_xor_b32_e32 v1, v1, v3
	v_xor_b32_e32 v0, v0, v3
	s_delay_alu instid0(VALU_DEP_1) | instskip(SKIP_1) | instid1(VALU_DEP_3)
	v_sub_co_u32 v0, vcc_lo, v0, v3
	s_wait_alu 0xfffd
	v_sub_co_ci_u32_e64 v1, null, v1, v3, vcc_lo
.LBB29_9:                               ;   in Loop: Header=BB29_3 Depth=1
	s_wait_alu 0xfffe
	s_and_not1_saveexec_b32 s2, s25
	s_cbranch_execz .LBB29_11
; %bb.10:                               ;   in Loop: Header=BB29_3 Depth=1
	s_sub_co_i32 s22, 0, s18
	s_wait_alu 0xfffe
	v_mul_lo_u32 v0, s22, v17
	s_delay_alu instid0(VALU_DEP_1) | instskip(NEXT) | instid1(VALU_DEP_1)
	v_mul_hi_u32 v0, v17, v0
	v_add_nc_u32_e32 v0, v17, v0
	s_delay_alu instid0(VALU_DEP_1) | instskip(NEXT) | instid1(VALU_DEP_1)
	v_mul_hi_u32 v0, v2, v0
	v_mul_lo_u32 v1, v0, s18
	v_add_nc_u32_e32 v3, 1, v0
	s_delay_alu instid0(VALU_DEP_2) | instskip(NEXT) | instid1(VALU_DEP_1)
	v_sub_nc_u32_e32 v1, v2, v1
	v_subrev_nc_u32_e32 v5, s18, v1
	v_cmp_le_u32_e32 vcc_lo, s18, v1
	s_wait_alu 0xfffd
	s_delay_alu instid0(VALU_DEP_2) | instskip(NEXT) | instid1(VALU_DEP_1)
	v_dual_cndmask_b32 v1, v1, v5 :: v_dual_cndmask_b32 v0, v0, v3
	v_cmp_le_u32_e32 vcc_lo, s18, v1
	s_delay_alu instid0(VALU_DEP_2) | instskip(SKIP_2) | instid1(VALU_DEP_2)
	v_add_nc_u32_e32 v3, 1, v0
	v_mov_b32_e32 v1, v4
	s_wait_alu 0xfffd
	v_cndmask_b32_e32 v0, v0, v3, vcc_lo
.LBB29_11:                              ;   in Loop: Header=BB29_3 Depth=1
	s_wait_alu 0xfffe
	s_or_b32 exec_lo, exec_lo, s2
	v_mad_co_u64_u32 v[8:9], null, v2, s8, 0
	s_delay_alu instid0(VALU_DEP_2) | instskip(SKIP_3) | instid1(VALU_DEP_2)
	v_mad_co_u64_u32 v[9:10], null, v0, s18, 0
	s_and_not1_b32 vcc_lo, exec_lo, s50
	v_sub_co_u32 v19, null, v6, v8
	v_sub_co_u32 v20, null, v2, v9
	v_mul_lo_u32 v3, s15, v19
	v_mul_lo_u32 v5, s17, v19
	s_delay_alu instid0(VALU_DEP_2) | instskip(NEXT) | instid1(VALU_DEP_2)
	v_mad_co_u64_u32 v[10:11], null, s14, v20, v[3:4]
	v_mad_co_u64_u32 v[8:9], null, s16, v20, v[5:6]
	s_wait_alu 0xfffe
	s_cbranch_vccnz .LBB29_38
; %bb.12:                               ;   in Loop: Header=BB29_3 Depth=1
	s_mov_b32 s25, 1
	s_and_not1_b32 vcc_lo, exec_lo, s47
	s_mov_b32 s22, s33
	s_mov_b32 s2, s33
	s_wait_alu 0xfffe
	s_cbranch_vccz .LBB29_15
; %bb.13:                               ;   in Loop: Header=BB29_3 Depth=1
	s_and_b32 vcc_lo, exec_lo, s48
	s_mov_b32 s22, s2
	s_wait_alu 0xfffe
	s_cbranch_vccnz .LBB29_20
	s_branch .LBB29_38
.LBB29_14:                              ;   in Loop: Header=BB29_15 Depth=2
	s_wait_alu 0xfffe
	s_or_b32 exec_lo, exec_lo, s2
	s_add_nc_u64 s[34:35], s[0:1], s[34:35]
	s_clause 0x1
	s_load_b32 s2, s[30:31], 0x6c
	s_load_b32 s27, s[34:35], 0x6c
	v_mul_lo_u32 v1, v2, s28
	s_add_co_i32 s22, s22, -1
	s_delay_alu instid0(VALU_DEP_1) | instskip(SKIP_1) | instid1(VALU_DEP_1)
	v_sub_nc_u32_e32 v0, v0, v1
	s_wait_kmcnt 0x0
	v_mad_co_u64_u32 v[10:11], null, s2, v0, v[10:11]
	v_mad_co_u64_u32 v[8:9], null, s27, v0, v[8:9]
	v_dual_mov_b32 v0, v2 :: v_dual_mov_b32 v1, v3
	s_xor_b32 s2, s46, s25
	s_add_co_i32 s25, s25, 1
	s_wait_alu 0xfffe
	s_cmp_lg_u32 s2, 2
	s_cbranch_scc0 .LBB29_19
.LBB29_15:                              ;   Parent Loop BB29_3 Depth=1
                                        ; =>  This Inner Loop Header: Depth=2
	s_lshl_b64 s[34:35], s[22:23], 2
                                        ; implicit-def: $vgpr2_vgpr3
	s_mov_b32 s2, exec_lo
	s_wait_alu 0xfffe
	s_add_nc_u64 s[30:31], s[12:13], s[34:35]
	s_load_b32 s28, s[30:31], 0x8
	s_wait_kmcnt 0x0
	s_ashr_i32 s29, s28, 31
	s_wait_alu 0xfffe
	v_or_b32_e32 v5, s29, v1
	s_delay_alu instid0(VALU_DEP_1)
	v_cmpx_ne_u64_e32 0, v[4:5]
	s_xor_b32 s27, exec_lo, s2
	s_cbranch_execz .LBB29_17
; %bb.16:                               ;   in Loop: Header=BB29_15 Depth=2
	s_ashr_i32 s36, s29, 31
	s_mov_b32 s45, s23
	s_wait_alu 0xfffe
	s_mov_b32 s37, s36
	s_mov_b32 s55, s23
	s_wait_alu 0xfffe
	s_add_nc_u64 s[38:39], s[28:29], s[36:37]
	v_ashrrev_i32_e32 v3, 31, v1
	s_wait_alu 0xfffe
	s_xor_b64 s[38:39], s[38:39], s[36:37]
	s_wait_alu 0xfffe
	s_cvt_f32_u32 s2, s38
	s_cvt_f32_u32 s29, s39
	s_sub_nc_u64 s[42:43], 0, s[38:39]
	v_add_co_u32 v2, vcc_lo, v0, v3
	s_wait_alu 0xfffe
	s_fmamk_f32 s2, s29, 0x4f800000, s2
	s_wait_alu 0xfffd
	v_add_co_ci_u32_e64 v1, null, v1, v3, vcc_lo
	v_xor_b32_e32 v5, v2, v3
	s_wait_alu 0xfffe
	v_s_rcp_f32 s2, s2
	s_delay_alu instid0(VALU_DEP_2) | instskip(SKIP_1) | instid1(TRANS32_DEP_1)
	v_xor_b32_e32 v9, v1, v3
	v_xor_b32_e32 v3, s36, v3
	s_mul_f32 s2, s2, 0x5f7ffffc
	s_wait_alu 0xfffe
	s_delay_alu instid0(SALU_CYCLE_2) | instskip(SKIP_1) | instid1(SALU_CYCLE_2)
	s_mul_f32 s29, s2, 0x2f800000
	s_wait_alu 0xfffe
	s_trunc_f32 s29, s29
	s_wait_alu 0xfffe
	s_delay_alu instid0(SALU_CYCLE_2) | instskip(SKIP_2) | instid1(SALU_CYCLE_1)
	s_fmamk_f32 s2, s29, 0xcf800000, s2
	s_cvt_u32_f32 s41, s29
	s_wait_alu 0xfffe
	s_cvt_u32_f32 s40, s2
	s_wait_alu 0xfffe
	s_delay_alu instid0(SALU_CYCLE_2)
	s_mul_u64 s[52:53], s[42:43], s[40:41]
	s_wait_alu 0xfffe
	s_mul_hi_u32 s57, s40, s53
	s_mul_i32 s56, s40, s53
	s_mul_hi_u32 s44, s40, s52
	s_mul_i32 s29, s41, s52
	s_wait_alu 0xfffe
	s_add_nc_u64 s[44:45], s[44:45], s[56:57]
	s_mul_hi_u32 s2, s41, s52
	s_mul_hi_u32 s37, s41, s53
	s_wait_alu 0xfffe
	s_add_co_u32 s29, s44, s29
	s_add_co_ci_u32 s54, s45, s2
	s_mul_i32 s52, s41, s53
	s_add_co_ci_u32 s53, s37, 0
	s_wait_alu 0xfffe
	s_add_nc_u64 s[44:45], s[54:55], s[52:53]
	s_mov_b32 s53, s23
	s_wait_alu 0xfffe
	s_add_co_u32 s40, s40, s44
	s_cselect_b32 s2, -1, 0
	s_wait_alu 0xfffe
	s_cmp_lg_u32 s2, 0
	s_add_co_ci_u32 s41, s41, s45
	s_mov_b32 s45, s23
	s_wait_alu 0xfffe
	s_mul_u64 s[42:43], s[42:43], s[40:41]
	s_wait_alu 0xfffe
	s_mul_hi_u32 s55, s40, s43
	s_mul_i32 s54, s40, s43
	s_mul_hi_u32 s52, s40, s42
	s_mul_i32 s29, s41, s42
	s_wait_alu 0xfffe
	s_add_nc_u64 s[52:53], s[52:53], s[54:55]
	s_mul_hi_u32 s2, s41, s42
	s_mul_hi_u32 s37, s41, s43
	s_wait_alu 0xfffe
	s_add_co_u32 s29, s52, s29
	s_add_co_ci_u32 s44, s53, s2
	s_mul_i32 s42, s41, s43
	s_add_co_ci_u32 s43, s37, 0
	s_wait_alu 0xfffe
	s_add_nc_u64 s[42:43], s[44:45], s[42:43]
	s_wait_alu 0xfffe
	s_add_co_u32 s2, s40, s42
	s_cselect_b32 s29, -1, 0
	s_wait_alu 0xfffe
	v_mul_hi_u32 v15, v5, s2
	s_cmp_lg_u32 s29, 0
	v_mad_co_u64_u32 v[11:12], null, v9, s2, 0
	s_add_co_ci_u32 s29, s41, s43
	s_wait_alu 0xfffe
	v_mad_co_u64_u32 v[1:2], null, v5, s29, 0
	v_mad_co_u64_u32 v[13:14], null, v9, s29, 0
	s_delay_alu instid0(VALU_DEP_2) | instskip(SKIP_1) | instid1(VALU_DEP_3)
	v_add_co_u32 v1, vcc_lo, v15, v1
	s_wait_alu 0xfffd
	v_add_co_ci_u32_e64 v2, null, 0, v2, vcc_lo
	s_delay_alu instid0(VALU_DEP_2) | instskip(SKIP_1) | instid1(VALU_DEP_2)
	v_add_co_u32 v1, vcc_lo, v1, v11
	s_wait_alu 0xfffd
	v_add_co_ci_u32_e32 v1, vcc_lo, v2, v12, vcc_lo
	s_wait_alu 0xfffd
	v_add_co_ci_u32_e32 v2, vcc_lo, 0, v14, vcc_lo
	s_delay_alu instid0(VALU_DEP_2) | instskip(SKIP_1) | instid1(VALU_DEP_2)
	v_add_co_u32 v11, vcc_lo, v1, v13
	s_wait_alu 0xfffd
	v_add_co_ci_u32_e64 v12, null, 0, v2, vcc_lo
	s_delay_alu instid0(VALU_DEP_2) | instskip(SKIP_1) | instid1(VALU_DEP_3)
	v_mul_lo_u32 v13, s39, v11
	v_mad_co_u64_u32 v[1:2], null, s38, v11, 0
	v_mul_lo_u32 v14, s38, v12
	s_delay_alu instid0(VALU_DEP_2) | instskip(NEXT) | instid1(VALU_DEP_2)
	v_sub_co_u32 v1, vcc_lo, v5, v1
	v_add3_u32 v2, v2, v14, v13
	s_delay_alu instid0(VALU_DEP_1) | instskip(SKIP_2) | instid1(VALU_DEP_2)
	v_sub_nc_u32_e32 v13, v9, v2
	s_wait_alu 0xfffd
	v_sub_co_ci_u32_e64 v2, null, v9, v2, vcc_lo
	v_subrev_co_ci_u32_e64 v5, null, s39, v13, vcc_lo
	v_add_co_u32 v13, s2, v11, 2
	s_wait_alu 0xf1ff
	v_add_co_ci_u32_e64 v14, null, 0, v12, s2
	v_sub_co_u32 v15, s2, v1, s38
	s_wait_alu 0xf1ff
	v_subrev_co_ci_u32_e64 v5, null, 0, v5, s2
	s_delay_alu instid0(VALU_DEP_2) | instskip(SKIP_2) | instid1(VALU_DEP_3)
	v_cmp_le_u32_e32 vcc_lo, s38, v15
	s_wait_alu 0xfffd
	v_cndmask_b32_e64 v9, 0, -1, vcc_lo
	v_cmp_le_u32_e32 vcc_lo, s39, v5
	s_wait_alu 0xfffd
	v_cndmask_b32_e64 v15, 0, -1, vcc_lo
	;; [unrolled: 3-line block ×4, first 2 shown]
	v_cmp_eq_u32_e32 vcc_lo, s39, v5
	s_wait_alu 0xfffd
	v_cndmask_b32_e32 v5, v15, v9, vcc_lo
	v_add_co_u32 v9, vcc_lo, v11, 1
	s_wait_alu 0xfffd
	v_add_co_ci_u32_e64 v15, null, 0, v12, vcc_lo
	v_cmp_eq_u32_e32 vcc_lo, s39, v2
	s_wait_alu 0xfffd
	v_cndmask_b32_e32 v1, v16, v1, vcc_lo
	v_cmp_ne_u32_e32 vcc_lo, 0, v5
	s_wait_alu 0xfffd
	v_cndmask_b32_e32 v2, v15, v14, vcc_lo
	s_delay_alu instid0(VALU_DEP_3) | instskip(SKIP_2) | instid1(VALU_DEP_2)
	v_cmp_ne_u32_e64 s2, 0, v1
	v_cndmask_b32_e32 v1, v9, v13, vcc_lo
	s_wait_alu 0xf1ff
	v_cndmask_b32_e64 v2, v12, v2, s2
	s_delay_alu instid0(VALU_DEP_2) | instskip(NEXT) | instid1(VALU_DEP_2)
	v_cndmask_b32_e64 v1, v11, v1, s2
	v_xor_b32_e32 v5, v2, v3
	s_delay_alu instid0(VALU_DEP_2) | instskip(NEXT) | instid1(VALU_DEP_1)
	v_xor_b32_e32 v1, v1, v3
	v_sub_co_u32 v2, vcc_lo, v1, v3
	s_wait_alu 0xfffd
	s_delay_alu instid0(VALU_DEP_3)
	v_sub_co_ci_u32_e64 v3, null, v5, v3, vcc_lo
.LBB29_17:                              ;   in Loop: Header=BB29_15 Depth=2
	s_wait_alu 0xfffe
	s_and_not1_saveexec_b32 s2, s27
	s_cbranch_execz .LBB29_14
; %bb.18:                               ;   in Loop: Header=BB29_15 Depth=2
	v_cvt_f32_u32_e32 v1, s28
	s_sub_co_i32 s27, 0, s28
	s_delay_alu instid0(VALU_DEP_1) | instskip(NEXT) | instid1(TRANS32_DEP_1)
	v_rcp_iflag_f32_e32 v1, v1
	v_mul_f32_e32 v1, 0x4f7ffffe, v1
	s_delay_alu instid0(VALU_DEP_1) | instskip(SKIP_1) | instid1(VALU_DEP_1)
	v_cvt_u32_f32_e32 v1, v1
	s_wait_alu 0xfffe
	v_mul_lo_u32 v2, s27, v1
	s_delay_alu instid0(VALU_DEP_1) | instskip(NEXT) | instid1(VALU_DEP_1)
	v_mul_hi_u32 v2, v1, v2
	v_add_nc_u32_e32 v1, v1, v2
	s_delay_alu instid0(VALU_DEP_1) | instskip(NEXT) | instid1(VALU_DEP_1)
	v_mul_hi_u32 v1, v0, v1
	v_mul_lo_u32 v2, v1, s28
	v_add_nc_u32_e32 v3, 1, v1
	s_delay_alu instid0(VALU_DEP_2) | instskip(NEXT) | instid1(VALU_DEP_1)
	v_sub_nc_u32_e32 v2, v0, v2
	v_subrev_nc_u32_e32 v5, s28, v2
	v_cmp_le_u32_e32 vcc_lo, s28, v2
	s_wait_alu 0xfffd
	s_delay_alu instid0(VALU_DEP_2) | instskip(NEXT) | instid1(VALU_DEP_1)
	v_dual_cndmask_b32 v2, v2, v5 :: v_dual_cndmask_b32 v1, v1, v3
	v_cmp_le_u32_e32 vcc_lo, s28, v2
	s_delay_alu instid0(VALU_DEP_2) | instskip(SKIP_1) | instid1(VALU_DEP_1)
	v_add_nc_u32_e32 v3, 1, v1
	s_wait_alu 0xfffd
	v_dual_cndmask_b32 v2, v1, v3 :: v_dual_mov_b32 v3, v4
	s_branch .LBB29_14
.LBB29_19:                              ;   in Loop: Header=BB29_3 Depth=1
	s_mov_b32 s2, s22
	s_and_b32 vcc_lo, exec_lo, s48
	s_wait_alu 0xfffe
	s_mov_b32 s22, s2
	s_cbranch_vccz .LBB29_38
.LBB29_20:                              ;   Parent Loop BB29_3 Depth=1
                                        ; =>  This Inner Loop Header: Depth=2
	s_wait_alu 0xfffe
	s_lshl_b64 s[40:41], s[22:23], 2
                                        ; implicit-def: $vgpr2_vgpr3
	s_mov_b32 s2, exec_lo
	s_wait_alu 0xfffe
	s_add_nc_u64 s[34:35], s[12:13], s[40:41]
	s_load_b32 s28, s[34:35], 0x8
	s_wait_kmcnt 0x0
	s_ashr_i32 s29, s28, 31
	s_wait_alu 0xfffe
	v_or_b32_e32 v5, s29, v1
	s_delay_alu instid0(VALU_DEP_1)
	v_cmpx_ne_u64_e32 0, v[4:5]
	s_xor_b32 s25, exec_lo, s2
	s_cbranch_execz .LBB29_22
; %bb.21:                               ;   in Loop: Header=BB29_20 Depth=2
	s_ashr_i32 s30, s29, 31
	s_mov_b32 s45, s23
	s_wait_alu 0xfffe
	s_mov_b32 s31, s30
	s_mov_b32 s55, s23
	s_wait_alu 0xfffe
	s_add_nc_u64 s[36:37], s[28:29], s[30:31]
	v_ashrrev_i32_e32 v3, 31, v1
	s_wait_alu 0xfffe
	s_xor_b64 s[36:37], s[36:37], s[30:31]
	s_wait_alu 0xfffe
	s_cvt_f32_u32 s2, s36
	s_cvt_f32_u32 s27, s37
	s_sub_nc_u64 s[42:43], 0, s[36:37]
	v_add_co_u32 v2, vcc_lo, v0, v3
	s_wait_alu 0xfffe
	s_fmamk_f32 s2, s27, 0x4f800000, s2
	s_wait_alu 0xfffd
	v_add_co_ci_u32_e64 v1, null, v1, v3, vcc_lo
	v_xor_b32_e32 v5, v2, v3
	s_wait_alu 0xfffe
	v_s_rcp_f32 s2, s2
	s_delay_alu instid0(VALU_DEP_2) | instskip(SKIP_1) | instid1(TRANS32_DEP_1)
	v_xor_b32_e32 v9, v1, v3
	v_xor_b32_e32 v3, s30, v3
	s_mul_f32 s2, s2, 0x5f7ffffc
	s_wait_alu 0xfffe
	s_delay_alu instid0(SALU_CYCLE_2) | instskip(SKIP_1) | instid1(SALU_CYCLE_2)
	s_mul_f32 s27, s2, 0x2f800000
	s_wait_alu 0xfffe
	s_trunc_f32 s27, s27
	s_wait_alu 0xfffe
	s_delay_alu instid0(SALU_CYCLE_2) | instskip(SKIP_2) | instid1(SALU_CYCLE_1)
	s_fmamk_f32 s2, s27, 0xcf800000, s2
	s_cvt_u32_f32 s39, s27
	s_wait_alu 0xfffe
	s_cvt_u32_f32 s38, s2
	s_wait_alu 0xfffe
	s_delay_alu instid0(SALU_CYCLE_2)
	s_mul_u64 s[52:53], s[42:43], s[38:39]
	s_wait_alu 0xfffe
	s_mul_hi_u32 s57, s38, s53
	s_mul_i32 s56, s38, s53
	s_mul_hi_u32 s44, s38, s52
	s_mul_i32 s27, s39, s52
	s_wait_alu 0xfffe
	s_add_nc_u64 s[44:45], s[44:45], s[56:57]
	s_mul_hi_u32 s2, s39, s52
	s_mul_hi_u32 s29, s39, s53
	s_wait_alu 0xfffe
	s_add_co_u32 s27, s44, s27
	s_add_co_ci_u32 s54, s45, s2
	s_mul_i32 s52, s39, s53
	s_add_co_ci_u32 s53, s29, 0
	s_wait_alu 0xfffe
	s_add_nc_u64 s[44:45], s[54:55], s[52:53]
	s_mov_b32 s53, s23
	s_wait_alu 0xfffe
	s_add_co_u32 s38, s38, s44
	s_cselect_b32 s2, -1, 0
	s_wait_alu 0xfffe
	s_cmp_lg_u32 s2, 0
	s_add_co_ci_u32 s39, s39, s45
	s_mov_b32 s45, s23
	s_wait_alu 0xfffe
	s_mul_u64 s[42:43], s[42:43], s[38:39]
	s_wait_alu 0xfffe
	s_mul_hi_u32 s55, s38, s43
	s_mul_i32 s54, s38, s43
	s_mul_hi_u32 s52, s38, s42
	s_mul_i32 s27, s39, s42
	s_wait_alu 0xfffe
	s_add_nc_u64 s[52:53], s[52:53], s[54:55]
	s_mul_hi_u32 s2, s39, s42
	s_mul_hi_u32 s29, s39, s43
	s_wait_alu 0xfffe
	s_add_co_u32 s27, s52, s27
	s_add_co_ci_u32 s44, s53, s2
	s_mul_i32 s42, s39, s43
	s_add_co_ci_u32 s43, s29, 0
	s_wait_alu 0xfffe
	s_add_nc_u64 s[42:43], s[44:45], s[42:43]
	s_wait_alu 0xfffe
	s_add_co_u32 s2, s38, s42
	s_cselect_b32 s27, -1, 0
	s_wait_alu 0xfffe
	v_mul_hi_u32 v15, v5, s2
	s_cmp_lg_u32 s27, 0
	v_mad_co_u64_u32 v[11:12], null, v9, s2, 0
	s_add_co_ci_u32 s27, s39, s43
	s_wait_alu 0xfffe
	v_mad_co_u64_u32 v[1:2], null, v5, s27, 0
	v_mad_co_u64_u32 v[13:14], null, v9, s27, 0
	s_delay_alu instid0(VALU_DEP_2) | instskip(SKIP_1) | instid1(VALU_DEP_3)
	v_add_co_u32 v1, vcc_lo, v15, v1
	s_wait_alu 0xfffd
	v_add_co_ci_u32_e64 v2, null, 0, v2, vcc_lo
	s_delay_alu instid0(VALU_DEP_2) | instskip(SKIP_1) | instid1(VALU_DEP_2)
	v_add_co_u32 v1, vcc_lo, v1, v11
	s_wait_alu 0xfffd
	v_add_co_ci_u32_e32 v1, vcc_lo, v2, v12, vcc_lo
	s_wait_alu 0xfffd
	v_add_co_ci_u32_e32 v2, vcc_lo, 0, v14, vcc_lo
	s_delay_alu instid0(VALU_DEP_2) | instskip(SKIP_1) | instid1(VALU_DEP_2)
	v_add_co_u32 v11, vcc_lo, v1, v13
	s_wait_alu 0xfffd
	v_add_co_ci_u32_e64 v12, null, 0, v2, vcc_lo
	s_delay_alu instid0(VALU_DEP_2) | instskip(SKIP_1) | instid1(VALU_DEP_3)
	v_mul_lo_u32 v13, s37, v11
	v_mad_co_u64_u32 v[1:2], null, s36, v11, 0
	v_mul_lo_u32 v14, s36, v12
	s_delay_alu instid0(VALU_DEP_2) | instskip(NEXT) | instid1(VALU_DEP_2)
	v_sub_co_u32 v1, vcc_lo, v5, v1
	v_add3_u32 v2, v2, v14, v13
	s_delay_alu instid0(VALU_DEP_1) | instskip(SKIP_2) | instid1(VALU_DEP_2)
	v_sub_nc_u32_e32 v13, v9, v2
	s_wait_alu 0xfffd
	v_sub_co_ci_u32_e64 v2, null, v9, v2, vcc_lo
	v_subrev_co_ci_u32_e64 v5, null, s37, v13, vcc_lo
	v_add_co_u32 v13, s2, v11, 2
	s_wait_alu 0xf1ff
	v_add_co_ci_u32_e64 v14, null, 0, v12, s2
	v_sub_co_u32 v15, s2, v1, s36
	s_wait_alu 0xf1ff
	v_subrev_co_ci_u32_e64 v5, null, 0, v5, s2
	s_delay_alu instid0(VALU_DEP_2) | instskip(SKIP_2) | instid1(VALU_DEP_3)
	v_cmp_le_u32_e32 vcc_lo, s36, v15
	s_wait_alu 0xfffd
	v_cndmask_b32_e64 v9, 0, -1, vcc_lo
	v_cmp_le_u32_e32 vcc_lo, s37, v5
	s_wait_alu 0xfffd
	v_cndmask_b32_e64 v15, 0, -1, vcc_lo
	;; [unrolled: 3-line block ×4, first 2 shown]
	v_cmp_eq_u32_e32 vcc_lo, s37, v5
	s_wait_alu 0xfffd
	v_cndmask_b32_e32 v5, v15, v9, vcc_lo
	v_add_co_u32 v9, vcc_lo, v11, 1
	s_wait_alu 0xfffd
	v_add_co_ci_u32_e64 v15, null, 0, v12, vcc_lo
	v_cmp_eq_u32_e32 vcc_lo, s37, v2
	s_wait_alu 0xfffd
	v_cndmask_b32_e32 v1, v16, v1, vcc_lo
	v_cmp_ne_u32_e32 vcc_lo, 0, v5
	s_wait_alu 0xfffd
	v_cndmask_b32_e32 v2, v15, v14, vcc_lo
	s_delay_alu instid0(VALU_DEP_3) | instskip(SKIP_2) | instid1(VALU_DEP_2)
	v_cmp_ne_u32_e64 s2, 0, v1
	v_cndmask_b32_e32 v1, v9, v13, vcc_lo
	s_wait_alu 0xf1ff
	v_cndmask_b32_e64 v2, v12, v2, s2
	s_delay_alu instid0(VALU_DEP_2) | instskip(NEXT) | instid1(VALU_DEP_2)
	v_cndmask_b32_e64 v1, v11, v1, s2
	v_xor_b32_e32 v5, v2, v3
	s_delay_alu instid0(VALU_DEP_2) | instskip(NEXT) | instid1(VALU_DEP_1)
	v_xor_b32_e32 v1, v1, v3
	v_sub_co_u32 v2, vcc_lo, v1, v3
	s_wait_alu 0xfffd
	s_delay_alu instid0(VALU_DEP_3)
	v_sub_co_ci_u32_e64 v3, null, v5, v3, vcc_lo
.LBB29_22:                              ;   in Loop: Header=BB29_20 Depth=2
	s_wait_alu 0xfffe
	s_and_not1_saveexec_b32 s2, s25
	s_cbranch_execz .LBB29_24
; %bb.23:                               ;   in Loop: Header=BB29_20 Depth=2
	v_cvt_f32_u32_e32 v1, s28
	s_sub_co_i32 s25, 0, s28
	s_delay_alu instid0(VALU_DEP_1) | instskip(NEXT) | instid1(TRANS32_DEP_1)
	v_rcp_iflag_f32_e32 v1, v1
	v_mul_f32_e32 v1, 0x4f7ffffe, v1
	s_delay_alu instid0(VALU_DEP_1) | instskip(SKIP_1) | instid1(VALU_DEP_1)
	v_cvt_u32_f32_e32 v1, v1
	s_wait_alu 0xfffe
	v_mul_lo_u32 v2, s25, v1
	s_delay_alu instid0(VALU_DEP_1) | instskip(NEXT) | instid1(VALU_DEP_1)
	v_mul_hi_u32 v2, v1, v2
	v_add_nc_u32_e32 v1, v1, v2
	s_delay_alu instid0(VALU_DEP_1) | instskip(NEXT) | instid1(VALU_DEP_1)
	v_mul_hi_u32 v1, v0, v1
	v_mul_lo_u32 v2, v1, s28
	v_add_nc_u32_e32 v3, 1, v1
	s_delay_alu instid0(VALU_DEP_2) | instskip(NEXT) | instid1(VALU_DEP_1)
	v_sub_nc_u32_e32 v2, v0, v2
	v_subrev_nc_u32_e32 v5, s28, v2
	v_cmp_le_u32_e32 vcc_lo, s28, v2
	s_wait_alu 0xfffd
	s_delay_alu instid0(VALU_DEP_2) | instskip(NEXT) | instid1(VALU_DEP_1)
	v_dual_cndmask_b32 v2, v2, v5 :: v_dual_cndmask_b32 v1, v1, v3
	v_cmp_le_u32_e32 vcc_lo, s28, v2
	s_delay_alu instid0(VALU_DEP_2) | instskip(SKIP_1) | instid1(VALU_DEP_1)
	v_add_nc_u32_e32 v3, 1, v1
	s_wait_alu 0xfffd
	v_dual_cndmask_b32 v2, v1, v3 :: v_dual_mov_b32 v3, v4
.LBB29_24:                              ;   in Loop: Header=BB29_20 Depth=2
	s_wait_alu 0xfffe
	s_or_b32 exec_lo, exec_lo, s2
	s_add_co_i32 s30, s22, -1
	s_mov_b32 s31, s23
	s_add_nc_u64 s[40:41], s[0:1], s[40:41]
	s_wait_alu 0xfffe
	s_lshl_b64 s[38:39], s[30:31], 2
                                        ; implicit-def: $vgpr11_vgpr12
	s_mov_b32 s2, exec_lo
	s_wait_alu 0xfffe
	s_add_nc_u64 s[36:37], s[12:13], s[38:39]
	s_clause 0x2
	s_load_b32 s30, s[36:37], 0x8
	s_load_b32 s25, s[34:35], 0x6c
	;; [unrolled: 1-line block ×3, first 2 shown]
	s_wait_kmcnt 0x0
	s_ashr_i32 s31, s30, 31
	s_wait_alu 0xfffe
	v_or_b32_e32 v5, s31, v3
	s_delay_alu instid0(VALU_DEP_1)
	v_cmpx_ne_u64_e32 0, v[4:5]
	s_xor_b32 s29, exec_lo, s2
	s_cbranch_execz .LBB29_26
; %bb.25:                               ;   in Loop: Header=BB29_20 Depth=2
	s_ashr_i32 s34, s31, 31
	s_mov_b32 s53, s23
	s_wait_alu 0xfffe
	s_mov_b32 s35, s34
	s_mov_b32 s57, s23
	s_wait_alu 0xfffe
	s_add_nc_u64 s[40:41], s[30:31], s[34:35]
	v_ashrrev_i32_e32 v1, 31, v3
	s_wait_alu 0xfffe
	s_xor_b64 s[40:41], s[40:41], s[34:35]
	s_wait_alu 0xfffe
	s_cvt_f32_u32 s2, s40
	s_cvt_f32_u32 s31, s41
	s_sub_nc_u64 s[44:45], 0, s[40:41]
	v_add_co_u32 v5, vcc_lo, v2, v1
	s_wait_alu 0xfffe
	s_fmamk_f32 s2, s31, 0x4f800000, s2
	s_wait_alu 0xfffd
	v_add_co_ci_u32_e64 v3, null, v3, v1, vcc_lo
	v_xor_b32_e32 v5, v5, v1
	s_wait_alu 0xfffe
	v_s_rcp_f32 s2, s2
	s_delay_alu instid0(VALU_DEP_2) | instskip(SKIP_1) | instid1(TRANS32_DEP_1)
	v_xor_b32_e32 v3, v3, v1
	v_xor_b32_e32 v1, s34, v1
	s_mul_f32 s2, s2, 0x5f7ffffc
	s_wait_alu 0xfffe
	s_delay_alu instid0(SALU_CYCLE_2) | instskip(SKIP_1) | instid1(SALU_CYCLE_2)
	s_mul_f32 s31, s2, 0x2f800000
	s_wait_alu 0xfffe
	s_trunc_f32 s31, s31
	s_wait_alu 0xfffe
	s_delay_alu instid0(SALU_CYCLE_2) | instskip(SKIP_2) | instid1(SALU_CYCLE_1)
	s_fmamk_f32 s2, s31, 0xcf800000, s2
	s_cvt_u32_f32 s43, s31
	s_wait_alu 0xfffe
	s_cvt_u32_f32 s42, s2
	s_wait_alu 0xfffe
	s_delay_alu instid0(SALU_CYCLE_2) | instskip(NEXT) | instid1(SALU_CYCLE_1)
	s_mul_u64 s[54:55], s[44:45], s[42:43]
	s_mul_hi_u32 s59, s42, s55
	s_mul_i32 s58, s42, s55
	s_mul_hi_u32 s52, s42, s54
	s_mul_i32 s31, s43, s54
	s_wait_alu 0xfffe
	s_add_nc_u64 s[52:53], s[52:53], s[58:59]
	s_mul_hi_u32 s2, s43, s54
	s_mul_hi_u32 s35, s43, s55
	s_wait_alu 0xfffe
	s_add_co_u32 s31, s52, s31
	s_add_co_ci_u32 s56, s53, s2
	s_mul_i32 s54, s43, s55
	s_add_co_ci_u32 s55, s35, 0
	s_delay_alu instid0(SALU_CYCLE_1)
	s_add_nc_u64 s[52:53], s[56:57], s[54:55]
	s_mov_b32 s55, s23
	s_wait_alu 0xfffe
	s_add_co_u32 s42, s42, s52
	s_cselect_b32 s2, -1, 0
	s_wait_alu 0xfffe
	s_cmp_lg_u32 s2, 0
	s_add_co_ci_u32 s43, s43, s53
	s_mov_b32 s53, s23
	s_wait_alu 0xfffe
	s_mul_u64 s[44:45], s[44:45], s[42:43]
	s_wait_alu 0xfffe
	s_mul_hi_u32 s57, s42, s45
	s_mul_i32 s56, s42, s45
	s_mul_hi_u32 s54, s42, s44
	s_mul_i32 s31, s43, s44
	s_add_nc_u64 s[54:55], s[54:55], s[56:57]
	s_mul_hi_u32 s2, s43, s44
	s_mul_hi_u32 s35, s43, s45
	s_wait_alu 0xfffe
	s_add_co_u32 s31, s54, s31
	s_add_co_ci_u32 s52, s55, s2
	s_mul_i32 s44, s43, s45
	s_add_co_ci_u32 s45, s35, 0
	s_wait_alu 0xfffe
	s_add_nc_u64 s[44:45], s[52:53], s[44:45]
	s_wait_alu 0xfffe
	s_add_co_u32 s2, s42, s44
	s_cselect_b32 s31, -1, 0
	s_wait_alu 0xfffe
	v_mul_hi_u32 v9, v5, s2
	s_cmp_lg_u32 s31, 0
	v_mad_co_u64_u32 v[13:14], null, v3, s2, 0
	s_add_co_ci_u32 s31, s43, s45
	s_wait_alu 0xfffe
	v_mad_co_u64_u32 v[11:12], null, v5, s31, 0
	v_mad_co_u64_u32 v[15:16], null, v3, s31, 0
	s_delay_alu instid0(VALU_DEP_2) | instskip(SKIP_1) | instid1(VALU_DEP_3)
	v_add_co_u32 v9, vcc_lo, v9, v11
	s_wait_alu 0xfffd
	v_add_co_ci_u32_e64 v11, null, 0, v12, vcc_lo
	s_delay_alu instid0(VALU_DEP_2) | instskip(SKIP_1) | instid1(VALU_DEP_2)
	v_add_co_u32 v9, vcc_lo, v9, v13
	s_wait_alu 0xfffd
	v_add_co_ci_u32_e32 v9, vcc_lo, v11, v14, vcc_lo
	s_wait_alu 0xfffd
	v_add_co_ci_u32_e32 v11, vcc_lo, 0, v16, vcc_lo
	s_delay_alu instid0(VALU_DEP_2) | instskip(SKIP_1) | instid1(VALU_DEP_2)
	v_add_co_u32 v9, vcc_lo, v9, v15
	s_wait_alu 0xfffd
	v_add_co_ci_u32_e64 v13, null, 0, v11, vcc_lo
	s_delay_alu instid0(VALU_DEP_2) | instskip(SKIP_1) | instid1(VALU_DEP_3)
	v_mul_lo_u32 v14, s41, v9
	v_mad_co_u64_u32 v[11:12], null, s40, v9, 0
	v_mul_lo_u32 v15, s40, v13
	s_delay_alu instid0(VALU_DEP_2) | instskip(NEXT) | instid1(VALU_DEP_2)
	v_sub_co_u32 v5, vcc_lo, v5, v11
	v_add3_u32 v12, v12, v15, v14
	s_delay_alu instid0(VALU_DEP_1) | instskip(SKIP_2) | instid1(VALU_DEP_2)
	v_sub_nc_u32_e32 v14, v3, v12
	s_wait_alu 0xfffd
	v_sub_co_ci_u32_e64 v3, null, v3, v12, vcc_lo
	v_subrev_co_ci_u32_e64 v11, null, s41, v14, vcc_lo
	v_add_co_u32 v14, s2, v9, 2
	s_wait_alu 0xf1ff
	v_add_co_ci_u32_e64 v15, null, 0, v13, s2
	v_sub_co_u32 v16, s2, v5, s40
	s_wait_alu 0xf1ff
	v_subrev_co_ci_u32_e64 v11, null, 0, v11, s2
	s_delay_alu instid0(VALU_DEP_2) | instskip(SKIP_2) | instid1(VALU_DEP_3)
	v_cmp_le_u32_e32 vcc_lo, s40, v16
	s_wait_alu 0xfffd
	v_cndmask_b32_e64 v12, 0, -1, vcc_lo
	v_cmp_le_u32_e32 vcc_lo, s41, v11
	s_wait_alu 0xfffd
	v_cndmask_b32_e64 v16, 0, -1, vcc_lo
	;; [unrolled: 3-line block ×4, first 2 shown]
	v_cmp_eq_u32_e32 vcc_lo, s41, v11
	s_wait_alu 0xfffd
	v_cndmask_b32_e32 v11, v16, v12, vcc_lo
	v_add_co_u32 v12, vcc_lo, v9, 1
	s_wait_alu 0xfffd
	v_add_co_ci_u32_e64 v16, null, 0, v13, vcc_lo
	v_cmp_eq_u32_e32 vcc_lo, s41, v3
	s_wait_alu 0xfffd
	v_cndmask_b32_e32 v3, v21, v5, vcc_lo
	v_cmp_ne_u32_e32 vcc_lo, 0, v11
	s_delay_alu instid0(VALU_DEP_2) | instskip(SKIP_4) | instid1(VALU_DEP_2)
	v_cmp_ne_u32_e64 s2, 0, v3
	s_wait_alu 0xfffd
	v_cndmask_b32_e32 v3, v12, v14, vcc_lo
	v_cndmask_b32_e32 v5, v16, v15, vcc_lo
	s_wait_alu 0xf1ff
	v_cndmask_b32_e64 v3, v9, v3, s2
	s_delay_alu instid0(VALU_DEP_2) | instskip(NEXT) | instid1(VALU_DEP_2)
	v_cndmask_b32_e64 v5, v13, v5, s2
	v_xor_b32_e32 v3, v3, v1
	s_delay_alu instid0(VALU_DEP_2) | instskip(NEXT) | instid1(VALU_DEP_2)
	v_xor_b32_e32 v5, v5, v1
	v_sub_co_u32 v11, vcc_lo, v3, v1
	s_wait_alu 0xfffd
	s_delay_alu instid0(VALU_DEP_2)
	v_sub_co_ci_u32_e64 v12, null, v5, v1, vcc_lo
.LBB29_26:                              ;   in Loop: Header=BB29_20 Depth=2
	s_wait_alu 0xfffe
	s_and_not1_saveexec_b32 s2, s29
	s_cbranch_execz .LBB29_28
; %bb.27:                               ;   in Loop: Header=BB29_20 Depth=2
	v_cvt_f32_u32_e32 v1, s30
	s_sub_co_i32 s29, 0, s30
	v_mov_b32_e32 v12, v4
	s_delay_alu instid0(VALU_DEP_2) | instskip(NEXT) | instid1(TRANS32_DEP_1)
	v_rcp_iflag_f32_e32 v1, v1
	v_mul_f32_e32 v1, 0x4f7ffffe, v1
	s_delay_alu instid0(VALU_DEP_1) | instskip(SKIP_1) | instid1(VALU_DEP_1)
	v_cvt_u32_f32_e32 v1, v1
	s_wait_alu 0xfffe
	v_mul_lo_u32 v3, s29, v1
	s_delay_alu instid0(VALU_DEP_1) | instskip(NEXT) | instid1(VALU_DEP_1)
	v_mul_hi_u32 v3, v1, v3
	v_add_nc_u32_e32 v1, v1, v3
	s_delay_alu instid0(VALU_DEP_1) | instskip(NEXT) | instid1(VALU_DEP_1)
	v_mul_hi_u32 v1, v2, v1
	v_mul_lo_u32 v3, v1, s30
	v_add_nc_u32_e32 v5, 1, v1
	s_delay_alu instid0(VALU_DEP_2) | instskip(NEXT) | instid1(VALU_DEP_1)
	v_sub_nc_u32_e32 v3, v2, v3
	v_subrev_nc_u32_e32 v9, s30, v3
	v_cmp_le_u32_e32 vcc_lo, s30, v3
	s_wait_alu 0xfffd
	s_delay_alu instid0(VALU_DEP_2) | instskip(SKIP_1) | instid1(VALU_DEP_2)
	v_cndmask_b32_e32 v3, v3, v9, vcc_lo
	v_cndmask_b32_e32 v1, v1, v5, vcc_lo
	v_cmp_le_u32_e32 vcc_lo, s30, v3
	s_delay_alu instid0(VALU_DEP_2) | instskip(SKIP_1) | instid1(VALU_DEP_1)
	v_add_nc_u32_e32 v5, 1, v1
	s_wait_alu 0xfffd
	v_cndmask_b32_e32 v11, v1, v5, vcc_lo
.LBB29_28:                              ;   in Loop: Header=BB29_20 Depth=2
	s_wait_alu 0xfffe
	s_or_b32 exec_lo, exec_lo, s2
	s_add_co_i32 s34, s22, -2
	s_mov_b32 s35, s23
	s_add_nc_u64 s[38:39], s[0:1], s[38:39]
	s_wait_alu 0xfffe
	s_lshl_b64 s[44:45], s[34:35], 2
                                        ; implicit-def: $vgpr13_vgpr14
	s_mov_b32 s2, exec_lo
	s_wait_alu 0xfffe
	s_add_nc_u64 s[42:43], s[12:13], s[44:45]
	s_clause 0x2
	s_load_b32 s34, s[42:43], 0x8
	s_load_b32 s29, s[36:37], 0x6c
	;; [unrolled: 1-line block ×3, first 2 shown]
	s_wait_kmcnt 0x0
	s_ashr_i32 s35, s34, 31
	s_wait_alu 0xfffe
	v_or_b32_e32 v5, s35, v12
	s_delay_alu instid0(VALU_DEP_1)
	v_cmpx_ne_u64_e32 0, v[4:5]
	s_xor_b32 s40, exec_lo, s2
	s_cbranch_execz .LBB29_30
; %bb.29:                               ;   in Loop: Header=BB29_20 Depth=2
	s_ashr_i32 s36, s35, 31
	s_mov_b32 s57, s23
	s_wait_alu 0xfffe
	s_mov_b32 s37, s36
	s_mov_b32 s61, s23
	s_wait_alu 0xfffe
	s_add_nc_u64 s[38:39], s[34:35], s[36:37]
	v_ashrrev_i32_e32 v1, 31, v12
	s_wait_alu 0xfffe
	s_xor_b64 s[38:39], s[38:39], s[36:37]
	s_wait_alu 0xfffe
	s_cvt_f32_u32 s2, s38
	s_cvt_f32_u32 s35, s39
	s_sub_nc_u64 s[54:55], 0, s[38:39]
	v_add_co_u32 v3, vcc_lo, v11, v1
	s_wait_alu 0xfffe
	s_fmamk_f32 s2, s35, 0x4f800000, s2
	s_wait_alu 0xfffd
	v_add_co_ci_u32_e64 v5, null, v12, v1, vcc_lo
	v_xor_b32_e32 v3, v3, v1
	s_wait_alu 0xfffe
	v_s_rcp_f32 s2, s2
	s_delay_alu instid0(VALU_DEP_2) | instskip(SKIP_1) | instid1(TRANS32_DEP_1)
	v_xor_b32_e32 v5, v5, v1
	v_xor_b32_e32 v1, s36, v1
	s_mul_f32 s2, s2, 0x5f7ffffc
	s_wait_alu 0xfffe
	s_delay_alu instid0(SALU_CYCLE_2) | instskip(SKIP_1) | instid1(SALU_CYCLE_2)
	s_mul_f32 s35, s2, 0x2f800000
	s_wait_alu 0xfffe
	s_trunc_f32 s35, s35
	s_wait_alu 0xfffe
	s_delay_alu instid0(SALU_CYCLE_2) | instskip(SKIP_2) | instid1(SALU_CYCLE_1)
	s_fmamk_f32 s2, s35, 0xcf800000, s2
	s_cvt_u32_f32 s53, s35
	s_wait_alu 0xfffe
	s_cvt_u32_f32 s52, s2
	s_wait_alu 0xfffe
	s_delay_alu instid0(SALU_CYCLE_2) | instskip(NEXT) | instid1(SALU_CYCLE_1)
	s_mul_u64 s[58:59], s[54:55], s[52:53]
	s_mul_hi_u32 s63, s52, s59
	s_mul_i32 s62, s52, s59
	s_mul_hi_u32 s56, s52, s58
	s_mul_i32 s35, s53, s58
	s_add_nc_u64 s[56:57], s[56:57], s[62:63]
	s_mul_hi_u32 s2, s53, s58
	s_mul_hi_u32 s37, s53, s59
	s_wait_alu 0xfffe
	s_add_co_u32 s35, s56, s35
	s_add_co_ci_u32 s60, s57, s2
	s_mul_i32 s58, s53, s59
	s_add_co_ci_u32 s59, s37, 0
	s_delay_alu instid0(SALU_CYCLE_1)
	s_add_nc_u64 s[56:57], s[60:61], s[58:59]
	s_mov_b32 s59, s23
	s_add_co_u32 s52, s52, s56
	s_cselect_b32 s2, -1, 0
	s_wait_alu 0xfffe
	s_cmp_lg_u32 s2, 0
	s_add_co_ci_u32 s53, s53, s57
	s_mov_b32 s57, s23
	s_wait_alu 0xfffe
	s_mul_u64 s[54:55], s[54:55], s[52:53]
	s_delay_alu instid0(SALU_CYCLE_1)
	s_mul_hi_u32 s61, s52, s55
	s_mul_i32 s60, s52, s55
	s_mul_hi_u32 s58, s52, s54
	s_mul_i32 s35, s53, s54
	s_add_nc_u64 s[58:59], s[58:59], s[60:61]
	s_mul_hi_u32 s2, s53, s54
	s_mul_hi_u32 s37, s53, s55
	s_wait_alu 0xfffe
	s_add_co_u32 s35, s58, s35
	s_add_co_ci_u32 s56, s59, s2
	s_mul_i32 s54, s53, s55
	s_add_co_ci_u32 s55, s37, 0
	s_delay_alu instid0(SALU_CYCLE_1) | instskip(NEXT) | instid1(SALU_CYCLE_1)
	s_add_nc_u64 s[54:55], s[56:57], s[54:55]
	s_add_co_u32 s2, s52, s54
	s_cselect_b32 s35, -1, 0
	s_wait_alu 0xfffe
	v_mul_hi_u32 v9, v3, s2
	s_cmp_lg_u32 s35, 0
	v_mad_co_u64_u32 v[14:15], null, v5, s2, 0
	s_add_co_ci_u32 s35, s53, s55
	s_wait_alu 0xfffe
	v_mad_co_u64_u32 v[12:13], null, v3, s35, 0
	v_mad_co_u64_u32 v[21:22], null, v5, s35, 0
	s_delay_alu instid0(VALU_DEP_2) | instskip(SKIP_1) | instid1(VALU_DEP_3)
	v_add_co_u32 v9, vcc_lo, v9, v12
	s_wait_alu 0xfffd
	v_add_co_ci_u32_e64 v12, null, 0, v13, vcc_lo
	s_delay_alu instid0(VALU_DEP_2) | instskip(SKIP_1) | instid1(VALU_DEP_2)
	v_add_co_u32 v9, vcc_lo, v9, v14
	s_wait_alu 0xfffd
	v_add_co_ci_u32_e32 v9, vcc_lo, v12, v15, vcc_lo
	s_wait_alu 0xfffd
	v_add_co_ci_u32_e32 v12, vcc_lo, 0, v22, vcc_lo
	s_delay_alu instid0(VALU_DEP_2) | instskip(SKIP_1) | instid1(VALU_DEP_2)
	v_add_co_u32 v9, vcc_lo, v9, v21
	s_wait_alu 0xfffd
	v_add_co_ci_u32_e64 v14, null, 0, v12, vcc_lo
	s_delay_alu instid0(VALU_DEP_2) | instskip(SKIP_1) | instid1(VALU_DEP_3)
	v_mul_lo_u32 v15, s39, v9
	v_mad_co_u64_u32 v[12:13], null, s38, v9, 0
	v_mul_lo_u32 v16, s38, v14
	s_delay_alu instid0(VALU_DEP_2) | instskip(NEXT) | instid1(VALU_DEP_2)
	v_sub_co_u32 v3, vcc_lo, v3, v12
	v_add3_u32 v13, v13, v16, v15
	s_delay_alu instid0(VALU_DEP_1) | instskip(SKIP_2) | instid1(VALU_DEP_2)
	v_sub_nc_u32_e32 v15, v5, v13
	s_wait_alu 0xfffd
	v_sub_co_ci_u32_e64 v5, null, v5, v13, vcc_lo
	v_subrev_co_ci_u32_e64 v12, null, s39, v15, vcc_lo
	v_add_co_u32 v15, s2, v9, 2
	s_wait_alu 0xf1ff
	v_add_co_ci_u32_e64 v16, null, 0, v14, s2
	v_sub_co_u32 v21, s2, v3, s38
	s_wait_alu 0xf1ff
	v_subrev_co_ci_u32_e64 v12, null, 0, v12, s2
	s_delay_alu instid0(VALU_DEP_2) | instskip(SKIP_2) | instid1(VALU_DEP_3)
	v_cmp_le_u32_e32 vcc_lo, s38, v21
	s_wait_alu 0xfffd
	v_cndmask_b32_e64 v13, 0, -1, vcc_lo
	v_cmp_le_u32_e32 vcc_lo, s39, v12
	s_wait_alu 0xfffd
	v_cndmask_b32_e64 v21, 0, -1, vcc_lo
	;; [unrolled: 3-line block ×4, first 2 shown]
	v_cmp_eq_u32_e32 vcc_lo, s39, v12
	s_wait_alu 0xfffd
	v_cndmask_b32_e32 v12, v21, v13, vcc_lo
	v_add_co_u32 v13, vcc_lo, v9, 1
	s_wait_alu 0xfffd
	v_add_co_ci_u32_e64 v21, null, 0, v14, vcc_lo
	v_cmp_eq_u32_e32 vcc_lo, s39, v5
	s_wait_alu 0xfffd
	v_cndmask_b32_e32 v3, v22, v3, vcc_lo
	v_cmp_ne_u32_e32 vcc_lo, 0, v12
	s_delay_alu instid0(VALU_DEP_2) | instskip(SKIP_4) | instid1(VALU_DEP_2)
	v_cmp_ne_u32_e64 s2, 0, v3
	s_wait_alu 0xfffd
	v_cndmask_b32_e32 v3, v13, v15, vcc_lo
	v_cndmask_b32_e32 v5, v21, v16, vcc_lo
	s_wait_alu 0xf1ff
	v_cndmask_b32_e64 v3, v9, v3, s2
	s_delay_alu instid0(VALU_DEP_2) | instskip(NEXT) | instid1(VALU_DEP_2)
	v_cndmask_b32_e64 v5, v14, v5, s2
	v_xor_b32_e32 v3, v3, v1
	s_delay_alu instid0(VALU_DEP_2) | instskip(NEXT) | instid1(VALU_DEP_2)
	v_xor_b32_e32 v5, v5, v1
	v_sub_co_u32 v13, vcc_lo, v3, v1
	s_wait_alu 0xfffd
	s_delay_alu instid0(VALU_DEP_2)
	v_sub_co_ci_u32_e64 v14, null, v5, v1, vcc_lo
.LBB29_30:                              ;   in Loop: Header=BB29_20 Depth=2
	s_wait_alu 0xfffe
	s_and_not1_saveexec_b32 s2, s40
	s_cbranch_execz .LBB29_32
; %bb.31:                               ;   in Loop: Header=BB29_20 Depth=2
	v_cvt_f32_u32_e32 v1, s34
	s_sub_co_i32 s35, 0, s34
	v_mov_b32_e32 v14, v4
	s_delay_alu instid0(VALU_DEP_2) | instskip(NEXT) | instid1(TRANS32_DEP_1)
	v_rcp_iflag_f32_e32 v1, v1
	v_mul_f32_e32 v1, 0x4f7ffffe, v1
	s_delay_alu instid0(VALU_DEP_1) | instskip(SKIP_1) | instid1(VALU_DEP_1)
	v_cvt_u32_f32_e32 v1, v1
	s_wait_alu 0xfffe
	v_mul_lo_u32 v3, s35, v1
	s_delay_alu instid0(VALU_DEP_1) | instskip(NEXT) | instid1(VALU_DEP_1)
	v_mul_hi_u32 v3, v1, v3
	v_add_nc_u32_e32 v1, v1, v3
	s_delay_alu instid0(VALU_DEP_1) | instskip(NEXT) | instid1(VALU_DEP_1)
	v_mul_hi_u32 v1, v11, v1
	v_mul_lo_u32 v3, v1, s34
	v_add_nc_u32_e32 v5, 1, v1
	s_delay_alu instid0(VALU_DEP_2) | instskip(NEXT) | instid1(VALU_DEP_1)
	v_sub_nc_u32_e32 v3, v11, v3
	v_subrev_nc_u32_e32 v9, s34, v3
	v_cmp_le_u32_e32 vcc_lo, s34, v3
	s_wait_alu 0xfffd
	s_delay_alu instid0(VALU_DEP_2) | instskip(SKIP_1) | instid1(VALU_DEP_2)
	v_cndmask_b32_e32 v3, v3, v9, vcc_lo
	v_cndmask_b32_e32 v1, v1, v5, vcc_lo
	v_cmp_le_u32_e32 vcc_lo, s34, v3
	s_delay_alu instid0(VALU_DEP_2) | instskip(SKIP_1) | instid1(VALU_DEP_1)
	v_add_nc_u32_e32 v5, 1, v1
	s_wait_alu 0xfffd
	v_cndmask_b32_e32 v13, v1, v5, vcc_lo
.LBB29_32:                              ;   in Loop: Header=BB29_20 Depth=2
	s_wait_alu 0xfffe
	s_or_b32 exec_lo, exec_lo, s2
	s_add_co_i32 s36, s22, -3
	s_mov_b32 s37, s23
	s_add_nc_u64 s[44:45], s[0:1], s[44:45]
	s_wait_alu 0xfffe
	s_lshl_b64 s[40:41], s[36:37], 2
                                        ; implicit-def: $vgpr15_vgpr16
	s_mov_b32 s2, exec_lo
	s_wait_alu 0xfffe
	s_add_nc_u64 s[38:39], s[12:13], s[40:41]
	s_clause 0x2
	s_load_b32 s36, s[38:39], 0x8
	s_load_b32 s35, s[42:43], 0x6c
	;; [unrolled: 1-line block ×3, first 2 shown]
	s_wait_kmcnt 0x0
	s_ashr_i32 s37, s36, 31
	s_wait_alu 0xfffe
	v_or_b32_e32 v5, s37, v14
	s_delay_alu instid0(VALU_DEP_1)
	v_cmpx_ne_u64_e32 0, v[4:5]
	s_xor_b32 s53, exec_lo, s2
	s_cbranch_execz .LBB29_34
; %bb.33:                               ;   in Loop: Header=BB29_20 Depth=2
	s_ashr_i32 s42, s37, 31
	s_mov_b32 s59, s23
	s_wait_alu 0xfffe
	s_mov_b32 s43, s42
	s_mov_b32 s63, s23
	s_wait_alu 0xfffe
	s_add_nc_u64 s[44:45], s[36:37], s[42:43]
	v_ashrrev_i32_e32 v1, 31, v14
	s_wait_alu 0xfffe
	s_xor_b64 s[44:45], s[44:45], s[42:43]
	s_wait_alu 0xfffe
	s_cvt_f32_u32 s2, s44
	s_cvt_f32_u32 s37, s45
	s_sub_nc_u64 s[56:57], 0, s[44:45]
	v_add_co_u32 v3, vcc_lo, v13, v1
	s_wait_alu 0xfffe
	s_fmamk_f32 s2, s37, 0x4f800000, s2
	s_wait_alu 0xfffd
	v_add_co_ci_u32_e64 v5, null, v14, v1, vcc_lo
	v_xor_b32_e32 v3, v3, v1
	s_wait_alu 0xfffe
	v_s_rcp_f32 s2, s2
	s_delay_alu instid0(VALU_DEP_2) | instskip(SKIP_1) | instid1(TRANS32_DEP_1)
	v_xor_b32_e32 v5, v5, v1
	v_xor_b32_e32 v1, s42, v1
	s_mul_f32 s2, s2, 0x5f7ffffc
	s_wait_alu 0xfffe
	s_delay_alu instid0(SALU_CYCLE_2) | instskip(SKIP_1) | instid1(SALU_CYCLE_2)
	s_mul_f32 s37, s2, 0x2f800000
	s_wait_alu 0xfffe
	s_trunc_f32 s37, s37
	s_wait_alu 0xfffe
	s_delay_alu instid0(SALU_CYCLE_2) | instskip(SKIP_2) | instid1(SALU_CYCLE_1)
	s_fmamk_f32 s2, s37, 0xcf800000, s2
	s_cvt_u32_f32 s55, s37
	s_wait_alu 0xfffe
	s_cvt_u32_f32 s54, s2
	s_delay_alu instid0(SALU_CYCLE_3) | instskip(NEXT) | instid1(SALU_CYCLE_1)
	s_mul_u64 s[60:61], s[56:57], s[54:55]
	s_mul_hi_u32 s65, s54, s61
	s_mul_i32 s64, s54, s61
	s_mul_hi_u32 s58, s54, s60
	s_mul_i32 s37, s55, s60
	s_add_nc_u64 s[58:59], s[58:59], s[64:65]
	s_mul_hi_u32 s2, s55, s60
	s_mul_hi_u32 s43, s55, s61
	s_wait_alu 0xfffe
	s_add_co_u32 s37, s58, s37
	s_add_co_ci_u32 s62, s59, s2
	s_mul_i32 s60, s55, s61
	s_add_co_ci_u32 s61, s43, 0
	s_delay_alu instid0(SALU_CYCLE_1)
	s_add_nc_u64 s[58:59], s[62:63], s[60:61]
	s_mov_b32 s61, s23
	s_add_co_u32 s54, s54, s58
	s_cselect_b32 s2, -1, 0
	s_wait_alu 0xfffe
	s_cmp_lg_u32 s2, 0
	s_add_co_ci_u32 s55, s55, s59
	s_mov_b32 s59, s23
	s_mul_u64 s[56:57], s[56:57], s[54:55]
	s_delay_alu instid0(SALU_CYCLE_1)
	s_mul_hi_u32 s63, s54, s57
	s_mul_i32 s62, s54, s57
	s_mul_hi_u32 s60, s54, s56
	s_mul_i32 s37, s55, s56
	s_add_nc_u64 s[60:61], s[60:61], s[62:63]
	s_mul_hi_u32 s2, s55, s56
	s_mul_hi_u32 s43, s55, s57
	s_wait_alu 0xfffe
	s_add_co_u32 s37, s60, s37
	s_add_co_ci_u32 s58, s61, s2
	s_mul_i32 s56, s55, s57
	s_add_co_ci_u32 s57, s43, 0
	s_delay_alu instid0(SALU_CYCLE_1) | instskip(NEXT) | instid1(SALU_CYCLE_1)
	s_add_nc_u64 s[56:57], s[58:59], s[56:57]
	s_add_co_u32 s2, s54, s56
	s_cselect_b32 s37, -1, 0
	s_wait_alu 0xfffe
	v_mul_hi_u32 v9, v3, s2
	s_cmp_lg_u32 s37, 0
	v_mad_co_u64_u32 v[21:22], null, v5, s2, 0
	s_add_co_ci_u32 s37, s55, s57
	s_wait_alu 0xfffe
	v_mad_co_u64_u32 v[14:15], null, v3, s37, 0
	v_mad_co_u64_u32 v[23:24], null, v5, s37, 0
	s_delay_alu instid0(VALU_DEP_2) | instskip(SKIP_1) | instid1(VALU_DEP_3)
	v_add_co_u32 v9, vcc_lo, v9, v14
	s_wait_alu 0xfffd
	v_add_co_ci_u32_e64 v12, null, 0, v15, vcc_lo
	s_delay_alu instid0(VALU_DEP_2) | instskip(SKIP_1) | instid1(VALU_DEP_2)
	v_add_co_u32 v9, vcc_lo, v9, v21
	s_wait_alu 0xfffd
	v_add_co_ci_u32_e32 v9, vcc_lo, v12, v22, vcc_lo
	s_wait_alu 0xfffd
	v_add_co_ci_u32_e32 v12, vcc_lo, 0, v24, vcc_lo
	s_delay_alu instid0(VALU_DEP_2) | instskip(SKIP_1) | instid1(VALU_DEP_2)
	v_add_co_u32 v9, vcc_lo, v9, v23
	s_wait_alu 0xfffd
	v_add_co_ci_u32_e64 v12, null, 0, v12, vcc_lo
	s_delay_alu instid0(VALU_DEP_2) | instskip(SKIP_1) | instid1(VALU_DEP_3)
	v_mul_lo_u32 v16, s45, v9
	v_mad_co_u64_u32 v[14:15], null, s44, v9, 0
	v_mul_lo_u32 v21, s44, v12
	s_delay_alu instid0(VALU_DEP_2) | instskip(NEXT) | instid1(VALU_DEP_2)
	v_sub_co_u32 v3, vcc_lo, v3, v14
	v_add3_u32 v15, v15, v21, v16
	s_delay_alu instid0(VALU_DEP_1) | instskip(SKIP_2) | instid1(VALU_DEP_2)
	v_sub_nc_u32_e32 v16, v5, v15
	s_wait_alu 0xfffd
	v_sub_co_ci_u32_e64 v5, null, v5, v15, vcc_lo
	v_subrev_co_ci_u32_e64 v14, null, s45, v16, vcc_lo
	v_add_co_u32 v16, s2, v9, 2
	s_wait_alu 0xf1ff
	v_add_co_ci_u32_e64 v21, null, 0, v12, s2
	v_sub_co_u32 v22, s2, v3, s44
	s_wait_alu 0xf1ff
	v_subrev_co_ci_u32_e64 v14, null, 0, v14, s2
	s_delay_alu instid0(VALU_DEP_2) | instskip(SKIP_2) | instid1(VALU_DEP_3)
	v_cmp_le_u32_e32 vcc_lo, s44, v22
	s_wait_alu 0xfffd
	v_cndmask_b32_e64 v15, 0, -1, vcc_lo
	v_cmp_le_u32_e32 vcc_lo, s45, v14
	s_wait_alu 0xfffd
	v_cndmask_b32_e64 v22, 0, -1, vcc_lo
	;; [unrolled: 3-line block ×4, first 2 shown]
	v_cmp_eq_u32_e32 vcc_lo, s45, v14
	s_wait_alu 0xfffd
	v_cndmask_b32_e32 v14, v22, v15, vcc_lo
	v_add_co_u32 v15, vcc_lo, v9, 1
	s_wait_alu 0xfffd
	v_add_co_ci_u32_e64 v22, null, 0, v12, vcc_lo
	v_cmp_eq_u32_e32 vcc_lo, s45, v5
	s_wait_alu 0xfffd
	v_cndmask_b32_e32 v3, v23, v3, vcc_lo
	v_cmp_ne_u32_e32 vcc_lo, 0, v14
	s_delay_alu instid0(VALU_DEP_2) | instskip(SKIP_4) | instid1(VALU_DEP_2)
	v_cmp_ne_u32_e64 s2, 0, v3
	s_wait_alu 0xfffd
	v_cndmask_b32_e32 v3, v15, v16, vcc_lo
	v_cndmask_b32_e32 v5, v22, v21, vcc_lo
	s_wait_alu 0xf1ff
	v_cndmask_b32_e64 v3, v9, v3, s2
	s_delay_alu instid0(VALU_DEP_2) | instskip(NEXT) | instid1(VALU_DEP_2)
	v_cndmask_b32_e64 v5, v12, v5, s2
	v_xor_b32_e32 v3, v3, v1
	s_delay_alu instid0(VALU_DEP_2) | instskip(NEXT) | instid1(VALU_DEP_2)
	v_xor_b32_e32 v5, v5, v1
	v_sub_co_u32 v15, vcc_lo, v3, v1
	s_wait_alu 0xfffd
	s_delay_alu instid0(VALU_DEP_2)
	v_sub_co_ci_u32_e64 v16, null, v5, v1, vcc_lo
.LBB29_34:                              ;   in Loop: Header=BB29_20 Depth=2
	s_wait_alu 0xfffe
	s_and_not1_saveexec_b32 s2, s53
	s_cbranch_execz .LBB29_36
; %bb.35:                               ;   in Loop: Header=BB29_20 Depth=2
	v_cvt_f32_u32_e32 v1, s36
	s_sub_co_i32 s37, 0, s36
	v_mov_b32_e32 v16, v4
	s_delay_alu instid0(VALU_DEP_2) | instskip(NEXT) | instid1(TRANS32_DEP_1)
	v_rcp_iflag_f32_e32 v1, v1
	v_mul_f32_e32 v1, 0x4f7ffffe, v1
	s_delay_alu instid0(VALU_DEP_1) | instskip(SKIP_1) | instid1(VALU_DEP_1)
	v_cvt_u32_f32_e32 v1, v1
	s_wait_alu 0xfffe
	v_mul_lo_u32 v3, s37, v1
	s_delay_alu instid0(VALU_DEP_1) | instskip(NEXT) | instid1(VALU_DEP_1)
	v_mul_hi_u32 v3, v1, v3
	v_add_nc_u32_e32 v1, v1, v3
	s_delay_alu instid0(VALU_DEP_1) | instskip(NEXT) | instid1(VALU_DEP_1)
	v_mul_hi_u32 v1, v13, v1
	v_mul_lo_u32 v3, v1, s36
	v_add_nc_u32_e32 v5, 1, v1
	s_delay_alu instid0(VALU_DEP_2) | instskip(NEXT) | instid1(VALU_DEP_1)
	v_sub_nc_u32_e32 v3, v13, v3
	v_subrev_nc_u32_e32 v9, s36, v3
	v_cmp_le_u32_e32 vcc_lo, s36, v3
	s_wait_alu 0xfffd
	s_delay_alu instid0(VALU_DEP_2) | instskip(SKIP_1) | instid1(VALU_DEP_2)
	v_cndmask_b32_e32 v3, v3, v9, vcc_lo
	v_cndmask_b32_e32 v1, v1, v5, vcc_lo
	v_cmp_le_u32_e32 vcc_lo, s36, v3
	s_delay_alu instid0(VALU_DEP_2) | instskip(SKIP_1) | instid1(VALU_DEP_1)
	v_add_nc_u32_e32 v5, 1, v1
	s_wait_alu 0xfffd
	v_cndmask_b32_e32 v15, v1, v5, vcc_lo
.LBB29_36:                              ;   in Loop: Header=BB29_20 Depth=2
	s_wait_alu 0xfffe
	s_or_b32 exec_lo, exec_lo, s2
	s_add_nc_u64 s[40:41], s[0:1], s[40:41]
	v_mul_lo_u32 v1, v2, s28
	s_clause 0x1
	s_load_b32 s2, s[38:39], 0x6c
	s_load_b32 s28, s[40:41], 0x6c
	v_mul_lo_u32 v3, v11, s30
	v_mul_lo_u32 v5, v13, s34
	;; [unrolled: 1-line block ×3, first 2 shown]
	s_add_co_i32 s22, s22, -4
	s_wait_alu 0xfffe
	s_cmp_eq_u32 s22, -1
	v_sub_nc_u32_e32 v0, v0, v1
	s_delay_alu instid0(VALU_DEP_4) | instskip(NEXT) | instid1(VALU_DEP_4)
	v_sub_nc_u32_e32 v1, v2, v3
	v_sub_nc_u32_e32 v2, v11, v5
	s_delay_alu instid0(VALU_DEP_4) | instskip(NEXT) | instid1(VALU_DEP_4)
	v_sub_nc_u32_e32 v3, v13, v9
	v_mul_lo_u32 v5, s25, v0
	v_mul_lo_u32 v0, s27, v0
	;; [unrolled: 1-line block ×6, first 2 shown]
	s_wait_kmcnt 0x0
	v_mul_lo_u32 v12, s2, v3
	v_mul_lo_u32 v3, s28, v3
	v_add3_u32 v5, v5, v10, v9
	v_add3_u32 v0, v0, v8, v1
	s_delay_alu instid0(VALU_DEP_2) | instskip(NEXT) | instid1(VALU_DEP_2)
	v_add3_u32 v10, v11, v5, v12
	v_add3_u32 v8, v2, v0, v3
	s_cbranch_scc1 .LBB29_38
; %bb.37:                               ;   in Loop: Header=BB29_20 Depth=2
	v_dual_mov_b32 v0, v15 :: v_dual_mov_b32 v1, v16
	s_branch .LBB29_20
.LBB29_38:                              ;   in Loop: Header=BB29_3 Depth=1
	v_sub_nc_u32_e32 v0, v19, v20
	v_cmp_gt_i32_e32 vcc_lo, s3, v19
	v_mov_b32_e32 v2, 0
	v_mov_b32_e32 v3, 0
	s_delay_alu instid0(VALU_DEP_4) | instskip(NEXT) | instid1(VALU_DEP_1)
	v_ashrrev_i32_e32 v1, 31, v0
	v_cmp_ge_i64_e64 s2, s[4:5], v[0:1]
	v_mov_b32_e32 v0, 0
	v_mov_b32_e32 v1, 0
	s_and_b32 s2, s2, vcc_lo
	s_wait_alu 0xfffe
	s_and_saveexec_b32 s22, s2
	s_cbranch_execz .LBB29_40
; %bb.39:                               ;   in Loop: Header=BB29_3 Depth=1
	v_ashrrev_i32_e32 v11, 31, v10
	s_delay_alu instid0(VALU_DEP_1) | instskip(NEXT) | instid1(VALU_DEP_1)
	v_lshlrev_b64_e32 v[0:1], 4, v[10:11]
	v_add_co_u32 v0, s2, s10, v0
	s_wait_alu 0xf1ff
	s_delay_alu instid0(VALU_DEP_2)
	v_add_co_ci_u32_e64 v1, null, s11, v1, s2
	global_load_b128 v[0:3], v[0:1], off
.LBB29_40:                              ;   in Loop: Header=BB29_3 Depth=1
	s_wait_alu 0xfffe
	s_or_b32 exec_lo, exec_lo, s22
	s_and_saveexec_b32 s2, vcc_lo
	s_cbranch_execz .LBB29_2
; %bb.41:                               ;   in Loop: Header=BB29_3 Depth=1
	v_ashrrev_i32_e32 v9, 31, v8
	s_delay_alu instid0(VALU_DEP_1) | instskip(NEXT) | instid1(VALU_DEP_1)
	v_lshlrev_b64_e32 v[8:9], 4, v[8:9]
	v_add_co_u32 v8, vcc_lo, s20, v8
	s_wait_alu 0xfffd
	s_delay_alu instid0(VALU_DEP_2)
	v_add_co_ci_u32_e64 v9, null, s21, v9, vcc_lo
	s_wait_loadcnt 0x0
	global_store_b128 v[8:9], v[0:3], off
	s_branch .LBB29_2
.LBB29_42:
	s_endpgm
	.section	.rodata,"a",@progbits
	.p2align	6, 0x0
	.amdhsa_kernel _ZN2at6native16triu_tril_kernelIN3c107complexIdEEiLb0ELi1ELb0EEEvNS_4cuda6detail10TensorInfoIT_T0_EENS7_IKS8_S9_EEllS9_
		.amdhsa_group_segment_fixed_size 0
		.amdhsa_private_segment_fixed_size 0
		.amdhsa_kernarg_size 712
		.amdhsa_user_sgpr_count 2
		.amdhsa_user_sgpr_dispatch_ptr 0
		.amdhsa_user_sgpr_queue_ptr 0
		.amdhsa_user_sgpr_kernarg_segment_ptr 1
		.amdhsa_user_sgpr_dispatch_id 0
		.amdhsa_user_sgpr_private_segment_size 0
		.amdhsa_wavefront_size32 1
		.amdhsa_uses_dynamic_stack 0
		.amdhsa_enable_private_segment 0
		.amdhsa_system_sgpr_workgroup_id_x 1
		.amdhsa_system_sgpr_workgroup_id_y 0
		.amdhsa_system_sgpr_workgroup_id_z 0
		.amdhsa_system_sgpr_workgroup_info 0
		.amdhsa_system_vgpr_workitem_id 0
		.amdhsa_next_free_vgpr 25
		.amdhsa_next_free_sgpr 66
		.amdhsa_reserve_vcc 1
		.amdhsa_float_round_mode_32 0
		.amdhsa_float_round_mode_16_64 0
		.amdhsa_float_denorm_mode_32 3
		.amdhsa_float_denorm_mode_16_64 3
		.amdhsa_fp16_overflow 0
		.amdhsa_workgroup_processor_mode 1
		.amdhsa_memory_ordered 1
		.amdhsa_forward_progress 1
		.amdhsa_inst_pref_size 63
		.amdhsa_round_robin_scheduling 0
		.amdhsa_exception_fp_ieee_invalid_op 0
		.amdhsa_exception_fp_denorm_src 0
		.amdhsa_exception_fp_ieee_div_zero 0
		.amdhsa_exception_fp_ieee_overflow 0
		.amdhsa_exception_fp_ieee_underflow 0
		.amdhsa_exception_fp_ieee_inexact 0
		.amdhsa_exception_int_div_zero 0
	.end_amdhsa_kernel
	.section	.text._ZN2at6native16triu_tril_kernelIN3c107complexIdEEiLb0ELi1ELb0EEEvNS_4cuda6detail10TensorInfoIT_T0_EENS7_IKS8_S9_EEllS9_,"axG",@progbits,_ZN2at6native16triu_tril_kernelIN3c107complexIdEEiLb0ELi1ELb0EEEvNS_4cuda6detail10TensorInfoIT_T0_EENS7_IKS8_S9_EEllS9_,comdat
.Lfunc_end29:
	.size	_ZN2at6native16triu_tril_kernelIN3c107complexIdEEiLb0ELi1ELb0EEEvNS_4cuda6detail10TensorInfoIT_T0_EENS7_IKS8_S9_EEllS9_, .Lfunc_end29-_ZN2at6native16triu_tril_kernelIN3c107complexIdEEiLb0ELi1ELb0EEEvNS_4cuda6detail10TensorInfoIT_T0_EENS7_IKS8_S9_EEllS9_
                                        ; -- End function
	.set _ZN2at6native16triu_tril_kernelIN3c107complexIdEEiLb0ELi1ELb0EEEvNS_4cuda6detail10TensorInfoIT_T0_EENS7_IKS8_S9_EEllS9_.num_vgpr, 25
	.set _ZN2at6native16triu_tril_kernelIN3c107complexIdEEiLb0ELi1ELb0EEEvNS_4cuda6detail10TensorInfoIT_T0_EENS7_IKS8_S9_EEllS9_.num_agpr, 0
	.set _ZN2at6native16triu_tril_kernelIN3c107complexIdEEiLb0ELi1ELb0EEEvNS_4cuda6detail10TensorInfoIT_T0_EENS7_IKS8_S9_EEllS9_.numbered_sgpr, 66
	.set _ZN2at6native16triu_tril_kernelIN3c107complexIdEEiLb0ELi1ELb0EEEvNS_4cuda6detail10TensorInfoIT_T0_EENS7_IKS8_S9_EEllS9_.num_named_barrier, 0
	.set _ZN2at6native16triu_tril_kernelIN3c107complexIdEEiLb0ELi1ELb0EEEvNS_4cuda6detail10TensorInfoIT_T0_EENS7_IKS8_S9_EEllS9_.private_seg_size, 0
	.set _ZN2at6native16triu_tril_kernelIN3c107complexIdEEiLb0ELi1ELb0EEEvNS_4cuda6detail10TensorInfoIT_T0_EENS7_IKS8_S9_EEllS9_.uses_vcc, 1
	.set _ZN2at6native16triu_tril_kernelIN3c107complexIdEEiLb0ELi1ELb0EEEvNS_4cuda6detail10TensorInfoIT_T0_EENS7_IKS8_S9_EEllS9_.uses_flat_scratch, 0
	.set _ZN2at6native16triu_tril_kernelIN3c107complexIdEEiLb0ELi1ELb0EEEvNS_4cuda6detail10TensorInfoIT_T0_EENS7_IKS8_S9_EEllS9_.has_dyn_sized_stack, 0
	.set _ZN2at6native16triu_tril_kernelIN3c107complexIdEEiLb0ELi1ELb0EEEvNS_4cuda6detail10TensorInfoIT_T0_EENS7_IKS8_S9_EEllS9_.has_recursion, 0
	.set _ZN2at6native16triu_tril_kernelIN3c107complexIdEEiLb0ELi1ELb0EEEvNS_4cuda6detail10TensorInfoIT_T0_EENS7_IKS8_S9_EEllS9_.has_indirect_call, 0
	.section	.AMDGPU.csdata,"",@progbits
; Kernel info:
; codeLenInByte = 8064
; TotalNumSgprs: 68
; NumVgprs: 25
; ScratchSize: 0
; MemoryBound: 1
; FloatMode: 240
; IeeeMode: 1
; LDSByteSize: 0 bytes/workgroup (compile time only)
; SGPRBlocks: 0
; VGPRBlocks: 3
; NumSGPRsForWavesPerEU: 68
; NumVGPRsForWavesPerEU: 25
; Occupancy: 16
; WaveLimiterHint : 1
; COMPUTE_PGM_RSRC2:SCRATCH_EN: 0
; COMPUTE_PGM_RSRC2:USER_SGPR: 2
; COMPUTE_PGM_RSRC2:TRAP_HANDLER: 0
; COMPUTE_PGM_RSRC2:TGID_X_EN: 1
; COMPUTE_PGM_RSRC2:TGID_Y_EN: 0
; COMPUTE_PGM_RSRC2:TGID_Z_EN: 0
; COMPUTE_PGM_RSRC2:TIDIG_COMP_CNT: 0
	.section	.text._ZN2at6native16triu_tril_kernelIN3c107complexIdEElLb0ELi1ELb1EEEvNS_4cuda6detail10TensorInfoIT_T0_EENS7_IKS8_S9_EEllS9_,"axG",@progbits,_ZN2at6native16triu_tril_kernelIN3c107complexIdEElLb0ELi1ELb1EEEvNS_4cuda6detail10TensorInfoIT_T0_EENS7_IKS8_S9_EEllS9_,comdat
	.protected	_ZN2at6native16triu_tril_kernelIN3c107complexIdEElLb0ELi1ELb1EEEvNS_4cuda6detail10TensorInfoIT_T0_EENS7_IKS8_S9_EEllS9_ ; -- Begin function _ZN2at6native16triu_tril_kernelIN3c107complexIdEElLb0ELi1ELb1EEEvNS_4cuda6detail10TensorInfoIT_T0_EENS7_IKS8_S9_EEllS9_
	.globl	_ZN2at6native16triu_tril_kernelIN3c107complexIdEElLb0ELi1ELb1EEEvNS_4cuda6detail10TensorInfoIT_T0_EENS7_IKS8_S9_EEllS9_
	.p2align	8
	.type	_ZN2at6native16triu_tril_kernelIN3c107complexIdEElLb0ELi1ELb1EEEvNS_4cuda6detail10TensorInfoIT_T0_EENS7_IKS8_S9_EEllS9_,@function
_ZN2at6native16triu_tril_kernelIN3c107complexIdEElLb0ELi1ELb1EEEvNS_4cuda6detail10TensorInfoIT_T0_EENS7_IKS8_S9_EEllS9_: ; @_ZN2at6native16triu_tril_kernelIN3c107complexIdEElLb0ELi1ELb1EEEvNS_4cuda6detail10TensorInfoIT_T0_EENS7_IKS8_S9_EEllS9_
; %bb.0:
	s_clause 0x1
	s_load_b32 s2, s[0:1], 0x364
	s_load_b128 s[4:7], s[0:1], 0x340
	v_mov_b32_e32 v2, 0
	s_delay_alu instid0(VALU_DEP_1) | instskip(SKIP_3) | instid1(VALU_DEP_1)
	v_mov_b32_e32 v1, v2
	s_wait_kmcnt 0x0
	s_and_b32 s12, s2, 0xffff
	s_mov_b32 s2, exec_lo
	v_mad_co_u64_u32 v[0:1], null, s12, ttmp9, v[0:1]
	s_delay_alu instid0(VALU_DEP_1)
	v_cmpx_gt_i64_e64 s[6:7], v[0:1]
	s_cbranch_execz .LBB30_40
; %bb.1:
	s_clause 0x2
	s_load_b32 s20, s[0:1], 0x338
	s_load_b64 s[2:3], s[0:1], 0x350
	s_load_b64 s[8:9], s[0:1], 0x0
	s_add_nc_u64 s[10:11], s[0:1], 0x358
	s_add_nc_u64 s[26:27], s[0:1], 0x1a0
	s_mov_b32 s13, 0
	s_movk_i32 s16, 0xffe0
	s_mov_b32 s17, -1
	s_wait_kmcnt 0x0
	s_add_co_i32 s22, s20, -2
	v_cvt_f32_u32_e32 v3, s2
	s_ashr_i32 s23, s22, 31
	s_add_co_i32 s18, s20, -3
	s_lshl_b64 s[14:15], s[22:23], 3
	s_load_b32 s23, s[10:11], 0x0
	s_add_nc_u64 s[10:11], s[26:27], s[14:15]
	v_rcp_iflag_f32_e32 v3, v3
	s_load_b64 s[10:11], s[10:11], 0x8
	s_ashr_i32 s21, s20, 31
	s_ashr_i32 s19, s18, 31
	s_lshl_b64 s[24:25], s[20:21], 3
	v_cmp_gt_i64_e64 s60, s[20:21], 2
	s_add_nc_u64 s[14:15], s[0:1], 0xb8
	s_add_nc_u64 s[20:21], s[0:1], s[24:25]
	s_wait_kmcnt 0x0
	s_mul_i32 s33, s23, s12
	s_and_b32 s12, s22, 3
	s_and_b32 s22, s18, 3
	v_cvt_f32_u32_e32 v4, s10
	s_cmp_lg_u32 s22, 3
	s_add_nc_u64 s[22:23], s[26:27], s[24:25]
	s_cselect_b32 s61, -1, 0
	s_cmp_gt_u32 s18, 2
	v_rcp_iflag_f32_e32 v4, v4
	v_mul_f32_e32 v3, 0x4f7ffffe, v3
	s_cselect_b32 s62, -1, 0
	s_lshl_b64 s[28:29], s[18:19], 3
	s_wait_alu 0xfffe
	s_mov_b64 s[24:25], s[12:13]
	s_add_nc_u64 s[30:31], s[0:1], s[28:29]
	s_add_nc_u64 s[28:29], s[26:27], s[28:29]
	;; [unrolled: 1-line block ×5, first 2 shown]
	v_mul_f32_e32 v4, 0x4f7ffffe, v4
	v_cvt_u32_f32_e32 v20, v3
	s_ashr_i32 s34, s3, 31
	s_mov_b32 s1, 0
	s_delay_alu instid0(VALU_DEP_2)
	v_cvt_u32_f32_e32 v21, v4
	s_branch .LBB30_3
.LBB30_2:                               ;   in Loop: Header=BB30_3 Depth=1
	s_wait_alu 0xfffe
	s_or_b32 exec_lo, exec_lo, s35
	v_add_co_u32 v0, vcc_lo, v0, s33
	s_wait_alu 0xfffd
	v_add_co_ci_u32_e64 v1, null, 0, v1, vcc_lo
	s_delay_alu instid0(VALU_DEP_1)
	v_cmp_le_i64_e32 vcc_lo, s[6:7], v[0:1]
	s_or_b32 s1, vcc_lo, s1
	s_wait_alu 0xfffe
	s_and_not1_b32 exec_lo, exec_lo, s1
	s_cbranch_execz .LBB30_40
.LBB30_3:                               ; =>This Loop Header: Depth=1
                                        ;     Child Loop BB30_17 Depth 2
                                        ;     Child Loop BB30_22 Depth 2
	v_or_b32_e32 v3, s3, v1
                                        ; implicit-def: $vgpr6_vgpr7
	s_mov_b32 s0, exec_lo
	s_delay_alu instid0(VALU_DEP_1)
	v_cmpx_ne_u64_e32 0, v[2:3]
	s_wait_alu 0xfffe
	s_xor_b32 s38, exec_lo, s0
	s_cbranch_execz .LBB30_5
; %bb.4:                                ;   in Loop: Header=BB30_3 Depth=1
	s_mov_b32 s35, s34
	v_ashrrev_i32_e32 v9, 31, v1
	s_wait_alu 0xfffe
	s_add_nc_u64 s[36:37], s[2:3], s[34:35]
	s_wait_alu 0xfffe
	s_xor_b64 s[36:37], s[36:37], s[34:35]
	v_add_co_u32 v3, vcc_lo, v0, v9
	s_wait_alu 0xfffe
	s_cvt_f32_u32 s0, s36
	s_cvt_f32_u32 s12, s37
	s_sub_nc_u64 s[42:43], 0, s[36:37]
	s_wait_alu 0xfffd
	v_add_co_ci_u32_e64 v4, null, v1, v9, vcc_lo
	s_wait_alu 0xfffe
	s_fmamk_f32 s0, s12, 0x4f800000, s0
	v_xor_b32_e32 v10, v3, v9
	s_delay_alu instid0(VALU_DEP_2) | instskip(SKIP_2) | instid1(TRANS32_DEP_1)
	v_xor_b32_e32 v11, v4, v9
	s_wait_alu 0xfffe
	v_s_rcp_f32 s0, s0
	s_mul_f32 s0, s0, 0x5f7ffffc
	s_wait_alu 0xfffe
	s_delay_alu instid0(SALU_CYCLE_2) | instskip(SKIP_1) | instid1(SALU_CYCLE_2)
	s_mul_f32 s12, s0, 0x2f800000
	s_wait_alu 0xfffe
	s_trunc_f32 s12, s12
	s_wait_alu 0xfffe
	s_delay_alu instid0(SALU_CYCLE_2) | instskip(SKIP_2) | instid1(SALU_CYCLE_1)
	s_fmamk_f32 s0, s12, 0xcf800000, s0
	s_cvt_u32_f32 s41, s12
	s_wait_alu 0xfffe
	s_cvt_u32_f32 s40, s0
	s_delay_alu instid0(SALU_CYCLE_3)
	s_mul_u64 s[44:45], s[42:43], s[40:41]
	s_wait_alu 0xfffe
	s_mul_hi_u32 s47, s40, s45
	s_mul_i32 s46, s40, s45
	s_mul_hi_u32 s12, s40, s44
	s_mul_i32 s35, s41, s44
	s_wait_alu 0xfffe
	s_add_nc_u64 s[46:47], s[12:13], s[46:47]
	s_mul_hi_u32 s0, s41, s44
	s_mul_hi_u32 s39, s41, s45
	s_wait_alu 0xfffe
	s_add_co_u32 s12, s46, s35
	s_add_co_ci_u32 s12, s47, s0
	s_mul_i32 s44, s41, s45
	s_add_co_ci_u32 s45, s39, 0
	s_wait_alu 0xfffe
	s_add_nc_u64 s[44:45], s[12:13], s[44:45]
	s_wait_alu 0xfffe
	s_add_co_u32 s40, s40, s44
	s_cselect_b32 s0, -1, 0
	s_wait_alu 0xfffe
	s_cmp_lg_u32 s0, 0
	s_add_co_ci_u32 s41, s41, s45
	s_delay_alu instid0(SALU_CYCLE_1)
	s_mul_u64 s[42:43], s[42:43], s[40:41]
	s_wait_alu 0xfffe
	s_mul_hi_u32 s45, s40, s43
	s_mul_i32 s44, s40, s43
	s_mul_hi_u32 s12, s40, s42
	s_mul_i32 s35, s41, s42
	s_wait_alu 0xfffe
	s_add_nc_u64 s[44:45], s[12:13], s[44:45]
	s_mul_hi_u32 s0, s41, s42
	s_mul_hi_u32 s39, s41, s43
	s_wait_alu 0xfffe
	s_add_co_u32 s12, s44, s35
	s_add_co_ci_u32 s12, s45, s0
	s_mul_i32 s42, s41, s43
	s_add_co_ci_u32 s43, s39, 0
	s_wait_alu 0xfffe
	s_add_nc_u64 s[42:43], s[12:13], s[42:43]
	s_wait_alu 0xfffe
	s_add_co_u32 s0, s40, s42
	s_cselect_b32 s12, -1, 0
	s_wait_alu 0xfffe
	v_mul_hi_u32 v12, v10, s0
	s_cmp_lg_u32 s12, 0
	v_mad_co_u64_u32 v[5:6], null, v11, s0, 0
	s_add_co_ci_u32 s12, s41, s43
	s_wait_alu 0xfffe
	v_mad_co_u64_u32 v[3:4], null, v10, s12, 0
	v_mad_co_u64_u32 v[7:8], null, v11, s12, 0
	s_delay_alu instid0(VALU_DEP_2) | instskip(SKIP_1) | instid1(VALU_DEP_3)
	v_add_co_u32 v3, vcc_lo, v12, v3
	s_wait_alu 0xfffd
	v_add_co_ci_u32_e64 v4, null, 0, v4, vcc_lo
	s_delay_alu instid0(VALU_DEP_2) | instskip(SKIP_1) | instid1(VALU_DEP_2)
	v_add_co_u32 v3, vcc_lo, v3, v5
	s_wait_alu 0xfffd
	v_add_co_ci_u32_e32 v3, vcc_lo, v4, v6, vcc_lo
	s_wait_alu 0xfffd
	v_add_co_ci_u32_e32 v4, vcc_lo, 0, v8, vcc_lo
	s_delay_alu instid0(VALU_DEP_2) | instskip(SKIP_1) | instid1(VALU_DEP_2)
	v_add_co_u32 v5, vcc_lo, v3, v7
	s_wait_alu 0xfffd
	v_add_co_ci_u32_e64 v6, null, 0, v4, vcc_lo
	s_delay_alu instid0(VALU_DEP_2) | instskip(SKIP_1) | instid1(VALU_DEP_3)
	v_mul_lo_u32 v7, s37, v5
	v_mad_co_u64_u32 v[3:4], null, s36, v5, 0
	v_mul_lo_u32 v8, s36, v6
	s_delay_alu instid0(VALU_DEP_2) | instskip(NEXT) | instid1(VALU_DEP_2)
	v_sub_co_u32 v3, vcc_lo, v10, v3
	v_add3_u32 v4, v4, v8, v7
	v_add_co_u32 v8, s0, v5, 2
	s_wait_alu 0xf1ff
	v_add_co_ci_u32_e64 v10, null, 0, v6, s0
	s_delay_alu instid0(VALU_DEP_3) | instskip(SKIP_3) | instid1(VALU_DEP_3)
	v_sub_nc_u32_e32 v7, v11, v4
	v_sub_co_u32 v12, s0, v3, s36
	s_wait_alu 0xfffd
	v_sub_co_ci_u32_e64 v4, null, v11, v4, vcc_lo
	v_subrev_co_ci_u32_e64 v7, null, s37, v7, vcc_lo
	s_delay_alu instid0(VALU_DEP_3) | instskip(SKIP_1) | instid1(VALU_DEP_2)
	v_cmp_le_u32_e32 vcc_lo, s36, v12
	s_wait_alu 0xf1ff
	v_subrev_co_ci_u32_e64 v7, null, 0, v7, s0
	s_wait_alu 0xfffd
	v_cndmask_b32_e64 v11, 0, -1, vcc_lo
	s_delay_alu instid0(VALU_DEP_2)
	v_cmp_le_u32_e32 vcc_lo, s37, v7
	s_wait_alu 0xfffd
	v_cndmask_b32_e64 v12, 0, -1, vcc_lo
	v_cmp_le_u32_e32 vcc_lo, s36, v3
	s_wait_alu 0xfffd
	v_cndmask_b32_e64 v3, 0, -1, vcc_lo
	;; [unrolled: 3-line block ×3, first 2 shown]
	v_cmp_eq_u32_e32 vcc_lo, s37, v7
	s_wait_alu 0xfffd
	v_cndmask_b32_e32 v7, v12, v11, vcc_lo
	v_add_co_u32 v11, vcc_lo, v5, 1
	s_wait_alu 0xfffd
	v_add_co_ci_u32_e64 v12, null, 0, v6, vcc_lo
	v_cmp_eq_u32_e32 vcc_lo, s37, v4
	s_wait_alu 0xfffd
	v_cndmask_b32_e32 v3, v13, v3, vcc_lo
	v_cmp_ne_u32_e32 vcc_lo, 0, v7
	v_xor_b32_e32 v7, s34, v9
	s_wait_alu 0xfffd
	v_cndmask_b32_e32 v4, v12, v10, vcc_lo
	v_cmp_ne_u32_e64 s0, 0, v3
	v_cndmask_b32_e32 v3, v11, v8, vcc_lo
	s_wait_alu 0xf1ff
	s_delay_alu instid0(VALU_DEP_2) | instskip(NEXT) | instid1(VALU_DEP_2)
	v_cndmask_b32_e64 v4, v6, v4, s0
	v_cndmask_b32_e64 v3, v5, v3, s0
	s_delay_alu instid0(VALU_DEP_2) | instskip(NEXT) | instid1(VALU_DEP_2)
	v_xor_b32_e32 v4, v4, v7
	v_xor_b32_e32 v3, v3, v7
	s_delay_alu instid0(VALU_DEP_1) | instskip(SKIP_1) | instid1(VALU_DEP_3)
	v_sub_co_u32 v6, vcc_lo, v3, v7
	s_wait_alu 0xfffd
	v_sub_co_ci_u32_e64 v7, null, v4, v7, vcc_lo
.LBB30_5:                               ;   in Loop: Header=BB30_3 Depth=1
	s_wait_alu 0xfffe
	s_and_not1_saveexec_b32 s0, s38
	s_cbranch_execz .LBB30_7
; %bb.6:                                ;   in Loop: Header=BB30_3 Depth=1
	s_sub_co_i32 s12, 0, s2
	v_mov_b32_e32 v7, v2
	s_wait_alu 0xfffe
	v_mul_lo_u32 v3, s12, v20
	s_delay_alu instid0(VALU_DEP_1) | instskip(NEXT) | instid1(VALU_DEP_1)
	v_mul_hi_u32 v3, v20, v3
	v_add_nc_u32_e32 v3, v20, v3
	s_delay_alu instid0(VALU_DEP_1) | instskip(NEXT) | instid1(VALU_DEP_1)
	v_mul_hi_u32 v3, v0, v3
	v_mul_lo_u32 v4, v3, s2
	s_delay_alu instid0(VALU_DEP_1) | instskip(NEXT) | instid1(VALU_DEP_1)
	v_sub_nc_u32_e32 v4, v0, v4
	v_subrev_nc_u32_e32 v6, s2, v4
	v_cmp_le_u32_e32 vcc_lo, s2, v4
	s_wait_alu 0xfffd
	s_delay_alu instid0(VALU_DEP_2) | instskip(NEXT) | instid1(VALU_DEP_1)
	v_dual_cndmask_b32 v4, v4, v6 :: v_dual_add_nc_u32 v5, 1, v3
	v_cndmask_b32_e32 v3, v3, v5, vcc_lo
	s_delay_alu instid0(VALU_DEP_2) | instskip(NEXT) | instid1(VALU_DEP_2)
	v_cmp_le_u32_e32 vcc_lo, s2, v4
	v_add_nc_u32_e32 v5, 1, v3
	s_wait_alu 0xfffd
	s_delay_alu instid0(VALU_DEP_1)
	v_cndmask_b32_e32 v6, v3, v5, vcc_lo
.LBB30_7:                               ;   in Loop: Header=BB30_3 Depth=1
	s_wait_alu 0xfffe
	s_or_b32 exec_lo, exec_lo, s0
	v_or_b32_e32 v3, s11, v7
                                        ; implicit-def: $vgpr10_vgpr11
	s_mov_b32 s0, exec_lo
	s_delay_alu instid0(VALU_DEP_1)
	v_cmpx_ne_u64_e32 0, v[2:3]
	s_wait_alu 0xfffe
	s_xor_b32 s35, exec_lo, s0
	s_cbranch_execz .LBB30_9
; %bb.8:                                ;   in Loop: Header=BB30_3 Depth=1
	s_ashr_i32 s36, s11, 31
	v_ashrrev_i32_e32 v5, 31, v7
	s_wait_alu 0xfffe
	s_mov_b32 s37, s36
	s_wait_alu 0xfffe
	s_add_nc_u64 s[38:39], s[10:11], s[36:37]
	v_add_co_u32 v3, vcc_lo, v6, v5
	s_wait_alu 0xfffe
	s_xor_b64 s[38:39], s[38:39], s[36:37]
	s_wait_alu 0xfffd
	v_add_co_ci_u32_e64 v4, null, v7, v5, vcc_lo
	s_wait_alu 0xfffe
	s_cvt_f32_u32 s0, s38
	s_cvt_f32_u32 s12, s39
	s_sub_nc_u64 s[42:43], 0, s[38:39]
	v_xor_b32_e32 v12, v3, v5
	v_xor_b32_e32 v13, v4, v5
	s_wait_alu 0xfffe
	s_fmamk_f32 s0, s12, 0x4f800000, s0
	v_xor_b32_e32 v5, s36, v5
	s_wait_alu 0xfffe
	s_delay_alu instid0(SALU_CYCLE_1) | instskip(NEXT) | instid1(TRANS32_DEP_1)
	v_s_rcp_f32 s0, s0
	s_mul_f32 s0, s0, 0x5f7ffffc
	s_wait_alu 0xfffe
	s_delay_alu instid0(SALU_CYCLE_2) | instskip(SKIP_1) | instid1(SALU_CYCLE_2)
	s_mul_f32 s12, s0, 0x2f800000
	s_wait_alu 0xfffe
	s_trunc_f32 s12, s12
	s_wait_alu 0xfffe
	s_delay_alu instid0(SALU_CYCLE_2) | instskip(SKIP_2) | instid1(SALU_CYCLE_1)
	s_fmamk_f32 s0, s12, 0xcf800000, s0
	s_cvt_u32_f32 s41, s12
	s_wait_alu 0xfffe
	s_cvt_u32_f32 s40, s0
	s_delay_alu instid0(SALU_CYCLE_3)
	s_mul_u64 s[44:45], s[42:43], s[40:41]
	s_wait_alu 0xfffe
	s_mul_hi_u32 s47, s40, s45
	s_mul_i32 s46, s40, s45
	s_mul_hi_u32 s12, s40, s44
	s_mul_i32 s37, s41, s44
	s_wait_alu 0xfffe
	s_add_nc_u64 s[46:47], s[12:13], s[46:47]
	s_mul_hi_u32 s0, s41, s44
	s_mul_hi_u32 s48, s41, s45
	s_wait_alu 0xfffe
	s_add_co_u32 s12, s46, s37
	s_add_co_ci_u32 s12, s47, s0
	s_mul_i32 s44, s41, s45
	s_add_co_ci_u32 s45, s48, 0
	s_wait_alu 0xfffe
	s_add_nc_u64 s[44:45], s[12:13], s[44:45]
	s_wait_alu 0xfffe
	s_add_co_u32 s40, s40, s44
	s_cselect_b32 s0, -1, 0
	s_wait_alu 0xfffe
	s_cmp_lg_u32 s0, 0
	s_add_co_ci_u32 s41, s41, s45
	s_delay_alu instid0(SALU_CYCLE_1)
	s_mul_u64 s[42:43], s[42:43], s[40:41]
	s_wait_alu 0xfffe
	s_mul_hi_u32 s45, s40, s43
	s_mul_i32 s44, s40, s43
	s_mul_hi_u32 s12, s40, s42
	s_mul_i32 s37, s41, s42
	s_wait_alu 0xfffe
	s_add_nc_u64 s[44:45], s[12:13], s[44:45]
	s_mul_hi_u32 s0, s41, s42
	s_mul_hi_u32 s46, s41, s43
	s_wait_alu 0xfffe
	s_add_co_u32 s12, s44, s37
	s_add_co_ci_u32 s12, s45, s0
	s_mul_i32 s42, s41, s43
	s_add_co_ci_u32 s43, s46, 0
	s_wait_alu 0xfffe
	s_add_nc_u64 s[42:43], s[12:13], s[42:43]
	s_wait_alu 0xfffe
	s_add_co_u32 s0, s40, s42
	s_cselect_b32 s12, -1, 0
	s_wait_alu 0xfffe
	v_mul_hi_u32 v14, v12, s0
	s_cmp_lg_u32 s12, 0
	v_mad_co_u64_u32 v[8:9], null, v13, s0, 0
	s_add_co_ci_u32 s12, s41, s43
	s_wait_alu 0xfffe
	v_mad_co_u64_u32 v[3:4], null, v12, s12, 0
	v_mad_co_u64_u32 v[10:11], null, v13, s12, 0
	s_delay_alu instid0(VALU_DEP_2) | instskip(SKIP_1) | instid1(VALU_DEP_3)
	v_add_co_u32 v3, vcc_lo, v14, v3
	s_wait_alu 0xfffd
	v_add_co_ci_u32_e64 v4, null, 0, v4, vcc_lo
	s_delay_alu instid0(VALU_DEP_2) | instskip(SKIP_1) | instid1(VALU_DEP_2)
	v_add_co_u32 v3, vcc_lo, v3, v8
	s_wait_alu 0xfffd
	v_add_co_ci_u32_e32 v3, vcc_lo, v4, v9, vcc_lo
	s_wait_alu 0xfffd
	v_add_co_ci_u32_e32 v4, vcc_lo, 0, v11, vcc_lo
	s_delay_alu instid0(VALU_DEP_2) | instskip(SKIP_1) | instid1(VALU_DEP_2)
	v_add_co_u32 v8, vcc_lo, v3, v10
	s_wait_alu 0xfffd
	v_add_co_ci_u32_e64 v9, null, 0, v4, vcc_lo
	s_delay_alu instid0(VALU_DEP_2) | instskip(SKIP_1) | instid1(VALU_DEP_3)
	v_mul_lo_u32 v10, s39, v8
	v_mad_co_u64_u32 v[3:4], null, s38, v8, 0
	v_mul_lo_u32 v11, s38, v9
	s_delay_alu instid0(VALU_DEP_2) | instskip(NEXT) | instid1(VALU_DEP_2)
	v_sub_co_u32 v3, vcc_lo, v12, v3
	v_add3_u32 v4, v4, v11, v10
	v_add_co_u32 v11, s0, v8, 2
	s_wait_alu 0xf1ff
	v_add_co_ci_u32_e64 v12, null, 0, v9, s0
	s_delay_alu instid0(VALU_DEP_3) | instskip(SKIP_3) | instid1(VALU_DEP_3)
	v_sub_nc_u32_e32 v10, v13, v4
	v_sub_co_u32 v14, s0, v3, s38
	s_wait_alu 0xfffd
	v_sub_co_ci_u32_e64 v4, null, v13, v4, vcc_lo
	v_subrev_co_ci_u32_e64 v10, null, s39, v10, vcc_lo
	s_delay_alu instid0(VALU_DEP_3) | instskip(SKIP_1) | instid1(VALU_DEP_2)
	v_cmp_le_u32_e32 vcc_lo, s38, v14
	s_wait_alu 0xf1ff
	v_subrev_co_ci_u32_e64 v10, null, 0, v10, s0
	s_wait_alu 0xfffd
	v_cndmask_b32_e64 v13, 0, -1, vcc_lo
	s_delay_alu instid0(VALU_DEP_2)
	v_cmp_le_u32_e32 vcc_lo, s39, v10
	s_wait_alu 0xfffd
	v_cndmask_b32_e64 v14, 0, -1, vcc_lo
	v_cmp_le_u32_e32 vcc_lo, s38, v3
	s_wait_alu 0xfffd
	v_cndmask_b32_e64 v3, 0, -1, vcc_lo
	;; [unrolled: 3-line block ×3, first 2 shown]
	v_cmp_eq_u32_e32 vcc_lo, s39, v10
	s_wait_alu 0xfffd
	v_cndmask_b32_e32 v10, v14, v13, vcc_lo
	v_add_co_u32 v13, vcc_lo, v8, 1
	s_wait_alu 0xfffd
	v_add_co_ci_u32_e64 v14, null, 0, v9, vcc_lo
	v_cmp_eq_u32_e32 vcc_lo, s39, v4
	s_wait_alu 0xfffd
	v_cndmask_b32_e32 v3, v15, v3, vcc_lo
	v_cmp_ne_u32_e32 vcc_lo, 0, v10
	s_delay_alu instid0(VALU_DEP_2) | instskip(SKIP_3) | instid1(VALU_DEP_1)
	v_cmp_ne_u32_e64 s0, 0, v3
	s_wait_alu 0xfffd
	v_dual_cndmask_b32 v4, v14, v12 :: v_dual_cndmask_b32 v3, v13, v11
	s_wait_alu 0xf1ff
	v_cndmask_b32_e64 v4, v9, v4, s0
	s_delay_alu instid0(VALU_DEP_2) | instskip(NEXT) | instid1(VALU_DEP_2)
	v_cndmask_b32_e64 v3, v8, v3, s0
	v_xor_b32_e32 v4, v4, v5
	s_delay_alu instid0(VALU_DEP_2) | instskip(NEXT) | instid1(VALU_DEP_1)
	v_xor_b32_e32 v3, v3, v5
	v_sub_co_u32 v10, vcc_lo, v3, v5
	s_wait_alu 0xfffd
	s_delay_alu instid0(VALU_DEP_3)
	v_sub_co_ci_u32_e64 v11, null, v4, v5, vcc_lo
.LBB30_9:                               ;   in Loop: Header=BB30_3 Depth=1
	s_wait_alu 0xfffe
	s_and_not1_saveexec_b32 s0, s35
	s_cbranch_execz .LBB30_11
; %bb.10:                               ;   in Loop: Header=BB30_3 Depth=1
	s_sub_co_i32 s12, 0, s10
	v_mov_b32_e32 v11, v2
	s_wait_alu 0xfffe
	v_mul_lo_u32 v3, s12, v21
	s_delay_alu instid0(VALU_DEP_1) | instskip(NEXT) | instid1(VALU_DEP_1)
	v_mul_hi_u32 v3, v21, v3
	v_add_nc_u32_e32 v3, v21, v3
	s_delay_alu instid0(VALU_DEP_1) | instskip(NEXT) | instid1(VALU_DEP_1)
	v_mul_hi_u32 v3, v6, v3
	v_mul_lo_u32 v4, v3, s10
	v_add_nc_u32_e32 v5, 1, v3
	s_delay_alu instid0(VALU_DEP_2) | instskip(NEXT) | instid1(VALU_DEP_1)
	v_sub_nc_u32_e32 v4, v6, v4
	v_subrev_nc_u32_e32 v8, s10, v4
	v_cmp_le_u32_e32 vcc_lo, s10, v4
	s_wait_alu 0xfffd
	s_delay_alu instid0(VALU_DEP_2) | instskip(NEXT) | instid1(VALU_DEP_1)
	v_dual_cndmask_b32 v4, v4, v8 :: v_dual_cndmask_b32 v3, v3, v5
	v_cmp_le_u32_e32 vcc_lo, s10, v4
	s_delay_alu instid0(VALU_DEP_2) | instskip(SKIP_1) | instid1(VALU_DEP_1)
	v_add_nc_u32_e32 v5, 1, v3
	s_wait_alu 0xfffd
	v_cndmask_b32_e32 v10, v3, v5, vcc_lo
.LBB30_11:                              ;   in Loop: Header=BB30_3 Depth=1
	s_wait_alu 0xfffe
	s_or_b32 exec_lo, exec_lo, s0
	v_mul_lo_u32 v5, v7, s2
	v_mul_lo_u32 v12, v6, s3
	v_mad_co_u64_u32 v[3:4], null, v6, s2, 0
	v_mul_lo_u32 v13, v11, s10
	v_mul_lo_u32 v14, v10, s11
	v_mad_co_u64_u32 v[8:9], null, v10, s10, 0
	s_mov_b32 s35, exec_lo
	v_add3_u32 v5, v4, v12, v5
	v_sub_co_u32 v4, vcc_lo, v0, v3
	v_add3_u32 v9, v9, v14, v13
	s_wait_alu 0xfffd
	s_delay_alu instid0(VALU_DEP_3) | instskip(SKIP_3) | instid1(VALU_DEP_2)
	v_sub_co_ci_u32_e64 v5, null, v1, v5, vcc_lo
	v_sub_co_u32 v3, vcc_lo, v6, v8
	s_wait_alu 0xfffd
	v_sub_co_ci_u32_e64 v8, null, v7, v9, vcc_lo
	v_sub_co_u32 v6, vcc_lo, v4, v3
	s_wait_alu 0xfffd
	s_delay_alu instid0(VALU_DEP_2) | instskip(NEXT) | instid1(VALU_DEP_2)
	v_sub_co_ci_u32_e64 v7, null, v5, v8, vcc_lo
	v_add_co_u32 v12, vcc_lo, v6, 1
	s_wait_alu 0xfffd
	s_delay_alu instid0(VALU_DEP_2) | instskip(NEXT) | instid1(VALU_DEP_1)
	v_add_co_ci_u32_e64 v13, null, 0, v7, vcc_lo
	v_cmpx_lt_i64_e64 s[4:5], v[12:13]
	s_cbranch_execz .LBB30_2
; %bb.12:                               ;   in Loop: Header=BB30_3 Depth=1
	s_load_b128 s[36:39], s[20:21], 0xc0
	s_and_not1_b32 vcc_lo, exec_lo, s60
	s_wait_kmcnt 0x0
	v_mul_lo_u32 v9, s39, v4
	v_mul_lo_u32 v14, s38, v5
	v_mad_co_u64_u32 v[12:13], null, s38, v4, 0
	s_delay_alu instid0(VALU_DEP_1) | instskip(SKIP_1) | instid1(VALU_DEP_2)
	v_add3_u32 v13, v13, v14, v9
	v_mul_lo_u32 v14, s36, v8
	v_mad_co_u64_u32 v[8:9], null, s36, v3, v[12:13]
	v_mul_lo_u32 v3, s37, v3
	s_delay_alu instid0(VALU_DEP_1)
	v_add3_u32 v9, v3, v9, v14
	s_wait_alu 0xfffe
	s_cbranch_vccnz .LBB30_38
; %bb.13:                               ;   in Loop: Header=BB30_3 Depth=1
	s_mov_b64 s[36:37], s[24:25]
	s_mov_b64 s[38:39], s[28:29]
	s_and_not1_b32 vcc_lo, exec_lo, s61
	s_mov_b64 s[42:43], s[26:27]
	s_mov_b64 s[40:41], s[18:19]
	s_wait_alu 0xfffe
	s_cbranch_vccz .LBB30_17
.LBB30_14:                              ;   in Loop: Header=BB30_3 Depth=1
	s_and_not1_b32 vcc_lo, exec_lo, s62
	s_wait_alu 0xfffe
	s_cbranch_vccnz .LBB30_38
; %bb.15:                               ;   in Loop: Header=BB30_3 Depth=1
	s_lshl_b64 s[38:39], s[40:41], 3
	s_add_nc_u64 s[40:41], s[40:41], 1
	s_wait_alu 0xfffe
	s_add_nc_u64 s[36:37], s[14:15], s[38:39]
	s_add_nc_u64 s[38:39], s[30:31], s[38:39]
	s_branch .LBB30_22
.LBB30_16:                              ;   in Loop: Header=BB30_17 Depth=2
	s_wait_alu 0xfffe
	s_or_b32 exec_lo, exec_lo, s0
	s_load_b64 s[46:47], s[42:43], 0x0
	v_mul_lo_u32 v3, v13, s44
	v_mul_lo_u32 v16, v12, s45
	v_mad_co_u64_u32 v[14:15], null, v12, s44, 0
	s_add_nc_u64 s[36:37], s[36:37], -1
	s_add_nc_u64 s[40:41], s[40:41], -1
	;; [unrolled: 1-line block ×3, first 2 shown]
	s_wait_alu 0xfffe
	s_cmp_lg_u64 s[36:37], 0
	s_add_nc_u64 s[38:39], s[38:39], -8
	v_add3_u32 v3, v15, v16, v3
	v_sub_co_u32 v10, vcc_lo, v10, v14
	s_wait_alu 0xfffd
	s_delay_alu instid0(VALU_DEP_2) | instskip(SKIP_1) | instid1(VALU_DEP_2)
	v_sub_co_ci_u32_e64 v3, null, v11, v3, vcc_lo
	s_wait_kmcnt 0x0
	v_mul_lo_u32 v11, s47, v10
	s_delay_alu instid0(VALU_DEP_2) | instskip(SKIP_1) | instid1(VALU_DEP_1)
	v_mul_lo_u32 v3, s46, v3
	v_mad_co_u64_u32 v[8:9], null, s46, v10, v[8:9]
	v_add3_u32 v9, v11, v9, v3
	v_dual_mov_b32 v10, v12 :: v_dual_mov_b32 v11, v13
	s_cbranch_scc0 .LBB30_14
.LBB30_17:                              ;   Parent Loop BB30_3 Depth=1
                                        ; =>  This Inner Loop Header: Depth=2
	s_load_b64 s[44:45], s[38:39], 0x0
                                        ; implicit-def: $vgpr12_vgpr13
	s_mov_b32 s0, exec_lo
	s_wait_kmcnt 0x0
	v_or_b32_e32 v3, s45, v11
	s_delay_alu instid0(VALU_DEP_1)
	v_cmpx_ne_u64_e32 0, v[2:3]
	s_wait_alu 0xfffe
	s_xor_b32 s50, exec_lo, s0
	s_cbranch_execz .LBB30_19
; %bb.18:                               ;   in Loop: Header=BB30_17 Depth=2
	s_ashr_i32 s46, s45, 31
	v_ashrrev_i32_e32 v3, 31, v11
	s_wait_alu 0xfffe
	s_mov_b32 s47, s46
	s_wait_alu 0xfffe
	s_add_nc_u64 s[48:49], s[44:45], s[46:47]
	v_add_co_u32 v12, vcc_lo, v10, v3
	s_wait_alu 0xfffe
	s_xor_b64 s[48:49], s[48:49], s[46:47]
	s_wait_alu 0xfffd
	v_add_co_ci_u32_e64 v13, null, v11, v3, vcc_lo
	s_wait_alu 0xfffe
	s_cvt_f32_u32 s0, s48
	s_cvt_f32_u32 s12, s49
	s_sub_nc_u64 s[54:55], 0, s[48:49]
	v_xor_b32_e32 v18, v12, v3
	v_xor_b32_e32 v19, v13, v3
	s_wait_alu 0xfffe
	s_fmamk_f32 s0, s12, 0x4f800000, s0
	v_xor_b32_e32 v3, s46, v3
	s_wait_alu 0xfffe
	s_delay_alu instid0(SALU_CYCLE_1) | instskip(NEXT) | instid1(TRANS32_DEP_1)
	v_s_rcp_f32 s0, s0
	s_mul_f32 s0, s0, 0x5f7ffffc
	s_wait_alu 0xfffe
	s_delay_alu instid0(SALU_CYCLE_2) | instskip(SKIP_1) | instid1(SALU_CYCLE_2)
	s_mul_f32 s12, s0, 0x2f800000
	s_wait_alu 0xfffe
	s_trunc_f32 s12, s12
	s_wait_alu 0xfffe
	s_delay_alu instid0(SALU_CYCLE_2) | instskip(SKIP_2) | instid1(SALU_CYCLE_1)
	s_fmamk_f32 s0, s12, 0xcf800000, s0
	s_cvt_u32_f32 s53, s12
	s_wait_alu 0xfffe
	s_cvt_u32_f32 s52, s0
	s_wait_alu 0xfffe
	s_delay_alu instid0(SALU_CYCLE_2)
	s_mul_u64 s[56:57], s[54:55], s[52:53]
	s_wait_alu 0xfffe
	s_mul_hi_u32 s59, s52, s57
	s_mul_i32 s58, s52, s57
	s_mul_hi_u32 s12, s52, s56
	s_mul_i32 s47, s53, s56
	s_wait_alu 0xfffe
	s_add_nc_u64 s[58:59], s[12:13], s[58:59]
	s_mul_hi_u32 s0, s53, s56
	s_mul_hi_u32 s51, s53, s57
	s_wait_alu 0xfffe
	s_add_co_u32 s12, s58, s47
	s_add_co_ci_u32 s12, s59, s0
	s_mul_i32 s56, s53, s57
	s_add_co_ci_u32 s57, s51, 0
	s_wait_alu 0xfffe
	s_add_nc_u64 s[56:57], s[12:13], s[56:57]
	s_wait_alu 0xfffe
	s_add_co_u32 s52, s52, s56
	s_cselect_b32 s0, -1, 0
	s_wait_alu 0xfffe
	s_cmp_lg_u32 s0, 0
	s_add_co_ci_u32 s53, s53, s57
	s_wait_alu 0xfffe
	s_mul_u64 s[54:55], s[54:55], s[52:53]
	s_wait_alu 0xfffe
	s_mul_hi_u32 s57, s52, s55
	s_mul_i32 s56, s52, s55
	s_mul_hi_u32 s12, s52, s54
	s_mul_i32 s47, s53, s54
	s_wait_alu 0xfffe
	s_add_nc_u64 s[56:57], s[12:13], s[56:57]
	s_mul_hi_u32 s0, s53, s54
	s_mul_hi_u32 s51, s53, s55
	s_wait_alu 0xfffe
	s_add_co_u32 s12, s56, s47
	s_add_co_ci_u32 s12, s57, s0
	s_mul_i32 s54, s53, s55
	s_add_co_ci_u32 s55, s51, 0
	s_wait_alu 0xfffe
	s_add_nc_u64 s[54:55], s[12:13], s[54:55]
	s_wait_alu 0xfffe
	s_add_co_u32 s0, s52, s54
	s_cselect_b32 s12, -1, 0
	s_wait_alu 0xfffe
	v_mul_hi_u32 v22, v18, s0
	s_cmp_lg_u32 s12, 0
	v_mad_co_u64_u32 v[14:15], null, v19, s0, 0
	s_add_co_ci_u32 s12, s53, s55
	s_wait_alu 0xfffe
	v_mad_co_u64_u32 v[12:13], null, v18, s12, 0
	v_mad_co_u64_u32 v[16:17], null, v19, s12, 0
	s_delay_alu instid0(VALU_DEP_2) | instskip(SKIP_1) | instid1(VALU_DEP_3)
	v_add_co_u32 v12, vcc_lo, v22, v12
	s_wait_alu 0xfffd
	v_add_co_ci_u32_e64 v13, null, 0, v13, vcc_lo
	s_delay_alu instid0(VALU_DEP_2) | instskip(SKIP_1) | instid1(VALU_DEP_2)
	v_add_co_u32 v12, vcc_lo, v12, v14
	s_wait_alu 0xfffd
	v_add_co_ci_u32_e32 v12, vcc_lo, v13, v15, vcc_lo
	s_wait_alu 0xfffd
	v_add_co_ci_u32_e32 v13, vcc_lo, 0, v17, vcc_lo
	s_delay_alu instid0(VALU_DEP_2) | instskip(SKIP_1) | instid1(VALU_DEP_2)
	v_add_co_u32 v14, vcc_lo, v12, v16
	s_wait_alu 0xfffd
	v_add_co_ci_u32_e64 v15, null, 0, v13, vcc_lo
	s_delay_alu instid0(VALU_DEP_2) | instskip(SKIP_1) | instid1(VALU_DEP_3)
	v_mul_lo_u32 v16, s49, v14
	v_mad_co_u64_u32 v[12:13], null, s48, v14, 0
	v_mul_lo_u32 v17, s48, v15
	s_delay_alu instid0(VALU_DEP_2) | instskip(NEXT) | instid1(VALU_DEP_2)
	v_sub_co_u32 v12, vcc_lo, v18, v12
	v_add3_u32 v13, v13, v17, v16
	v_add_co_u32 v17, s0, v14, 2
	s_wait_alu 0xf1ff
	v_add_co_ci_u32_e64 v18, null, 0, v15, s0
	s_delay_alu instid0(VALU_DEP_3) | instskip(SKIP_3) | instid1(VALU_DEP_3)
	v_sub_nc_u32_e32 v16, v19, v13
	v_sub_co_u32 v22, s0, v12, s48
	s_wait_alu 0xfffd
	v_sub_co_ci_u32_e64 v13, null, v19, v13, vcc_lo
	v_subrev_co_ci_u32_e64 v16, null, s49, v16, vcc_lo
	s_delay_alu instid0(VALU_DEP_3) | instskip(SKIP_1) | instid1(VALU_DEP_2)
	v_cmp_le_u32_e32 vcc_lo, s48, v22
	s_wait_alu 0xf1ff
	v_subrev_co_ci_u32_e64 v16, null, 0, v16, s0
	s_wait_alu 0xfffd
	v_cndmask_b32_e64 v19, 0, -1, vcc_lo
	s_delay_alu instid0(VALU_DEP_2)
	v_cmp_le_u32_e32 vcc_lo, s49, v16
	s_wait_alu 0xfffd
	v_cndmask_b32_e64 v22, 0, -1, vcc_lo
	v_cmp_le_u32_e32 vcc_lo, s48, v12
	s_wait_alu 0xfffd
	v_cndmask_b32_e64 v12, 0, -1, vcc_lo
	v_cmp_le_u32_e32 vcc_lo, s49, v13
	s_wait_alu 0xfffd
	v_cndmask_b32_e64 v23, 0, -1, vcc_lo
	v_cmp_eq_u32_e32 vcc_lo, s49, v16
	s_wait_alu 0xfffd
	v_cndmask_b32_e32 v16, v22, v19, vcc_lo
	v_add_co_u32 v19, vcc_lo, v14, 1
	s_wait_alu 0xfffd
	v_add_co_ci_u32_e64 v22, null, 0, v15, vcc_lo
	v_cmp_eq_u32_e32 vcc_lo, s49, v13
	s_wait_alu 0xfffd
	v_cndmask_b32_e32 v12, v23, v12, vcc_lo
	v_cmp_ne_u32_e32 vcc_lo, 0, v16
	s_wait_alu 0xfffd
	v_cndmask_b32_e32 v13, v22, v18, vcc_lo
	s_delay_alu instid0(VALU_DEP_3) | instskip(SKIP_2) | instid1(VALU_DEP_2)
	v_cmp_ne_u32_e64 s0, 0, v12
	v_cndmask_b32_e32 v12, v19, v17, vcc_lo
	s_wait_alu 0xf1ff
	v_cndmask_b32_e64 v13, v15, v13, s0
	s_delay_alu instid0(VALU_DEP_2) | instskip(NEXT) | instid1(VALU_DEP_2)
	v_cndmask_b32_e64 v12, v14, v12, s0
	v_xor_b32_e32 v13, v13, v3
	s_delay_alu instid0(VALU_DEP_2) | instskip(NEXT) | instid1(VALU_DEP_1)
	v_xor_b32_e32 v12, v12, v3
	v_sub_co_u32 v12, vcc_lo, v12, v3
	s_wait_alu 0xfffd
	s_delay_alu instid0(VALU_DEP_3)
	v_sub_co_ci_u32_e64 v13, null, v13, v3, vcc_lo
.LBB30_19:                              ;   in Loop: Header=BB30_17 Depth=2
	s_wait_alu 0xfffe
	s_and_not1_saveexec_b32 s0, s50
	s_cbranch_execz .LBB30_16
; %bb.20:                               ;   in Loop: Header=BB30_17 Depth=2
	v_cvt_f32_u32_e32 v3, s44
	s_sub_co_i32 s12, 0, s44
	s_delay_alu instid0(VALU_DEP_1) | instskip(NEXT) | instid1(TRANS32_DEP_1)
	v_rcp_iflag_f32_e32 v3, v3
	v_mul_f32_e32 v3, 0x4f7ffffe, v3
	s_delay_alu instid0(VALU_DEP_1) | instskip(SKIP_1) | instid1(VALU_DEP_1)
	v_cvt_u32_f32_e32 v3, v3
	s_wait_alu 0xfffe
	v_mul_lo_u32 v12, s12, v3
	s_delay_alu instid0(VALU_DEP_1) | instskip(NEXT) | instid1(VALU_DEP_1)
	v_mul_hi_u32 v12, v3, v12
	v_add_nc_u32_e32 v3, v3, v12
	s_delay_alu instid0(VALU_DEP_1) | instskip(NEXT) | instid1(VALU_DEP_1)
	v_mul_hi_u32 v3, v10, v3
	v_mul_lo_u32 v12, v3, s44
	v_add_nc_u32_e32 v13, 1, v3
	s_delay_alu instid0(VALU_DEP_2) | instskip(NEXT) | instid1(VALU_DEP_1)
	v_sub_nc_u32_e32 v12, v10, v12
	v_subrev_nc_u32_e32 v14, s44, v12
	v_cmp_le_u32_e32 vcc_lo, s44, v12
	s_wait_alu 0xfffd
	s_delay_alu instid0(VALU_DEP_2) | instskip(NEXT) | instid1(VALU_DEP_1)
	v_dual_cndmask_b32 v12, v12, v14 :: v_dual_cndmask_b32 v3, v3, v13
	v_cmp_le_u32_e32 vcc_lo, s44, v12
	s_delay_alu instid0(VALU_DEP_2) | instskip(SKIP_1) | instid1(VALU_DEP_1)
	v_add_nc_u32_e32 v13, 1, v3
	s_wait_alu 0xfffd
	v_dual_cndmask_b32 v12, v3, v13 :: v_dual_mov_b32 v13, v2
	s_branch .LBB30_16
.LBB30_21:                              ;   in Loop: Header=BB30_22 Depth=2
	s_wait_alu 0xfffe
	s_or_b32 exec_lo, exec_lo, s0
	v_mul_lo_u32 v3, v13, s42
	v_mul_lo_u32 v26, v12, s43
	v_mad_co_u64_u32 v[22:23], null, v12, s42, 0
	v_mul_lo_u32 v27, v15, s46
	v_mul_lo_u32 v28, v14, s47
	v_mad_co_u64_u32 v[24:25], null, v14, s46, 0
	s_load_b64 s[42:43], s[36:37], 0x0
	s_add_nc_u64 s[40:41], s[40:41], -4
	v_add3_u32 v3, v23, v26, v3
	v_sub_co_u32 v10, vcc_lo, v10, v22
	v_mul_lo_u32 v22, v17, s50
	v_add3_u32 v23, v25, v28, v27
	s_wait_alu 0xfffd
	v_sub_co_ci_u32_e64 v3, null, v11, v3, vcc_lo
	v_mul_lo_u32 v25, s45, v10
	v_mad_co_u64_u32 v[8:9], null, s44, v10, v[8:9]
	s_delay_alu instid0(VALU_DEP_3)
	v_mul_lo_u32 v3, s44, v3
	v_mul_lo_u32 v26, v16, s51
	v_mad_co_u64_u32 v[10:11], null, v16, s50, 0
	v_sub_co_u32 v12, vcc_lo, v12, v24
	s_wait_alu 0xfffd
	v_sub_co_ci_u32_e64 v13, null, v13, v23, vcc_lo
	v_add3_u32 v9, v25, v9, v3
	s_add_nc_u64 s[36:37], s[36:37], s[16:17]
	s_delay_alu instid0(VALU_DEP_4)
	v_add3_u32 v3, v11, v26, v22
	v_mul_lo_u32 v22, s49, v12
	v_mul_lo_u32 v13, s48, v13
	v_mad_co_u64_u32 v[8:9], null, s48, v12, v[8:9]
	v_sub_co_u32 v12, vcc_lo, v14, v10
	s_wait_alu 0xfffd
	v_sub_co_ci_u32_e64 v3, null, v15, v3, vcc_lo
	v_mul_lo_u32 v14, v19, s54
	v_mul_lo_u32 v15, v18, s55
	v_mad_co_u64_u32 v[10:11], null, v18, s54, 0
	v_add3_u32 v9, v22, v9, v13
	v_mul_lo_u32 v3, s52, v3
	s_cmp_eq_u64 s[40:41], 0
	s_add_nc_u64 s[38:39], s[38:39], s[16:17]
	s_delay_alu instid0(VALU_DEP_2) | instskip(SKIP_4) | instid1(VALU_DEP_2)
	v_mad_co_u64_u32 v[8:9], null, s52, v12, v[8:9]
	v_mul_lo_u32 v12, s53, v12
	v_add3_u32 v11, v11, v15, v14
	v_sub_co_u32 v10, vcc_lo, v16, v10
	s_wait_alu 0xfffd
	v_sub_co_ci_u32_e64 v11, null, v17, v11, vcc_lo
	s_delay_alu instid0(VALU_DEP_4) | instskip(SKIP_1) | instid1(VALU_DEP_2)
	v_add3_u32 v9, v12, v9, v3
	s_wait_kmcnt 0x0
	v_mul_lo_u32 v3, s42, v11
	v_mul_lo_u32 v11, s43, v10
	s_delay_alu instid0(VALU_DEP_3) | instskip(NEXT) | instid1(VALU_DEP_1)
	v_mad_co_u64_u32 v[8:9], null, s42, v10, v[8:9]
	v_add3_u32 v9, v11, v9, v3
	v_dual_mov_b32 v10, v18 :: v_dual_mov_b32 v11, v19
	s_cbranch_scc1 .LBB30_38
.LBB30_22:                              ;   Parent Loop BB30_3 Depth=1
                                        ; =>  This Inner Loop Header: Depth=2
	s_load_b64 s[42:43], s[38:39], 0x18
                                        ; implicit-def: $vgpr12_vgpr13
	s_mov_b32 s0, exec_lo
	s_wait_kmcnt 0x0
	v_or_b32_e32 v3, s43, v11
	s_delay_alu instid0(VALU_DEP_1)
	v_cmpx_ne_u64_e32 0, v[2:3]
	s_wait_alu 0xfffe
	s_xor_b32 s48, exec_lo, s0
	s_cbranch_execz .LBB30_24
; %bb.23:                               ;   in Loop: Header=BB30_22 Depth=2
	s_ashr_i32 s44, s43, 31
	v_ashrrev_i32_e32 v3, 31, v11
	s_wait_alu 0xfffe
	s_mov_b32 s45, s44
	s_wait_alu 0xfffe
	s_add_nc_u64 s[46:47], s[42:43], s[44:45]
	v_add_co_u32 v12, vcc_lo, v10, v3
	s_wait_alu 0xfffe
	s_xor_b64 s[46:47], s[46:47], s[44:45]
	s_wait_alu 0xfffd
	v_add_co_ci_u32_e64 v13, null, v11, v3, vcc_lo
	s_wait_alu 0xfffe
	s_cvt_f32_u32 s0, s46
	s_cvt_f32_u32 s12, s47
	s_sub_nc_u64 s[52:53], 0, s[46:47]
	v_xor_b32_e32 v18, v12, v3
	v_xor_b32_e32 v19, v13, v3
	s_wait_alu 0xfffe
	s_fmamk_f32 s0, s12, 0x4f800000, s0
	v_xor_b32_e32 v3, s44, v3
	s_wait_alu 0xfffe
	s_delay_alu instid0(SALU_CYCLE_1) | instskip(NEXT) | instid1(TRANS32_DEP_1)
	v_s_rcp_f32 s0, s0
	s_mul_f32 s0, s0, 0x5f7ffffc
	s_wait_alu 0xfffe
	s_delay_alu instid0(SALU_CYCLE_2) | instskip(SKIP_1) | instid1(SALU_CYCLE_2)
	s_mul_f32 s12, s0, 0x2f800000
	s_wait_alu 0xfffe
	s_trunc_f32 s12, s12
	s_wait_alu 0xfffe
	s_delay_alu instid0(SALU_CYCLE_2) | instskip(SKIP_2) | instid1(SALU_CYCLE_1)
	s_fmamk_f32 s0, s12, 0xcf800000, s0
	s_cvt_u32_f32 s51, s12
	s_wait_alu 0xfffe
	s_cvt_u32_f32 s50, s0
	s_wait_alu 0xfffe
	s_delay_alu instid0(SALU_CYCLE_2)
	s_mul_u64 s[54:55], s[52:53], s[50:51]
	s_wait_alu 0xfffe
	s_mul_hi_u32 s57, s50, s55
	s_mul_i32 s56, s50, s55
	s_mul_hi_u32 s12, s50, s54
	s_mul_i32 s45, s51, s54
	s_wait_alu 0xfffe
	s_add_nc_u64 s[56:57], s[12:13], s[56:57]
	s_mul_hi_u32 s0, s51, s54
	s_mul_hi_u32 s49, s51, s55
	s_wait_alu 0xfffe
	s_add_co_u32 s12, s56, s45
	s_add_co_ci_u32 s12, s57, s0
	s_mul_i32 s54, s51, s55
	s_add_co_ci_u32 s55, s49, 0
	s_wait_alu 0xfffe
	s_add_nc_u64 s[54:55], s[12:13], s[54:55]
	s_wait_alu 0xfffe
	s_add_co_u32 s50, s50, s54
	s_cselect_b32 s0, -1, 0
	s_wait_alu 0xfffe
	s_cmp_lg_u32 s0, 0
	s_add_co_ci_u32 s51, s51, s55
	s_wait_alu 0xfffe
	s_mul_u64 s[52:53], s[52:53], s[50:51]
	s_wait_alu 0xfffe
	s_mul_hi_u32 s55, s50, s53
	s_mul_i32 s54, s50, s53
	s_mul_hi_u32 s12, s50, s52
	s_mul_i32 s45, s51, s52
	s_wait_alu 0xfffe
	s_add_nc_u64 s[54:55], s[12:13], s[54:55]
	s_mul_hi_u32 s0, s51, s52
	s_mul_hi_u32 s49, s51, s53
	s_wait_alu 0xfffe
	s_add_co_u32 s12, s54, s45
	s_add_co_ci_u32 s12, s55, s0
	s_mul_i32 s52, s51, s53
	s_add_co_ci_u32 s53, s49, 0
	s_wait_alu 0xfffe
	s_add_nc_u64 s[52:53], s[12:13], s[52:53]
	s_wait_alu 0xfffe
	s_add_co_u32 s0, s50, s52
	s_cselect_b32 s12, -1, 0
	s_wait_alu 0xfffe
	v_mul_hi_u32 v22, v18, s0
	s_cmp_lg_u32 s12, 0
	v_mad_co_u64_u32 v[14:15], null, v19, s0, 0
	s_add_co_ci_u32 s12, s51, s53
	s_wait_alu 0xfffe
	v_mad_co_u64_u32 v[12:13], null, v18, s12, 0
	v_mad_co_u64_u32 v[16:17], null, v19, s12, 0
	s_delay_alu instid0(VALU_DEP_2) | instskip(SKIP_1) | instid1(VALU_DEP_3)
	v_add_co_u32 v12, vcc_lo, v22, v12
	s_wait_alu 0xfffd
	v_add_co_ci_u32_e64 v13, null, 0, v13, vcc_lo
	s_delay_alu instid0(VALU_DEP_2) | instskip(SKIP_1) | instid1(VALU_DEP_2)
	v_add_co_u32 v12, vcc_lo, v12, v14
	s_wait_alu 0xfffd
	v_add_co_ci_u32_e32 v12, vcc_lo, v13, v15, vcc_lo
	s_wait_alu 0xfffd
	v_add_co_ci_u32_e32 v13, vcc_lo, 0, v17, vcc_lo
	s_delay_alu instid0(VALU_DEP_2) | instskip(SKIP_1) | instid1(VALU_DEP_2)
	v_add_co_u32 v14, vcc_lo, v12, v16
	s_wait_alu 0xfffd
	v_add_co_ci_u32_e64 v15, null, 0, v13, vcc_lo
	s_delay_alu instid0(VALU_DEP_2) | instskip(SKIP_1) | instid1(VALU_DEP_3)
	v_mul_lo_u32 v16, s47, v14
	v_mad_co_u64_u32 v[12:13], null, s46, v14, 0
	v_mul_lo_u32 v17, s46, v15
	s_delay_alu instid0(VALU_DEP_2) | instskip(NEXT) | instid1(VALU_DEP_2)
	v_sub_co_u32 v12, vcc_lo, v18, v12
	v_add3_u32 v13, v13, v17, v16
	v_add_co_u32 v17, s0, v14, 2
	s_wait_alu 0xf1ff
	v_add_co_ci_u32_e64 v18, null, 0, v15, s0
	s_delay_alu instid0(VALU_DEP_3) | instskip(SKIP_3) | instid1(VALU_DEP_3)
	v_sub_nc_u32_e32 v16, v19, v13
	v_sub_co_u32 v22, s0, v12, s46
	s_wait_alu 0xfffd
	v_sub_co_ci_u32_e64 v13, null, v19, v13, vcc_lo
	v_subrev_co_ci_u32_e64 v16, null, s47, v16, vcc_lo
	s_delay_alu instid0(VALU_DEP_3) | instskip(SKIP_1) | instid1(VALU_DEP_2)
	v_cmp_le_u32_e32 vcc_lo, s46, v22
	s_wait_alu 0xf1ff
	v_subrev_co_ci_u32_e64 v16, null, 0, v16, s0
	s_wait_alu 0xfffd
	v_cndmask_b32_e64 v19, 0, -1, vcc_lo
	s_delay_alu instid0(VALU_DEP_2)
	v_cmp_le_u32_e32 vcc_lo, s47, v16
	s_wait_alu 0xfffd
	v_cndmask_b32_e64 v22, 0, -1, vcc_lo
	v_cmp_le_u32_e32 vcc_lo, s46, v12
	s_wait_alu 0xfffd
	v_cndmask_b32_e64 v12, 0, -1, vcc_lo
	;; [unrolled: 3-line block ×3, first 2 shown]
	v_cmp_eq_u32_e32 vcc_lo, s47, v16
	s_wait_alu 0xfffd
	v_cndmask_b32_e32 v16, v22, v19, vcc_lo
	v_add_co_u32 v19, vcc_lo, v14, 1
	s_wait_alu 0xfffd
	v_add_co_ci_u32_e64 v22, null, 0, v15, vcc_lo
	v_cmp_eq_u32_e32 vcc_lo, s47, v13
	s_wait_alu 0xfffd
	v_cndmask_b32_e32 v12, v23, v12, vcc_lo
	v_cmp_ne_u32_e32 vcc_lo, 0, v16
	s_wait_alu 0xfffd
	v_cndmask_b32_e32 v13, v22, v18, vcc_lo
	s_delay_alu instid0(VALU_DEP_3) | instskip(SKIP_2) | instid1(VALU_DEP_2)
	v_cmp_ne_u32_e64 s0, 0, v12
	v_cndmask_b32_e32 v12, v19, v17, vcc_lo
	s_wait_alu 0xf1ff
	v_cndmask_b32_e64 v13, v15, v13, s0
	s_delay_alu instid0(VALU_DEP_2) | instskip(NEXT) | instid1(VALU_DEP_2)
	v_cndmask_b32_e64 v12, v14, v12, s0
	v_xor_b32_e32 v13, v13, v3
	s_delay_alu instid0(VALU_DEP_2) | instskip(NEXT) | instid1(VALU_DEP_1)
	v_xor_b32_e32 v12, v12, v3
	v_sub_co_u32 v12, vcc_lo, v12, v3
	s_wait_alu 0xfffd
	s_delay_alu instid0(VALU_DEP_3)
	v_sub_co_ci_u32_e64 v13, null, v13, v3, vcc_lo
.LBB30_24:                              ;   in Loop: Header=BB30_22 Depth=2
	s_wait_alu 0xfffe
	s_and_not1_saveexec_b32 s0, s48
	s_cbranch_execz .LBB30_26
; %bb.25:                               ;   in Loop: Header=BB30_22 Depth=2
	v_cvt_f32_u32_e32 v3, s42
	s_sub_co_i32 s12, 0, s42
	s_delay_alu instid0(VALU_DEP_1) | instskip(NEXT) | instid1(TRANS32_DEP_1)
	v_rcp_iflag_f32_e32 v3, v3
	v_mul_f32_e32 v3, 0x4f7ffffe, v3
	s_delay_alu instid0(VALU_DEP_1) | instskip(SKIP_1) | instid1(VALU_DEP_1)
	v_cvt_u32_f32_e32 v3, v3
	s_wait_alu 0xfffe
	v_mul_lo_u32 v12, s12, v3
	s_delay_alu instid0(VALU_DEP_1) | instskip(NEXT) | instid1(VALU_DEP_1)
	v_mul_hi_u32 v12, v3, v12
	v_add_nc_u32_e32 v3, v3, v12
	s_delay_alu instid0(VALU_DEP_1) | instskip(NEXT) | instid1(VALU_DEP_1)
	v_mul_hi_u32 v3, v10, v3
	v_mul_lo_u32 v12, v3, s42
	v_add_nc_u32_e32 v13, 1, v3
	s_delay_alu instid0(VALU_DEP_2) | instskip(NEXT) | instid1(VALU_DEP_1)
	v_sub_nc_u32_e32 v12, v10, v12
	v_subrev_nc_u32_e32 v14, s42, v12
	v_cmp_le_u32_e32 vcc_lo, s42, v12
	s_wait_alu 0xfffd
	s_delay_alu instid0(VALU_DEP_2) | instskip(NEXT) | instid1(VALU_DEP_1)
	v_dual_cndmask_b32 v12, v12, v14 :: v_dual_cndmask_b32 v3, v3, v13
	v_cmp_le_u32_e32 vcc_lo, s42, v12
	s_delay_alu instid0(VALU_DEP_2) | instskip(SKIP_1) | instid1(VALU_DEP_1)
	v_add_nc_u32_e32 v13, 1, v3
	s_wait_alu 0xfffd
	v_dual_cndmask_b32 v12, v3, v13 :: v_dual_mov_b32 v13, v2
.LBB30_26:                              ;   in Loop: Header=BB30_22 Depth=2
	s_wait_alu 0xfffe
	s_or_b32 exec_lo, exec_lo, s0
	s_load_b64 s[46:47], s[38:39], 0x10
	s_load_b64 s[44:45], s[36:37], 0x18
                                        ; implicit-def: $vgpr14_vgpr15
	s_mov_b32 s0, exec_lo
	s_wait_kmcnt 0x0
	v_or_b32_e32 v3, s47, v13
	s_delay_alu instid0(VALU_DEP_1)
	v_cmpx_ne_u64_e32 0, v[2:3]
	s_wait_alu 0xfffe
	s_xor_b32 s52, exec_lo, s0
	s_cbranch_execz .LBB30_28
; %bb.27:                               ;   in Loop: Header=BB30_22 Depth=2
	s_ashr_i32 s48, s47, 31
	v_ashrrev_i32_e32 v3, 31, v13
	s_wait_alu 0xfffe
	s_mov_b32 s49, s48
	s_wait_alu 0xfffe
	s_add_nc_u64 s[50:51], s[46:47], s[48:49]
	v_add_co_u32 v14, vcc_lo, v12, v3
	s_wait_alu 0xfffe
	s_xor_b64 s[50:51], s[50:51], s[48:49]
	s_wait_alu 0xfffd
	v_add_co_ci_u32_e64 v15, null, v13, v3, vcc_lo
	s_wait_alu 0xfffe
	s_cvt_f32_u32 s0, s50
	s_cvt_f32_u32 s12, s51
	s_sub_nc_u64 s[56:57], 0, s[50:51]
	v_xor_b32_e32 v22, v14, v3
	v_xor_b32_e32 v23, v15, v3
	s_wait_alu 0xfffe
	s_fmamk_f32 s0, s12, 0x4f800000, s0
	v_xor_b32_e32 v3, s48, v3
	s_wait_alu 0xfffe
	s_delay_alu instid0(SALU_CYCLE_1) | instskip(NEXT) | instid1(TRANS32_DEP_1)
	v_s_rcp_f32 s0, s0
	s_mul_f32 s0, s0, 0x5f7ffffc
	s_wait_alu 0xfffe
	s_delay_alu instid0(SALU_CYCLE_2) | instskip(SKIP_1) | instid1(SALU_CYCLE_2)
	s_mul_f32 s12, s0, 0x2f800000
	s_wait_alu 0xfffe
	s_trunc_f32 s12, s12
	s_wait_alu 0xfffe
	s_delay_alu instid0(SALU_CYCLE_2) | instskip(SKIP_2) | instid1(SALU_CYCLE_1)
	s_fmamk_f32 s0, s12, 0xcf800000, s0
	s_cvt_u32_f32 s55, s12
	s_wait_alu 0xfffe
	s_cvt_u32_f32 s54, s0
	s_wait_alu 0xfffe
	s_delay_alu instid0(SALU_CYCLE_2)
	s_mul_u64 s[58:59], s[56:57], s[54:55]
	s_wait_alu 0xfffe
	s_mul_hi_u32 s65, s54, s59
	s_mul_i32 s64, s54, s59
	s_mul_hi_u32 s12, s54, s58
	s_mul_i32 s49, s55, s58
	s_wait_alu 0xfffe
	s_add_nc_u64 s[64:65], s[12:13], s[64:65]
	s_mul_hi_u32 s0, s55, s58
	s_mul_hi_u32 s53, s55, s59
	s_add_co_u32 s12, s64, s49
	s_wait_alu 0xfffe
	s_add_co_ci_u32 s12, s65, s0
	s_mul_i32 s58, s55, s59
	s_add_co_ci_u32 s59, s53, 0
	s_wait_alu 0xfffe
	s_add_nc_u64 s[58:59], s[12:13], s[58:59]
	s_wait_alu 0xfffe
	s_add_co_u32 s54, s54, s58
	s_cselect_b32 s0, -1, 0
	s_wait_alu 0xfffe
	s_cmp_lg_u32 s0, 0
	s_add_co_ci_u32 s55, s55, s59
	s_wait_alu 0xfffe
	s_mul_u64 s[56:57], s[56:57], s[54:55]
	s_wait_alu 0xfffe
	s_mul_hi_u32 s59, s54, s57
	s_mul_i32 s58, s54, s57
	s_mul_hi_u32 s12, s54, s56
	s_mul_i32 s49, s55, s56
	s_wait_alu 0xfffe
	s_add_nc_u64 s[58:59], s[12:13], s[58:59]
	s_mul_hi_u32 s0, s55, s56
	s_mul_hi_u32 s53, s55, s57
	s_wait_alu 0xfffe
	s_add_co_u32 s12, s58, s49
	s_add_co_ci_u32 s12, s59, s0
	s_mul_i32 s56, s55, s57
	s_add_co_ci_u32 s57, s53, 0
	s_wait_alu 0xfffe
	s_add_nc_u64 s[56:57], s[12:13], s[56:57]
	s_wait_alu 0xfffe
	s_add_co_u32 s0, s54, s56
	s_cselect_b32 s12, -1, 0
	s_wait_alu 0xfffe
	v_mul_hi_u32 v24, v22, s0
	s_cmp_lg_u32 s12, 0
	v_mad_co_u64_u32 v[16:17], null, v23, s0, 0
	s_add_co_ci_u32 s12, s55, s57
	s_wait_alu 0xfffe
	v_mad_co_u64_u32 v[14:15], null, v22, s12, 0
	v_mad_co_u64_u32 v[18:19], null, v23, s12, 0
	s_delay_alu instid0(VALU_DEP_2) | instskip(SKIP_1) | instid1(VALU_DEP_3)
	v_add_co_u32 v14, vcc_lo, v24, v14
	s_wait_alu 0xfffd
	v_add_co_ci_u32_e64 v15, null, 0, v15, vcc_lo
	s_delay_alu instid0(VALU_DEP_2) | instskip(SKIP_1) | instid1(VALU_DEP_2)
	v_add_co_u32 v14, vcc_lo, v14, v16
	s_wait_alu 0xfffd
	v_add_co_ci_u32_e32 v14, vcc_lo, v15, v17, vcc_lo
	s_wait_alu 0xfffd
	v_add_co_ci_u32_e32 v15, vcc_lo, 0, v19, vcc_lo
	s_delay_alu instid0(VALU_DEP_2) | instskip(SKIP_1) | instid1(VALU_DEP_2)
	v_add_co_u32 v16, vcc_lo, v14, v18
	s_wait_alu 0xfffd
	v_add_co_ci_u32_e64 v17, null, 0, v15, vcc_lo
	s_delay_alu instid0(VALU_DEP_2) | instskip(SKIP_1) | instid1(VALU_DEP_3)
	v_mul_lo_u32 v18, s51, v16
	v_mad_co_u64_u32 v[14:15], null, s50, v16, 0
	v_mul_lo_u32 v19, s50, v17
	s_delay_alu instid0(VALU_DEP_2) | instskip(NEXT) | instid1(VALU_DEP_2)
	v_sub_co_u32 v14, vcc_lo, v22, v14
	v_add3_u32 v15, v15, v19, v18
	v_add_co_u32 v19, s0, v16, 2
	s_wait_alu 0xf1ff
	v_add_co_ci_u32_e64 v22, null, 0, v17, s0
	s_delay_alu instid0(VALU_DEP_3) | instskip(SKIP_3) | instid1(VALU_DEP_3)
	v_sub_nc_u32_e32 v18, v23, v15
	v_sub_co_u32 v24, s0, v14, s50
	s_wait_alu 0xfffd
	v_sub_co_ci_u32_e64 v15, null, v23, v15, vcc_lo
	v_subrev_co_ci_u32_e64 v18, null, s51, v18, vcc_lo
	s_delay_alu instid0(VALU_DEP_3) | instskip(SKIP_1) | instid1(VALU_DEP_2)
	v_cmp_le_u32_e32 vcc_lo, s50, v24
	s_wait_alu 0xf1ff
	v_subrev_co_ci_u32_e64 v18, null, 0, v18, s0
	s_wait_alu 0xfffd
	v_cndmask_b32_e64 v23, 0, -1, vcc_lo
	s_delay_alu instid0(VALU_DEP_2)
	v_cmp_le_u32_e32 vcc_lo, s51, v18
	s_wait_alu 0xfffd
	v_cndmask_b32_e64 v24, 0, -1, vcc_lo
	v_cmp_le_u32_e32 vcc_lo, s50, v14
	s_wait_alu 0xfffd
	v_cndmask_b32_e64 v14, 0, -1, vcc_lo
	;; [unrolled: 3-line block ×3, first 2 shown]
	v_cmp_eq_u32_e32 vcc_lo, s51, v18
	s_wait_alu 0xfffd
	v_cndmask_b32_e32 v18, v24, v23, vcc_lo
	v_add_co_u32 v23, vcc_lo, v16, 1
	s_wait_alu 0xfffd
	v_add_co_ci_u32_e64 v24, null, 0, v17, vcc_lo
	v_cmp_eq_u32_e32 vcc_lo, s51, v15
	s_wait_alu 0xfffd
	v_cndmask_b32_e32 v14, v25, v14, vcc_lo
	v_cmp_ne_u32_e32 vcc_lo, 0, v18
	s_delay_alu instid0(VALU_DEP_2) | instskip(SKIP_3) | instid1(VALU_DEP_1)
	v_cmp_ne_u32_e64 s0, 0, v14
	s_wait_alu 0xfffd
	v_dual_cndmask_b32 v15, v24, v22 :: v_dual_cndmask_b32 v14, v23, v19
	s_wait_alu 0xf1ff
	v_cndmask_b32_e64 v15, v17, v15, s0
	s_delay_alu instid0(VALU_DEP_2) | instskip(NEXT) | instid1(VALU_DEP_2)
	v_cndmask_b32_e64 v14, v16, v14, s0
	v_xor_b32_e32 v15, v15, v3
	s_delay_alu instid0(VALU_DEP_2) | instskip(NEXT) | instid1(VALU_DEP_1)
	v_xor_b32_e32 v14, v14, v3
	v_sub_co_u32 v14, vcc_lo, v14, v3
	s_wait_alu 0xfffd
	s_delay_alu instid0(VALU_DEP_3)
	v_sub_co_ci_u32_e64 v15, null, v15, v3, vcc_lo
.LBB30_28:                              ;   in Loop: Header=BB30_22 Depth=2
	s_wait_alu 0xfffe
	s_and_not1_saveexec_b32 s0, s52
	s_cbranch_execz .LBB30_30
; %bb.29:                               ;   in Loop: Header=BB30_22 Depth=2
	v_cvt_f32_u32_e32 v3, s46
	s_sub_co_i32 s12, 0, s46
	s_delay_alu instid0(VALU_DEP_1) | instskip(NEXT) | instid1(TRANS32_DEP_1)
	v_rcp_iflag_f32_e32 v3, v3
	v_mul_f32_e32 v3, 0x4f7ffffe, v3
	s_delay_alu instid0(VALU_DEP_1) | instskip(SKIP_1) | instid1(VALU_DEP_1)
	v_cvt_u32_f32_e32 v3, v3
	s_wait_alu 0xfffe
	v_mul_lo_u32 v14, s12, v3
	s_delay_alu instid0(VALU_DEP_1) | instskip(NEXT) | instid1(VALU_DEP_1)
	v_mul_hi_u32 v14, v3, v14
	v_add_nc_u32_e32 v3, v3, v14
	s_delay_alu instid0(VALU_DEP_1) | instskip(NEXT) | instid1(VALU_DEP_1)
	v_mul_hi_u32 v3, v12, v3
	v_mul_lo_u32 v14, v3, s46
	v_add_nc_u32_e32 v15, 1, v3
	s_delay_alu instid0(VALU_DEP_2) | instskip(NEXT) | instid1(VALU_DEP_1)
	v_sub_nc_u32_e32 v14, v12, v14
	v_subrev_nc_u32_e32 v16, s46, v14
	v_cmp_le_u32_e32 vcc_lo, s46, v14
	s_wait_alu 0xfffd
	s_delay_alu instid0(VALU_DEP_2) | instskip(NEXT) | instid1(VALU_DEP_1)
	v_dual_cndmask_b32 v14, v14, v16 :: v_dual_cndmask_b32 v3, v3, v15
	v_cmp_le_u32_e32 vcc_lo, s46, v14
	s_delay_alu instid0(VALU_DEP_2) | instskip(SKIP_1) | instid1(VALU_DEP_1)
	v_add_nc_u32_e32 v15, 1, v3
	s_wait_alu 0xfffd
	v_dual_cndmask_b32 v14, v3, v15 :: v_dual_mov_b32 v15, v2
.LBB30_30:                              ;   in Loop: Header=BB30_22 Depth=2
	s_wait_alu 0xfffe
	s_or_b32 exec_lo, exec_lo, s0
	s_load_b64 s[50:51], s[38:39], 0x8
	s_load_b64 s[48:49], s[36:37], 0x10
                                        ; implicit-def: $vgpr16_vgpr17
	s_mov_b32 s0, exec_lo
	s_wait_kmcnt 0x0
	v_or_b32_e32 v3, s51, v15
	s_delay_alu instid0(VALU_DEP_1)
	v_cmpx_ne_u64_e32 0, v[2:3]
	s_wait_alu 0xfffe
	s_xor_b32 s56, exec_lo, s0
	s_cbranch_execz .LBB30_32
; %bb.31:                               ;   in Loop: Header=BB30_22 Depth=2
	s_ashr_i32 s52, s51, 31
	v_ashrrev_i32_e32 v3, 31, v15
	s_wait_alu 0xfffe
	s_mov_b32 s53, s52
	s_wait_alu 0xfffe
	s_add_nc_u64 s[54:55], s[50:51], s[52:53]
	v_add_co_u32 v16, vcc_lo, v14, v3
	s_wait_alu 0xfffe
	s_xor_b64 s[54:55], s[54:55], s[52:53]
	s_wait_alu 0xfffd
	v_add_co_ci_u32_e64 v17, null, v15, v3, vcc_lo
	s_wait_alu 0xfffe
	s_cvt_f32_u32 s0, s54
	s_cvt_f32_u32 s12, s55
	s_sub_nc_u64 s[64:65], 0, s[54:55]
	v_xor_b32_e32 v24, v16, v3
	v_xor_b32_e32 v25, v17, v3
	s_wait_alu 0xfffe
	s_fmamk_f32 s0, s12, 0x4f800000, s0
	v_xor_b32_e32 v3, s52, v3
	s_wait_alu 0xfffe
	s_delay_alu instid0(SALU_CYCLE_1) | instskip(NEXT) | instid1(TRANS32_DEP_1)
	v_s_rcp_f32 s0, s0
	s_mul_f32 s0, s0, 0x5f7ffffc
	s_wait_alu 0xfffe
	s_delay_alu instid0(SALU_CYCLE_2) | instskip(SKIP_1) | instid1(SALU_CYCLE_2)
	s_mul_f32 s12, s0, 0x2f800000
	s_wait_alu 0xfffe
	s_trunc_f32 s12, s12
	s_wait_alu 0xfffe
	s_delay_alu instid0(SALU_CYCLE_2) | instskip(SKIP_2) | instid1(SALU_CYCLE_1)
	s_fmamk_f32 s0, s12, 0xcf800000, s0
	s_cvt_u32_f32 s59, s12
	s_wait_alu 0xfffe
	s_cvt_u32_f32 s58, s0
	s_wait_alu 0xfffe
	s_delay_alu instid0(SALU_CYCLE_2) | instskip(NEXT) | instid1(SALU_CYCLE_1)
	s_mul_u64 s[66:67], s[64:65], s[58:59]
	s_mul_hi_u32 s69, s58, s67
	s_mul_i32 s68, s58, s67
	s_mul_hi_u32 s12, s58, s66
	s_mul_i32 s53, s59, s66
	s_wait_alu 0xfffe
	s_add_nc_u64 s[68:69], s[12:13], s[68:69]
	s_mul_hi_u32 s0, s59, s66
	s_mul_hi_u32 s57, s59, s67
	s_add_co_u32 s12, s68, s53
	s_wait_alu 0xfffe
	s_add_co_ci_u32 s12, s69, s0
	s_mul_i32 s66, s59, s67
	s_add_co_ci_u32 s67, s57, 0
	s_wait_alu 0xfffe
	s_add_nc_u64 s[66:67], s[12:13], s[66:67]
	s_delay_alu instid0(SALU_CYCLE_1)
	s_add_co_u32 s58, s58, s66
	s_cselect_b32 s0, -1, 0
	s_wait_alu 0xfffe
	s_cmp_lg_u32 s0, 0
	s_add_co_ci_u32 s59, s59, s67
	s_wait_alu 0xfffe
	s_mul_u64 s[64:65], s[64:65], s[58:59]
	s_delay_alu instid0(SALU_CYCLE_1)
	s_mul_hi_u32 s67, s58, s65
	s_mul_i32 s66, s58, s65
	s_mul_hi_u32 s12, s58, s64
	s_mul_i32 s53, s59, s64
	s_wait_alu 0xfffe
	s_add_nc_u64 s[66:67], s[12:13], s[66:67]
	s_mul_hi_u32 s0, s59, s64
	s_mul_hi_u32 s57, s59, s65
	s_add_co_u32 s12, s66, s53
	s_wait_alu 0xfffe
	s_add_co_ci_u32 s12, s67, s0
	s_mul_i32 s64, s59, s65
	s_add_co_ci_u32 s65, s57, 0
	s_wait_alu 0xfffe
	s_add_nc_u64 s[64:65], s[12:13], s[64:65]
	s_delay_alu instid0(SALU_CYCLE_1)
	s_add_co_u32 s0, s58, s64
	s_cselect_b32 s12, -1, 0
	s_wait_alu 0xfffe
	v_mul_hi_u32 v26, v24, s0
	s_cmp_lg_u32 s12, 0
	v_mad_co_u64_u32 v[18:19], null, v25, s0, 0
	s_add_co_ci_u32 s12, s59, s65
	s_wait_alu 0xfffe
	v_mad_co_u64_u32 v[16:17], null, v24, s12, 0
	v_mad_co_u64_u32 v[22:23], null, v25, s12, 0
	s_delay_alu instid0(VALU_DEP_2) | instskip(SKIP_1) | instid1(VALU_DEP_3)
	v_add_co_u32 v16, vcc_lo, v26, v16
	s_wait_alu 0xfffd
	v_add_co_ci_u32_e64 v17, null, 0, v17, vcc_lo
	s_delay_alu instid0(VALU_DEP_2) | instskip(SKIP_1) | instid1(VALU_DEP_2)
	v_add_co_u32 v16, vcc_lo, v16, v18
	s_wait_alu 0xfffd
	v_add_co_ci_u32_e32 v16, vcc_lo, v17, v19, vcc_lo
	s_wait_alu 0xfffd
	v_add_co_ci_u32_e32 v17, vcc_lo, 0, v23, vcc_lo
	s_delay_alu instid0(VALU_DEP_2) | instskip(SKIP_1) | instid1(VALU_DEP_2)
	v_add_co_u32 v18, vcc_lo, v16, v22
	s_wait_alu 0xfffd
	v_add_co_ci_u32_e64 v19, null, 0, v17, vcc_lo
	s_delay_alu instid0(VALU_DEP_2) | instskip(SKIP_1) | instid1(VALU_DEP_3)
	v_mul_lo_u32 v22, s55, v18
	v_mad_co_u64_u32 v[16:17], null, s54, v18, 0
	v_mul_lo_u32 v23, s54, v19
	s_delay_alu instid0(VALU_DEP_2) | instskip(NEXT) | instid1(VALU_DEP_2)
	v_sub_co_u32 v16, vcc_lo, v24, v16
	v_add3_u32 v17, v17, v23, v22
	v_add_co_u32 v23, s0, v18, 2
	s_wait_alu 0xf1ff
	v_add_co_ci_u32_e64 v24, null, 0, v19, s0
	s_delay_alu instid0(VALU_DEP_3) | instskip(SKIP_3) | instid1(VALU_DEP_3)
	v_sub_nc_u32_e32 v22, v25, v17
	v_sub_co_u32 v26, s0, v16, s54
	s_wait_alu 0xfffd
	v_sub_co_ci_u32_e64 v17, null, v25, v17, vcc_lo
	v_subrev_co_ci_u32_e64 v22, null, s55, v22, vcc_lo
	s_delay_alu instid0(VALU_DEP_3) | instskip(SKIP_1) | instid1(VALU_DEP_2)
	v_cmp_le_u32_e32 vcc_lo, s54, v26
	s_wait_alu 0xf1ff
	v_subrev_co_ci_u32_e64 v22, null, 0, v22, s0
	s_wait_alu 0xfffd
	v_cndmask_b32_e64 v25, 0, -1, vcc_lo
	s_delay_alu instid0(VALU_DEP_2)
	v_cmp_le_u32_e32 vcc_lo, s55, v22
	s_wait_alu 0xfffd
	v_cndmask_b32_e64 v26, 0, -1, vcc_lo
	v_cmp_le_u32_e32 vcc_lo, s54, v16
	s_wait_alu 0xfffd
	v_cndmask_b32_e64 v16, 0, -1, vcc_lo
	;; [unrolled: 3-line block ×3, first 2 shown]
	v_cmp_eq_u32_e32 vcc_lo, s55, v22
	s_wait_alu 0xfffd
	v_cndmask_b32_e32 v22, v26, v25, vcc_lo
	v_add_co_u32 v25, vcc_lo, v18, 1
	s_wait_alu 0xfffd
	v_add_co_ci_u32_e64 v26, null, 0, v19, vcc_lo
	v_cmp_eq_u32_e32 vcc_lo, s55, v17
	s_wait_alu 0xfffd
	v_cndmask_b32_e32 v16, v27, v16, vcc_lo
	v_cmp_ne_u32_e32 vcc_lo, 0, v22
	s_delay_alu instid0(VALU_DEP_2) | instskip(SKIP_3) | instid1(VALU_DEP_1)
	v_cmp_ne_u32_e64 s0, 0, v16
	s_wait_alu 0xfffd
	v_dual_cndmask_b32 v17, v26, v24 :: v_dual_cndmask_b32 v16, v25, v23
	s_wait_alu 0xf1ff
	v_cndmask_b32_e64 v17, v19, v17, s0
	s_delay_alu instid0(VALU_DEP_2) | instskip(NEXT) | instid1(VALU_DEP_2)
	v_cndmask_b32_e64 v16, v18, v16, s0
	v_xor_b32_e32 v17, v17, v3
	s_delay_alu instid0(VALU_DEP_2) | instskip(NEXT) | instid1(VALU_DEP_1)
	v_xor_b32_e32 v16, v16, v3
	v_sub_co_u32 v16, vcc_lo, v16, v3
	s_wait_alu 0xfffd
	s_delay_alu instid0(VALU_DEP_3)
	v_sub_co_ci_u32_e64 v17, null, v17, v3, vcc_lo
.LBB30_32:                              ;   in Loop: Header=BB30_22 Depth=2
	s_wait_alu 0xfffe
	s_and_not1_saveexec_b32 s0, s56
	s_cbranch_execz .LBB30_34
; %bb.33:                               ;   in Loop: Header=BB30_22 Depth=2
	v_cvt_f32_u32_e32 v3, s50
	s_sub_co_i32 s12, 0, s50
	s_delay_alu instid0(VALU_DEP_1) | instskip(NEXT) | instid1(TRANS32_DEP_1)
	v_rcp_iflag_f32_e32 v3, v3
	v_mul_f32_e32 v3, 0x4f7ffffe, v3
	s_delay_alu instid0(VALU_DEP_1) | instskip(SKIP_1) | instid1(VALU_DEP_1)
	v_cvt_u32_f32_e32 v3, v3
	s_wait_alu 0xfffe
	v_mul_lo_u32 v16, s12, v3
	s_delay_alu instid0(VALU_DEP_1) | instskip(NEXT) | instid1(VALU_DEP_1)
	v_mul_hi_u32 v16, v3, v16
	v_add_nc_u32_e32 v3, v3, v16
	s_delay_alu instid0(VALU_DEP_1) | instskip(NEXT) | instid1(VALU_DEP_1)
	v_mul_hi_u32 v3, v14, v3
	v_mul_lo_u32 v16, v3, s50
	v_add_nc_u32_e32 v17, 1, v3
	s_delay_alu instid0(VALU_DEP_2) | instskip(NEXT) | instid1(VALU_DEP_1)
	v_sub_nc_u32_e32 v16, v14, v16
	v_subrev_nc_u32_e32 v18, s50, v16
	v_cmp_le_u32_e32 vcc_lo, s50, v16
	s_wait_alu 0xfffd
	s_delay_alu instid0(VALU_DEP_2) | instskip(NEXT) | instid1(VALU_DEP_1)
	v_dual_cndmask_b32 v16, v16, v18 :: v_dual_cndmask_b32 v3, v3, v17
	v_cmp_le_u32_e32 vcc_lo, s50, v16
	s_delay_alu instid0(VALU_DEP_2) | instskip(SKIP_1) | instid1(VALU_DEP_1)
	v_add_nc_u32_e32 v17, 1, v3
	s_wait_alu 0xfffd
	v_dual_cndmask_b32 v16, v3, v17 :: v_dual_mov_b32 v17, v2
.LBB30_34:                              ;   in Loop: Header=BB30_22 Depth=2
	s_wait_alu 0xfffe
	s_or_b32 exec_lo, exec_lo, s0
	s_load_b64 s[54:55], s[38:39], 0x0
	s_load_b64 s[52:53], s[36:37], 0x8
                                        ; implicit-def: $vgpr18_vgpr19
	s_mov_b32 s0, exec_lo
	s_wait_kmcnt 0x0
	v_or_b32_e32 v3, s55, v17
	s_delay_alu instid0(VALU_DEP_1)
	v_cmpx_ne_u64_e32 0, v[2:3]
	s_wait_alu 0xfffe
	s_xor_b32 s63, exec_lo, s0
	s_cbranch_execz .LBB30_36
; %bb.35:                               ;   in Loop: Header=BB30_22 Depth=2
	s_ashr_i32 s56, s55, 31
	v_ashrrev_i32_e32 v3, 31, v17
	s_wait_alu 0xfffe
	s_mov_b32 s57, s56
	s_wait_alu 0xfffe
	s_add_nc_u64 s[58:59], s[54:55], s[56:57]
	v_add_co_u32 v18, vcc_lo, v16, v3
	s_wait_alu 0xfffe
	s_xor_b64 s[58:59], s[58:59], s[56:57]
	s_wait_alu 0xfffd
	v_add_co_ci_u32_e64 v19, null, v17, v3, vcc_lo
	s_wait_alu 0xfffe
	s_cvt_f32_u32 s0, s58
	s_cvt_f32_u32 s12, s59
	s_sub_nc_u64 s[66:67], 0, s[58:59]
	v_xor_b32_e32 v26, v18, v3
	v_xor_b32_e32 v27, v19, v3
	s_wait_alu 0xfffe
	s_fmamk_f32 s0, s12, 0x4f800000, s0
	v_xor_b32_e32 v3, s56, v3
	s_wait_alu 0xfffe
	s_delay_alu instid0(SALU_CYCLE_1) | instskip(NEXT) | instid1(TRANS32_DEP_1)
	v_s_rcp_f32 s0, s0
	s_mul_f32 s0, s0, 0x5f7ffffc
	s_wait_alu 0xfffe
	s_delay_alu instid0(SALU_CYCLE_2) | instskip(SKIP_1) | instid1(SALU_CYCLE_2)
	s_mul_f32 s12, s0, 0x2f800000
	s_wait_alu 0xfffe
	s_trunc_f32 s12, s12
	s_wait_alu 0xfffe
	s_delay_alu instid0(SALU_CYCLE_2) | instskip(SKIP_2) | instid1(SALU_CYCLE_1)
	s_fmamk_f32 s0, s12, 0xcf800000, s0
	s_cvt_u32_f32 s65, s12
	s_wait_alu 0xfffe
	s_cvt_u32_f32 s64, s0
	s_delay_alu instid0(SALU_CYCLE_3) | instskip(NEXT) | instid1(SALU_CYCLE_1)
	s_mul_u64 s[68:69], s[66:67], s[64:65]
	s_mul_hi_u32 s71, s64, s69
	s_mul_i32 s70, s64, s69
	s_mul_hi_u32 s12, s64, s68
	s_mul_i32 s57, s65, s68
	s_wait_alu 0xfffe
	s_add_nc_u64 s[70:71], s[12:13], s[70:71]
	s_mul_hi_u32 s0, s65, s68
	s_mul_hi_u32 s72, s65, s69
	s_add_co_u32 s12, s70, s57
	s_wait_alu 0xfffe
	s_add_co_ci_u32 s12, s71, s0
	s_mul_i32 s68, s65, s69
	s_add_co_ci_u32 s69, s72, 0
	s_wait_alu 0xfffe
	s_add_nc_u64 s[68:69], s[12:13], s[68:69]
	s_delay_alu instid0(SALU_CYCLE_1) | instskip(SKIP_4) | instid1(SALU_CYCLE_1)
	s_add_co_u32 s64, s64, s68
	s_cselect_b32 s0, -1, 0
	s_wait_alu 0xfffe
	s_cmp_lg_u32 s0, 0
	s_add_co_ci_u32 s65, s65, s69
	s_mul_u64 s[66:67], s[66:67], s[64:65]
	s_delay_alu instid0(SALU_CYCLE_1)
	s_mul_hi_u32 s69, s64, s67
	s_mul_i32 s68, s64, s67
	s_mul_hi_u32 s12, s64, s66
	s_mul_i32 s57, s65, s66
	s_wait_alu 0xfffe
	s_add_nc_u64 s[68:69], s[12:13], s[68:69]
	s_mul_hi_u32 s0, s65, s66
	s_mul_hi_u32 s70, s65, s67
	s_add_co_u32 s12, s68, s57
	s_wait_alu 0xfffe
	s_add_co_ci_u32 s12, s69, s0
	s_mul_i32 s66, s65, s67
	s_add_co_ci_u32 s67, s70, 0
	s_wait_alu 0xfffe
	s_add_nc_u64 s[66:67], s[12:13], s[66:67]
	s_delay_alu instid0(SALU_CYCLE_1)
	s_add_co_u32 s0, s64, s66
	s_cselect_b32 s12, -1, 0
	s_wait_alu 0xfffe
	v_mul_hi_u32 v28, v26, s0
	s_cmp_lg_u32 s12, 0
	v_mad_co_u64_u32 v[22:23], null, v27, s0, 0
	s_add_co_ci_u32 s12, s65, s67
	s_wait_alu 0xfffe
	v_mad_co_u64_u32 v[18:19], null, v26, s12, 0
	v_mad_co_u64_u32 v[24:25], null, v27, s12, 0
	s_delay_alu instid0(VALU_DEP_2) | instskip(SKIP_1) | instid1(VALU_DEP_3)
	v_add_co_u32 v18, vcc_lo, v28, v18
	s_wait_alu 0xfffd
	v_add_co_ci_u32_e64 v19, null, 0, v19, vcc_lo
	s_delay_alu instid0(VALU_DEP_2) | instskip(SKIP_1) | instid1(VALU_DEP_2)
	v_add_co_u32 v18, vcc_lo, v18, v22
	s_wait_alu 0xfffd
	v_add_co_ci_u32_e32 v18, vcc_lo, v19, v23, vcc_lo
	s_wait_alu 0xfffd
	v_add_co_ci_u32_e32 v19, vcc_lo, 0, v25, vcc_lo
	s_delay_alu instid0(VALU_DEP_2) | instskip(SKIP_1) | instid1(VALU_DEP_2)
	v_add_co_u32 v22, vcc_lo, v18, v24
	s_wait_alu 0xfffd
	v_add_co_ci_u32_e64 v23, null, 0, v19, vcc_lo
	s_delay_alu instid0(VALU_DEP_2) | instskip(SKIP_1) | instid1(VALU_DEP_3)
	v_mul_lo_u32 v24, s59, v22
	v_mad_co_u64_u32 v[18:19], null, s58, v22, 0
	v_mul_lo_u32 v25, s58, v23
	s_delay_alu instid0(VALU_DEP_2) | instskip(NEXT) | instid1(VALU_DEP_2)
	v_sub_co_u32 v18, vcc_lo, v26, v18
	v_add3_u32 v19, v19, v25, v24
	v_add_co_u32 v25, s0, v22, 2
	s_wait_alu 0xf1ff
	v_add_co_ci_u32_e64 v26, null, 0, v23, s0
	s_delay_alu instid0(VALU_DEP_3) | instskip(SKIP_3) | instid1(VALU_DEP_3)
	v_sub_nc_u32_e32 v24, v27, v19
	v_sub_co_u32 v28, s0, v18, s58
	s_wait_alu 0xfffd
	v_sub_co_ci_u32_e64 v19, null, v27, v19, vcc_lo
	v_subrev_co_ci_u32_e64 v24, null, s59, v24, vcc_lo
	s_delay_alu instid0(VALU_DEP_3) | instskip(SKIP_1) | instid1(VALU_DEP_2)
	v_cmp_le_u32_e32 vcc_lo, s58, v28
	s_wait_alu 0xf1ff
	v_subrev_co_ci_u32_e64 v24, null, 0, v24, s0
	s_wait_alu 0xfffd
	v_cndmask_b32_e64 v27, 0, -1, vcc_lo
	s_delay_alu instid0(VALU_DEP_2)
	v_cmp_le_u32_e32 vcc_lo, s59, v24
	s_wait_alu 0xfffd
	v_cndmask_b32_e64 v28, 0, -1, vcc_lo
	v_cmp_le_u32_e32 vcc_lo, s58, v18
	s_wait_alu 0xfffd
	v_cndmask_b32_e64 v18, 0, -1, vcc_lo
	;; [unrolled: 3-line block ×3, first 2 shown]
	v_cmp_eq_u32_e32 vcc_lo, s59, v24
	s_wait_alu 0xfffd
	v_cndmask_b32_e32 v24, v28, v27, vcc_lo
	v_add_co_u32 v27, vcc_lo, v22, 1
	s_wait_alu 0xfffd
	v_add_co_ci_u32_e64 v28, null, 0, v23, vcc_lo
	v_cmp_eq_u32_e32 vcc_lo, s59, v19
	s_wait_alu 0xfffd
	v_cndmask_b32_e32 v18, v29, v18, vcc_lo
	v_cmp_ne_u32_e32 vcc_lo, 0, v24
	s_delay_alu instid0(VALU_DEP_2) | instskip(SKIP_3) | instid1(VALU_DEP_1)
	v_cmp_ne_u32_e64 s0, 0, v18
	s_wait_alu 0xfffd
	v_dual_cndmask_b32 v19, v28, v26 :: v_dual_cndmask_b32 v18, v27, v25
	s_wait_alu 0xf1ff
	v_cndmask_b32_e64 v19, v23, v19, s0
	s_delay_alu instid0(VALU_DEP_2) | instskip(NEXT) | instid1(VALU_DEP_2)
	v_cndmask_b32_e64 v18, v22, v18, s0
	v_xor_b32_e32 v19, v19, v3
	s_delay_alu instid0(VALU_DEP_2) | instskip(NEXT) | instid1(VALU_DEP_1)
	v_xor_b32_e32 v18, v18, v3
	v_sub_co_u32 v18, vcc_lo, v18, v3
	s_wait_alu 0xfffd
	s_delay_alu instid0(VALU_DEP_3)
	v_sub_co_ci_u32_e64 v19, null, v19, v3, vcc_lo
.LBB30_36:                              ;   in Loop: Header=BB30_22 Depth=2
	s_and_not1_saveexec_b32 s0, s63
	s_cbranch_execz .LBB30_21
; %bb.37:                               ;   in Loop: Header=BB30_22 Depth=2
	v_cvt_f32_u32_e32 v3, s54
	s_sub_co_i32 s12, 0, s54
	s_delay_alu instid0(VALU_DEP_1) | instskip(NEXT) | instid1(TRANS32_DEP_1)
	v_rcp_iflag_f32_e32 v3, v3
	v_mul_f32_e32 v3, 0x4f7ffffe, v3
	s_delay_alu instid0(VALU_DEP_1) | instskip(SKIP_1) | instid1(VALU_DEP_1)
	v_cvt_u32_f32_e32 v3, v3
	s_wait_alu 0xfffe
	v_mul_lo_u32 v18, s12, v3
	s_delay_alu instid0(VALU_DEP_1) | instskip(NEXT) | instid1(VALU_DEP_1)
	v_mul_hi_u32 v18, v3, v18
	v_add_nc_u32_e32 v3, v3, v18
	s_delay_alu instid0(VALU_DEP_1) | instskip(NEXT) | instid1(VALU_DEP_1)
	v_mul_hi_u32 v3, v16, v3
	v_mul_lo_u32 v18, v3, s54
	v_add_nc_u32_e32 v19, 1, v3
	s_delay_alu instid0(VALU_DEP_2) | instskip(NEXT) | instid1(VALU_DEP_1)
	v_sub_nc_u32_e32 v18, v16, v18
	v_subrev_nc_u32_e32 v22, s54, v18
	v_cmp_le_u32_e32 vcc_lo, s54, v18
	s_wait_alu 0xfffd
	s_delay_alu instid0(VALU_DEP_2) | instskip(NEXT) | instid1(VALU_DEP_1)
	v_dual_cndmask_b32 v18, v18, v22 :: v_dual_cndmask_b32 v3, v3, v19
	v_cmp_le_u32_e32 vcc_lo, s54, v18
	s_delay_alu instid0(VALU_DEP_2) | instskip(SKIP_1) | instid1(VALU_DEP_1)
	v_add_nc_u32_e32 v19, 1, v3
	s_wait_alu 0xfffd
	v_dual_cndmask_b32 v18, v3, v19 :: v_dual_mov_b32 v19, v2
	s_branch .LBB30_21
.LBB30_38:                              ;   in Loop: Header=BB30_3 Depth=1
	s_load_b64 s[36:37], s[22:23], 0x0
	v_cmp_lt_i64_e64 s0, s[4:5], v[6:7]
	s_wait_kmcnt 0x0
	v_cmp_gt_i64_e32 vcc_lo, s[36:37], v[4:5]
	s_and_b32 s0, vcc_lo, s0
	s_wait_alu 0xfffe
	s_and_b32 exec_lo, exec_lo, s0
	s_cbranch_execz .LBB30_2
; %bb.39:                               ;   in Loop: Header=BB30_3 Depth=1
	v_lshlrev_b64_e32 v[5:6], 4, v[8:9]
	v_dual_mov_b32 v3, v2 :: v_dual_mov_b32 v4, v2
	s_delay_alu instid0(VALU_DEP_2) | instskip(SKIP_1) | instid1(VALU_DEP_3)
	v_add_co_u32 v7, vcc_lo, s8, v5
	s_wait_alu 0xfffd
	v_add_co_ci_u32_e64 v8, null, s9, v6, vcc_lo
	v_mov_b32_e32 v5, v2
	global_store_b128 v[7:8], v[2:5], off
	s_branch .LBB30_2
.LBB30_40:
	s_endpgm
	.section	.rodata,"a",@progbits
	.p2align	6, 0x0
	.amdhsa_kernel _ZN2at6native16triu_tril_kernelIN3c107complexIdEElLb0ELi1ELb1EEEvNS_4cuda6detail10TensorInfoIT_T0_EENS7_IKS8_S9_EEllS9_
		.amdhsa_group_segment_fixed_size 0
		.amdhsa_private_segment_fixed_size 0
		.amdhsa_kernarg_size 1112
		.amdhsa_user_sgpr_count 2
		.amdhsa_user_sgpr_dispatch_ptr 0
		.amdhsa_user_sgpr_queue_ptr 0
		.amdhsa_user_sgpr_kernarg_segment_ptr 1
		.amdhsa_user_sgpr_dispatch_id 0
		.amdhsa_user_sgpr_private_segment_size 0
		.amdhsa_wavefront_size32 1
		.amdhsa_uses_dynamic_stack 0
		.amdhsa_enable_private_segment 0
		.amdhsa_system_sgpr_workgroup_id_x 1
		.amdhsa_system_sgpr_workgroup_id_y 0
		.amdhsa_system_sgpr_workgroup_id_z 0
		.amdhsa_system_sgpr_workgroup_info 0
		.amdhsa_system_vgpr_workitem_id 0
		.amdhsa_next_free_vgpr 30
		.amdhsa_next_free_sgpr 73
		.amdhsa_reserve_vcc 1
		.amdhsa_float_round_mode_32 0
		.amdhsa_float_round_mode_16_64 0
		.amdhsa_float_denorm_mode_32 3
		.amdhsa_float_denorm_mode_16_64 3
		.amdhsa_fp16_overflow 0
		.amdhsa_workgroup_processor_mode 1
		.amdhsa_memory_ordered 1
		.amdhsa_forward_progress 1
		.amdhsa_inst_pref_size 65
		.amdhsa_round_robin_scheduling 0
		.amdhsa_exception_fp_ieee_invalid_op 0
		.amdhsa_exception_fp_denorm_src 0
		.amdhsa_exception_fp_ieee_div_zero 0
		.amdhsa_exception_fp_ieee_overflow 0
		.amdhsa_exception_fp_ieee_underflow 0
		.amdhsa_exception_fp_ieee_inexact 0
		.amdhsa_exception_int_div_zero 0
	.end_amdhsa_kernel
	.section	.text._ZN2at6native16triu_tril_kernelIN3c107complexIdEElLb0ELi1ELb1EEEvNS_4cuda6detail10TensorInfoIT_T0_EENS7_IKS8_S9_EEllS9_,"axG",@progbits,_ZN2at6native16triu_tril_kernelIN3c107complexIdEElLb0ELi1ELb1EEEvNS_4cuda6detail10TensorInfoIT_T0_EENS7_IKS8_S9_EEllS9_,comdat
.Lfunc_end30:
	.size	_ZN2at6native16triu_tril_kernelIN3c107complexIdEElLb0ELi1ELb1EEEvNS_4cuda6detail10TensorInfoIT_T0_EENS7_IKS8_S9_EEllS9_, .Lfunc_end30-_ZN2at6native16triu_tril_kernelIN3c107complexIdEElLb0ELi1ELb1EEEvNS_4cuda6detail10TensorInfoIT_T0_EENS7_IKS8_S9_EEllS9_
                                        ; -- End function
	.set _ZN2at6native16triu_tril_kernelIN3c107complexIdEElLb0ELi1ELb1EEEvNS_4cuda6detail10TensorInfoIT_T0_EENS7_IKS8_S9_EEllS9_.num_vgpr, 30
	.set _ZN2at6native16triu_tril_kernelIN3c107complexIdEElLb0ELi1ELb1EEEvNS_4cuda6detail10TensorInfoIT_T0_EENS7_IKS8_S9_EEllS9_.num_agpr, 0
	.set _ZN2at6native16triu_tril_kernelIN3c107complexIdEElLb0ELi1ELb1EEEvNS_4cuda6detail10TensorInfoIT_T0_EENS7_IKS8_S9_EEllS9_.numbered_sgpr, 73
	.set _ZN2at6native16triu_tril_kernelIN3c107complexIdEElLb0ELi1ELb1EEEvNS_4cuda6detail10TensorInfoIT_T0_EENS7_IKS8_S9_EEllS9_.num_named_barrier, 0
	.set _ZN2at6native16triu_tril_kernelIN3c107complexIdEElLb0ELi1ELb1EEEvNS_4cuda6detail10TensorInfoIT_T0_EENS7_IKS8_S9_EEllS9_.private_seg_size, 0
	.set _ZN2at6native16triu_tril_kernelIN3c107complexIdEElLb0ELi1ELb1EEEvNS_4cuda6detail10TensorInfoIT_T0_EENS7_IKS8_S9_EEllS9_.uses_vcc, 1
	.set _ZN2at6native16triu_tril_kernelIN3c107complexIdEElLb0ELi1ELb1EEEvNS_4cuda6detail10TensorInfoIT_T0_EENS7_IKS8_S9_EEllS9_.uses_flat_scratch, 0
	.set _ZN2at6native16triu_tril_kernelIN3c107complexIdEElLb0ELi1ELb1EEEvNS_4cuda6detail10TensorInfoIT_T0_EENS7_IKS8_S9_EEllS9_.has_dyn_sized_stack, 0
	.set _ZN2at6native16triu_tril_kernelIN3c107complexIdEElLb0ELi1ELb1EEEvNS_4cuda6detail10TensorInfoIT_T0_EENS7_IKS8_S9_EEllS9_.has_recursion, 0
	.set _ZN2at6native16triu_tril_kernelIN3c107complexIdEElLb0ELi1ELb1EEEvNS_4cuda6detail10TensorInfoIT_T0_EENS7_IKS8_S9_EEllS9_.has_indirect_call, 0
	.section	.AMDGPU.csdata,"",@progbits
; Kernel info:
; codeLenInByte = 8240
; TotalNumSgprs: 75
; NumVgprs: 30
; ScratchSize: 0
; MemoryBound: 0
; FloatMode: 240
; IeeeMode: 1
; LDSByteSize: 0 bytes/workgroup (compile time only)
; SGPRBlocks: 0
; VGPRBlocks: 3
; NumSGPRsForWavesPerEU: 75
; NumVGPRsForWavesPerEU: 30
; Occupancy: 16
; WaveLimiterHint : 0
; COMPUTE_PGM_RSRC2:SCRATCH_EN: 0
; COMPUTE_PGM_RSRC2:USER_SGPR: 2
; COMPUTE_PGM_RSRC2:TRAP_HANDLER: 0
; COMPUTE_PGM_RSRC2:TGID_X_EN: 1
; COMPUTE_PGM_RSRC2:TGID_Y_EN: 0
; COMPUTE_PGM_RSRC2:TGID_Z_EN: 0
; COMPUTE_PGM_RSRC2:TIDIG_COMP_CNT: 0
	.section	.text._ZN2at6native16triu_tril_kernelIN3c107complexIdEElLb0ELi1ELb0EEEvNS_4cuda6detail10TensorInfoIT_T0_EENS7_IKS8_S9_EEllS9_,"axG",@progbits,_ZN2at6native16triu_tril_kernelIN3c107complexIdEElLb0ELi1ELb0EEEvNS_4cuda6detail10TensorInfoIT_T0_EENS7_IKS8_S9_EEllS9_,comdat
	.protected	_ZN2at6native16triu_tril_kernelIN3c107complexIdEElLb0ELi1ELb0EEEvNS_4cuda6detail10TensorInfoIT_T0_EENS7_IKS8_S9_EEllS9_ ; -- Begin function _ZN2at6native16triu_tril_kernelIN3c107complexIdEElLb0ELi1ELb0EEEvNS_4cuda6detail10TensorInfoIT_T0_EENS7_IKS8_S9_EEllS9_
	.globl	_ZN2at6native16triu_tril_kernelIN3c107complexIdEElLb0ELi1ELb0EEEvNS_4cuda6detail10TensorInfoIT_T0_EENS7_IKS8_S9_EEllS9_
	.p2align	8
	.type	_ZN2at6native16triu_tril_kernelIN3c107complexIdEElLb0ELi1ELb0EEEvNS_4cuda6detail10TensorInfoIT_T0_EENS7_IKS8_S9_EEllS9_,@function
_ZN2at6native16triu_tril_kernelIN3c107complexIdEElLb0ELi1ELb0EEEvNS_4cuda6detail10TensorInfoIT_T0_EENS7_IKS8_S9_EEllS9_: ; @_ZN2at6native16triu_tril_kernelIN3c107complexIdEElLb0ELi1ELb0EEEvNS_4cuda6detail10TensorInfoIT_T0_EENS7_IKS8_S9_EEllS9_
; %bb.0:
	s_clause 0x1
	s_load_b32 s2, s[0:1], 0x364
	s_load_b128 s[4:7], s[0:1], 0x340
	v_mov_b32_e32 v4, 0
	s_delay_alu instid0(VALU_DEP_1) | instskip(SKIP_3) | instid1(VALU_DEP_1)
	v_mov_b32_e32 v1, v4
	s_wait_kmcnt 0x0
	s_and_b32 s26, s2, 0xffff
	s_mov_b32 s2, exec_lo
	v_mad_co_u64_u32 v[6:7], null, s26, ttmp9, v[0:1]
	s_delay_alu instid0(VALU_DEP_1)
	v_cmpx_gt_i64_e64 s[6:7], v[6:7]
	s_cbranch_execz .LBB31_33
; %bb.1:
	s_clause 0x1
	s_load_b32 s38, s[0:1], 0x338
	s_load_b64 s[2:3], s[0:1], 0x1a0
	s_add_nc_u64 s[20:21], s[0:1], 0x1a0
	s_load_b64 s[22:23], s[0:1], 0x350
	s_add_nc_u64 s[14:15], s[0:1], 0x358
	s_mov_b32 s27, 0
	s_mov_b32 s63, 0
	s_wait_kmcnt 0x0
	s_ashr_i32 s39, s38, 31
	s_add_co_i32 s28, s38, -3
	s_lshl_b64 s[16:17], s[38:39], 3
	s_ashr_i32 s29, s28, 31
	s_add_nc_u64 s[12:13], s[20:21], s[16:17]
	s_add_nc_u64 s[16:17], s[0:1], s[16:17]
	s_add_nc_u64 s[8:9], s[12:13], -8
	s_bitcmp0_b32 s28, 0
	s_load_b128 s[8:11], s[8:9], 0x0
	v_cvt_f32_u32_e32 v0, s22
	s_load_b32 s30, s[14:15], 0x0
	s_clause 0x2
	s_load_b64 s[24:25], s[0:1], 0x0
	s_load_b128 s[12:15], s[12:13], 0xc0
	s_load_b128 s[16:19], s[16:17], 0xc0
	v_cmp_gt_i64_e64 s62, s[38:39], 2
	v_rcp_iflag_f32_e32 v0, v0
	s_cselect_b32 s60, -1, 0
	s_lshl_b64 s[36:37], s[28:29], 3
	s_cmp_lg_u32 s28, 0
	s_add_nc_u64 s[34:35], s[20:21], s[36:37]
	s_add_nc_u64 s[36:37], s[0:1], s[36:37]
	s_cselect_b32 s61, -1, 0
	s_add_nc_u64 s[38:39], s[0:1], 0xc8
	s_ashr_i32 s40, s23, 31
	s_wait_kmcnt 0x0
	v_cvt_f32_u32_e32 v1, s8
	s_mul_i32 s33, s30, s26
	s_add_nc_u64 s[30:31], s[28:29], -1
	s_delay_alu instid0(VALU_DEP_1) | instskip(NEXT) | instid1(TRANS32_DEP_1)
	v_rcp_iflag_f32_e32 v1, v1
	v_dual_mul_f32 v0, 0x4f7ffffe, v0 :: v_dual_mul_f32 v1, 0x4f7ffffe, v1
	s_delay_alu instid0(VALU_DEP_1) | instskip(NEXT) | instid1(VALU_DEP_2)
	v_cvt_u32_f32_e32 v16, v0
	v_cvt_u32_f32_e32 v17, v1
	s_branch .LBB31_3
.LBB31_2:                               ;   in Loop: Header=BB31_3 Depth=1
	s_wait_alu 0xfffe
	s_or_b32 exec_lo, exec_lo, s0
	v_add_co_u32 v6, vcc_lo, v6, s33
	s_wait_alu 0xfffd
	v_add_co_ci_u32_e64 v7, null, 0, v7, vcc_lo
	s_delay_alu instid0(VALU_DEP_1) | instskip(SKIP_1) | instid1(SALU_CYCLE_1)
	v_cmp_le_i64_e32 vcc_lo, s[6:7], v[6:7]
	s_or_b32 s63, vcc_lo, s63
	s_and_not1_b32 exec_lo, exec_lo, s63
	s_cbranch_execz .LBB31_33
.LBB31_3:                               ; =>This Loop Header: Depth=1
                                        ;     Child Loop BB31_21 Depth 2
	v_or_b32_e32 v5, s23, v7
                                        ; implicit-def: $vgpr8_vgpr9
	s_mov_b32 s0, exec_lo
	s_delay_alu instid0(VALU_DEP_1)
	v_cmpx_ne_u64_e32 0, v[4:5]
	s_wait_alu 0xfffe
	s_xor_b32 s1, exec_lo, s0
	s_cbranch_execz .LBB31_5
; %bb.4:                                ;   in Loop: Header=BB31_3 Depth=1
	s_mov_b32 s41, s40
	v_ashrrev_i32_e32 v5, 31, v7
	s_wait_alu 0xfffe
	s_add_nc_u64 s[42:43], s[22:23], s[40:41]
	s_wait_alu 0xfffe
	s_xor_b64 s[42:43], s[42:43], s[40:41]
	s_wait_loadcnt 0x0
	v_add_co_u32 v0, vcc_lo, v6, v5
	s_wait_alu 0xfffe
	s_cvt_f32_u32 s0, s42
	s_cvt_f32_u32 s26, s43
	s_sub_nc_u64 s[46:47], 0, s[42:43]
	s_wait_alu 0xfffd
	v_add_co_ci_u32_e64 v1, null, v7, v5, vcc_lo
	s_wait_alu 0xfffe
	s_fmamk_f32 s0, s26, 0x4f800000, s0
	v_xor_b32_e32 v10, v0, v5
	s_delay_alu instid0(VALU_DEP_2) | instskip(SKIP_3) | instid1(TRANS32_DEP_1)
	v_xor_b32_e32 v11, v1, v5
	s_wait_alu 0xfffe
	v_s_rcp_f32 s0, s0
	v_xor_b32_e32 v5, s40, v5
	s_mul_f32 s0, s0, 0x5f7ffffc
	s_wait_alu 0xfffe
	s_delay_alu instid0(SALU_CYCLE_2) | instskip(SKIP_1) | instid1(SALU_CYCLE_2)
	s_mul_f32 s26, s0, 0x2f800000
	s_wait_alu 0xfffe
	s_trunc_f32 s26, s26
	s_wait_alu 0xfffe
	s_delay_alu instid0(SALU_CYCLE_2) | instskip(SKIP_2) | instid1(SALU_CYCLE_1)
	s_fmamk_f32 s0, s26, 0xcf800000, s0
	s_cvt_u32_f32 s45, s26
	s_wait_alu 0xfffe
	s_cvt_u32_f32 s44, s0
	s_wait_alu 0xfffe
	s_delay_alu instid0(SALU_CYCLE_2)
	s_mul_u64 s[48:49], s[46:47], s[44:45]
	s_wait_alu 0xfffe
	s_mul_hi_u32 s51, s44, s49
	s_mul_i32 s50, s44, s49
	s_mul_hi_u32 s26, s44, s48
	s_mul_i32 s41, s45, s48
	s_wait_alu 0xfffe
	s_add_nc_u64 s[50:51], s[26:27], s[50:51]
	s_mul_hi_u32 s0, s45, s48
	s_mul_hi_u32 s52, s45, s49
	s_wait_alu 0xfffe
	s_add_co_u32 s26, s50, s41
	s_add_co_ci_u32 s26, s51, s0
	s_mul_i32 s48, s45, s49
	s_add_co_ci_u32 s49, s52, 0
	s_wait_alu 0xfffe
	s_add_nc_u64 s[48:49], s[26:27], s[48:49]
	s_wait_alu 0xfffe
	s_add_co_u32 s44, s44, s48
	s_cselect_b32 s0, -1, 0
	s_wait_alu 0xfffe
	s_cmp_lg_u32 s0, 0
	s_add_co_ci_u32 s45, s45, s49
	s_wait_alu 0xfffe
	s_mul_u64 s[46:47], s[46:47], s[44:45]
	s_wait_alu 0xfffe
	s_mul_hi_u32 s49, s44, s47
	s_mul_i32 s48, s44, s47
	s_mul_hi_u32 s26, s44, s46
	s_mul_i32 s41, s45, s46
	s_wait_alu 0xfffe
	s_add_nc_u64 s[48:49], s[26:27], s[48:49]
	s_mul_hi_u32 s0, s45, s46
	s_mul_hi_u32 s50, s45, s47
	s_wait_alu 0xfffe
	s_add_co_u32 s26, s48, s41
	s_add_co_ci_u32 s26, s49, s0
	s_mul_i32 s46, s45, s47
	s_add_co_ci_u32 s47, s50, 0
	s_wait_alu 0xfffe
	s_add_nc_u64 s[46:47], s[26:27], s[46:47]
	s_wait_alu 0xfffe
	s_add_co_u32 s0, s44, s46
	s_cselect_b32 s26, -1, 0
	s_wait_alu 0xfffe
	v_mul_hi_u32 v12, v10, s0
	s_cmp_lg_u32 s26, 0
	v_mad_co_u64_u32 v[2:3], null, v11, s0, 0
	s_add_co_ci_u32 s26, s45, s47
	s_wait_alu 0xfffe
	v_mad_co_u64_u32 v[0:1], null, v10, s26, 0
	v_mad_co_u64_u32 v[8:9], null, v11, s26, 0
	s_delay_alu instid0(VALU_DEP_2) | instskip(SKIP_1) | instid1(VALU_DEP_3)
	v_add_co_u32 v0, vcc_lo, v12, v0
	s_wait_alu 0xfffd
	v_add_co_ci_u32_e64 v1, null, 0, v1, vcc_lo
	s_delay_alu instid0(VALU_DEP_2) | instskip(SKIP_1) | instid1(VALU_DEP_2)
	v_add_co_u32 v0, vcc_lo, v0, v2
	s_wait_alu 0xfffd
	v_add_co_ci_u32_e32 v0, vcc_lo, v1, v3, vcc_lo
	s_wait_alu 0xfffd
	v_add_co_ci_u32_e32 v1, vcc_lo, 0, v9, vcc_lo
	s_delay_alu instid0(VALU_DEP_2) | instskip(SKIP_1) | instid1(VALU_DEP_2)
	v_add_co_u32 v2, vcc_lo, v0, v8
	s_wait_alu 0xfffd
	v_add_co_ci_u32_e64 v3, null, 0, v1, vcc_lo
	s_delay_alu instid0(VALU_DEP_2) | instskip(SKIP_1) | instid1(VALU_DEP_3)
	v_mul_lo_u32 v8, s43, v2
	v_mad_co_u64_u32 v[0:1], null, s42, v2, 0
	v_mul_lo_u32 v9, s42, v3
	s_delay_alu instid0(VALU_DEP_2) | instskip(NEXT) | instid1(VALU_DEP_2)
	v_sub_co_u32 v0, vcc_lo, v10, v0
	v_add3_u32 v1, v1, v9, v8
	v_add_co_u32 v9, s0, v2, 2
	s_wait_alu 0xf1ff
	v_add_co_ci_u32_e64 v10, null, 0, v3, s0
	s_delay_alu instid0(VALU_DEP_3) | instskip(SKIP_3) | instid1(VALU_DEP_3)
	v_sub_nc_u32_e32 v8, v11, v1
	v_sub_co_u32 v12, s0, v0, s42
	s_wait_alu 0xfffd
	v_sub_co_ci_u32_e64 v1, null, v11, v1, vcc_lo
	v_subrev_co_ci_u32_e64 v8, null, s43, v8, vcc_lo
	s_delay_alu instid0(VALU_DEP_3) | instskip(SKIP_1) | instid1(VALU_DEP_2)
	v_cmp_le_u32_e32 vcc_lo, s42, v12
	s_wait_alu 0xf1ff
	v_subrev_co_ci_u32_e64 v8, null, 0, v8, s0
	s_wait_alu 0xfffd
	v_cndmask_b32_e64 v11, 0, -1, vcc_lo
	s_delay_alu instid0(VALU_DEP_2)
	v_cmp_le_u32_e32 vcc_lo, s43, v8
	s_wait_alu 0xfffd
	v_cndmask_b32_e64 v12, 0, -1, vcc_lo
	v_cmp_le_u32_e32 vcc_lo, s42, v0
	s_wait_alu 0xfffd
	v_cndmask_b32_e64 v0, 0, -1, vcc_lo
	;; [unrolled: 3-line block ×3, first 2 shown]
	v_cmp_eq_u32_e32 vcc_lo, s43, v8
	s_wait_alu 0xfffd
	v_cndmask_b32_e32 v8, v12, v11, vcc_lo
	v_add_co_u32 v11, vcc_lo, v2, 1
	s_wait_alu 0xfffd
	v_add_co_ci_u32_e64 v12, null, 0, v3, vcc_lo
	v_cmp_eq_u32_e32 vcc_lo, s43, v1
	s_wait_alu 0xfffd
	v_cndmask_b32_e32 v0, v13, v0, vcc_lo
	v_cmp_ne_u32_e32 vcc_lo, 0, v8
	s_wait_alu 0xfffd
	v_cndmask_b32_e32 v1, v12, v10, vcc_lo
	s_delay_alu instid0(VALU_DEP_3) | instskip(SKIP_2) | instid1(VALU_DEP_2)
	v_cmp_ne_u32_e64 s0, 0, v0
	v_cndmask_b32_e32 v0, v11, v9, vcc_lo
	s_wait_alu 0xf1ff
	v_cndmask_b32_e64 v1, v3, v1, s0
	s_delay_alu instid0(VALU_DEP_2) | instskip(NEXT) | instid1(VALU_DEP_2)
	v_cndmask_b32_e64 v0, v2, v0, s0
	v_xor_b32_e32 v1, v1, v5
	s_delay_alu instid0(VALU_DEP_2) | instskip(NEXT) | instid1(VALU_DEP_1)
	v_xor_b32_e32 v0, v0, v5
	v_sub_co_u32 v8, vcc_lo, v0, v5
	s_wait_alu 0xfffd
	s_delay_alu instid0(VALU_DEP_3)
	v_sub_co_ci_u32_e64 v9, null, v1, v5, vcc_lo
.LBB31_5:                               ;   in Loop: Header=BB31_3 Depth=1
	s_wait_alu 0xfffe
	s_and_not1_saveexec_b32 s0, s1
	s_cbranch_execz .LBB31_7
; %bb.6:                                ;   in Loop: Header=BB31_3 Depth=1
	s_sub_co_i32 s1, 0, s22
	v_mov_b32_e32 v9, v4
	s_wait_loadcnt 0x0
	s_wait_alu 0xfffe
	v_mul_lo_u32 v0, s1, v16
	s_delay_alu instid0(VALU_DEP_1) | instskip(NEXT) | instid1(VALU_DEP_1)
	v_mul_hi_u32 v0, v16, v0
	v_add_nc_u32_e32 v0, v16, v0
	s_delay_alu instid0(VALU_DEP_1) | instskip(NEXT) | instid1(VALU_DEP_1)
	v_mul_hi_u32 v0, v6, v0
	v_mul_lo_u32 v1, v0, s22
	v_add_nc_u32_e32 v2, 1, v0
	s_delay_alu instid0(VALU_DEP_2) | instskip(NEXT) | instid1(VALU_DEP_1)
	v_sub_nc_u32_e32 v1, v6, v1
	v_subrev_nc_u32_e32 v3, s22, v1
	v_cmp_le_u32_e32 vcc_lo, s22, v1
	s_wait_alu 0xfffd
	s_delay_alu instid0(VALU_DEP_2) | instskip(NEXT) | instid1(VALU_DEP_1)
	v_dual_cndmask_b32 v1, v1, v3 :: v_dual_cndmask_b32 v0, v0, v2
	v_cmp_le_u32_e32 vcc_lo, s22, v1
	s_delay_alu instid0(VALU_DEP_2) | instskip(SKIP_1) | instid1(VALU_DEP_1)
	v_add_nc_u32_e32 v2, 1, v0
	s_wait_alu 0xfffd
	v_cndmask_b32_e32 v8, v0, v2, vcc_lo
.LBB31_7:                               ;   in Loop: Header=BB31_3 Depth=1
	s_wait_alu 0xfffe
	s_or_b32 exec_lo, exec_lo, s0
	v_or_b32_e32 v5, s9, v9
                                        ; implicit-def: $vgpr2_vgpr3
	s_mov_b32 s0, exec_lo
	s_delay_alu instid0(VALU_DEP_1)
	v_cmpx_ne_u64_e32 0, v[4:5]
	s_wait_alu 0xfffe
	s_xor_b32 s1, exec_lo, s0
	s_cbranch_execz .LBB31_9
; %bb.8:                                ;   in Loop: Header=BB31_3 Depth=1
	s_ashr_i32 s42, s9, 31
	v_ashrrev_i32_e32 v5, 31, v9
	s_wait_alu 0xfffe
	s_mov_b32 s43, s42
	s_wait_alu 0xfffe
	s_add_nc_u64 s[44:45], s[8:9], s[42:43]
	s_wait_loadcnt 0x0
	v_add_co_u32 v0, vcc_lo, v8, v5
	s_wait_alu 0xfffe
	s_xor_b64 s[44:45], s[44:45], s[42:43]
	s_wait_alu 0xfffd
	v_add_co_ci_u32_e64 v1, null, v9, v5, vcc_lo
	s_wait_alu 0xfffe
	s_cvt_f32_u32 s0, s44
	s_cvt_f32_u32 s26, s45
	s_sub_nc_u64 s[48:49], 0, s[44:45]
	v_xor_b32_e32 v12, v0, v5
	v_xor_b32_e32 v13, v1, v5
	s_wait_alu 0xfffe
	s_fmamk_f32 s0, s26, 0x4f800000, s0
	v_xor_b32_e32 v5, s42, v5
	s_wait_alu 0xfffe
	s_delay_alu instid0(SALU_CYCLE_1) | instskip(NEXT) | instid1(TRANS32_DEP_1)
	v_s_rcp_f32 s0, s0
	s_mul_f32 s0, s0, 0x5f7ffffc
	s_wait_alu 0xfffe
	s_delay_alu instid0(SALU_CYCLE_2) | instskip(SKIP_1) | instid1(SALU_CYCLE_2)
	s_mul_f32 s26, s0, 0x2f800000
	s_wait_alu 0xfffe
	s_trunc_f32 s26, s26
	s_wait_alu 0xfffe
	s_delay_alu instid0(SALU_CYCLE_2) | instskip(SKIP_2) | instid1(SALU_CYCLE_1)
	s_fmamk_f32 s0, s26, 0xcf800000, s0
	s_cvt_u32_f32 s47, s26
	s_wait_alu 0xfffe
	s_cvt_u32_f32 s46, s0
	s_wait_alu 0xfffe
	s_delay_alu instid0(SALU_CYCLE_2)
	s_mul_u64 s[50:51], s[48:49], s[46:47]
	s_wait_alu 0xfffe
	s_mul_hi_u32 s53, s46, s51
	s_mul_i32 s52, s46, s51
	s_mul_hi_u32 s26, s46, s50
	s_mul_i32 s41, s47, s50
	s_wait_alu 0xfffe
	s_add_nc_u64 s[52:53], s[26:27], s[52:53]
	s_mul_hi_u32 s0, s47, s50
	s_mul_hi_u32 s43, s47, s51
	s_wait_alu 0xfffe
	s_add_co_u32 s26, s52, s41
	s_add_co_ci_u32 s26, s53, s0
	s_mul_i32 s50, s47, s51
	s_add_co_ci_u32 s51, s43, 0
	s_wait_alu 0xfffe
	s_add_nc_u64 s[50:51], s[26:27], s[50:51]
	s_wait_alu 0xfffe
	s_add_co_u32 s46, s46, s50
	s_cselect_b32 s0, -1, 0
	s_wait_alu 0xfffe
	s_cmp_lg_u32 s0, 0
	s_add_co_ci_u32 s47, s47, s51
	s_wait_alu 0xfffe
	s_mul_u64 s[48:49], s[48:49], s[46:47]
	s_wait_alu 0xfffe
	s_mul_hi_u32 s51, s46, s49
	s_mul_i32 s50, s46, s49
	s_mul_hi_u32 s26, s46, s48
	s_mul_i32 s41, s47, s48
	s_wait_alu 0xfffe
	s_add_nc_u64 s[50:51], s[26:27], s[50:51]
	s_mul_hi_u32 s0, s47, s48
	s_mul_hi_u32 s43, s47, s49
	s_wait_alu 0xfffe
	s_add_co_u32 s26, s50, s41
	s_add_co_ci_u32 s26, s51, s0
	s_mul_i32 s48, s47, s49
	s_add_co_ci_u32 s49, s43, 0
	s_wait_alu 0xfffe
	s_add_nc_u64 s[48:49], s[26:27], s[48:49]
	s_wait_alu 0xfffe
	s_add_co_u32 s0, s46, s48
	s_cselect_b32 s26, -1, 0
	s_wait_alu 0xfffe
	v_mul_hi_u32 v14, v12, s0
	s_cmp_lg_u32 s26, 0
	v_mad_co_u64_u32 v[2:3], null, v13, s0, 0
	s_add_co_ci_u32 s26, s47, s49
	s_wait_alu 0xfffe
	v_mad_co_u64_u32 v[0:1], null, v12, s26, 0
	v_mad_co_u64_u32 v[10:11], null, v13, s26, 0
	s_delay_alu instid0(VALU_DEP_2) | instskip(SKIP_1) | instid1(VALU_DEP_3)
	v_add_co_u32 v0, vcc_lo, v14, v0
	s_wait_alu 0xfffd
	v_add_co_ci_u32_e64 v1, null, 0, v1, vcc_lo
	s_delay_alu instid0(VALU_DEP_2) | instskip(SKIP_1) | instid1(VALU_DEP_2)
	v_add_co_u32 v0, vcc_lo, v0, v2
	s_wait_alu 0xfffd
	v_add_co_ci_u32_e32 v0, vcc_lo, v1, v3, vcc_lo
	s_wait_alu 0xfffd
	v_add_co_ci_u32_e32 v1, vcc_lo, 0, v11, vcc_lo
	s_delay_alu instid0(VALU_DEP_2) | instskip(SKIP_1) | instid1(VALU_DEP_2)
	v_add_co_u32 v2, vcc_lo, v0, v10
	s_wait_alu 0xfffd
	v_add_co_ci_u32_e64 v3, null, 0, v1, vcc_lo
	s_delay_alu instid0(VALU_DEP_2) | instskip(SKIP_1) | instid1(VALU_DEP_3)
	v_mul_lo_u32 v10, s45, v2
	v_mad_co_u64_u32 v[0:1], null, s44, v2, 0
	v_mul_lo_u32 v11, s44, v3
	s_delay_alu instid0(VALU_DEP_2) | instskip(NEXT) | instid1(VALU_DEP_2)
	v_sub_co_u32 v0, vcc_lo, v12, v0
	v_add3_u32 v1, v1, v11, v10
	v_add_co_u32 v11, s0, v2, 2
	s_wait_alu 0xf1ff
	v_add_co_ci_u32_e64 v12, null, 0, v3, s0
	s_delay_alu instid0(VALU_DEP_3) | instskip(SKIP_3) | instid1(VALU_DEP_3)
	v_sub_nc_u32_e32 v10, v13, v1
	v_sub_co_u32 v14, s0, v0, s44
	s_wait_alu 0xfffd
	v_sub_co_ci_u32_e64 v1, null, v13, v1, vcc_lo
	v_subrev_co_ci_u32_e64 v10, null, s45, v10, vcc_lo
	s_delay_alu instid0(VALU_DEP_3) | instskip(SKIP_1) | instid1(VALU_DEP_2)
	v_cmp_le_u32_e32 vcc_lo, s44, v14
	s_wait_alu 0xf1ff
	v_subrev_co_ci_u32_e64 v10, null, 0, v10, s0
	s_wait_alu 0xfffd
	v_cndmask_b32_e64 v13, 0, -1, vcc_lo
	s_delay_alu instid0(VALU_DEP_2)
	v_cmp_le_u32_e32 vcc_lo, s45, v10
	s_wait_alu 0xfffd
	v_cndmask_b32_e64 v14, 0, -1, vcc_lo
	v_cmp_le_u32_e32 vcc_lo, s44, v0
	s_wait_alu 0xfffd
	v_cndmask_b32_e64 v0, 0, -1, vcc_lo
	;; [unrolled: 3-line block ×3, first 2 shown]
	v_cmp_eq_u32_e32 vcc_lo, s45, v10
	s_wait_alu 0xfffd
	v_cndmask_b32_e32 v10, v14, v13, vcc_lo
	v_add_co_u32 v13, vcc_lo, v2, 1
	s_wait_alu 0xfffd
	v_add_co_ci_u32_e64 v14, null, 0, v3, vcc_lo
	v_cmp_eq_u32_e32 vcc_lo, s45, v1
	s_wait_alu 0xfffd
	v_cndmask_b32_e32 v0, v15, v0, vcc_lo
	v_cmp_ne_u32_e32 vcc_lo, 0, v10
	s_delay_alu instid0(VALU_DEP_2) | instskip(SKIP_3) | instid1(VALU_DEP_1)
	v_cmp_ne_u32_e64 s0, 0, v0
	s_wait_alu 0xfffd
	v_dual_cndmask_b32 v1, v14, v12 :: v_dual_cndmask_b32 v0, v13, v11
	s_wait_alu 0xf1ff
	v_cndmask_b32_e64 v1, v3, v1, s0
	s_delay_alu instid0(VALU_DEP_2) | instskip(NEXT) | instid1(VALU_DEP_2)
	v_cndmask_b32_e64 v0, v2, v0, s0
	v_xor_b32_e32 v1, v1, v5
	s_delay_alu instid0(VALU_DEP_2) | instskip(NEXT) | instid1(VALU_DEP_1)
	v_xor_b32_e32 v0, v0, v5
	v_sub_co_u32 v2, vcc_lo, v0, v5
	s_wait_alu 0xfffd
	s_delay_alu instid0(VALU_DEP_3)
	v_sub_co_ci_u32_e64 v3, null, v1, v5, vcc_lo
.LBB31_9:                               ;   in Loop: Header=BB31_3 Depth=1
	s_wait_alu 0xfffe
	s_and_not1_saveexec_b32 s0, s1
	s_cbranch_execz .LBB31_11
; %bb.10:                               ;   in Loop: Header=BB31_3 Depth=1
	s_sub_co_i32 s1, 0, s8
	s_wait_loadcnt 0x0
	s_wait_alu 0xfffe
	v_mul_lo_u32 v0, s1, v17
	s_delay_alu instid0(VALU_DEP_1) | instskip(NEXT) | instid1(VALU_DEP_1)
	v_mul_hi_u32 v0, v17, v0
	v_add_nc_u32_e32 v0, v17, v0
	s_delay_alu instid0(VALU_DEP_1) | instskip(NEXT) | instid1(VALU_DEP_1)
	v_mul_hi_u32 v0, v8, v0
	v_mul_lo_u32 v1, v0, s8
	s_delay_alu instid0(VALU_DEP_1) | instskip(NEXT) | instid1(VALU_DEP_1)
	v_sub_nc_u32_e32 v1, v8, v1
	v_subrev_nc_u32_e32 v3, s8, v1
	v_cmp_le_u32_e32 vcc_lo, s8, v1
	s_wait_alu 0xfffd
	s_delay_alu instid0(VALU_DEP_2) | instskip(NEXT) | instid1(VALU_DEP_1)
	v_dual_cndmask_b32 v1, v1, v3 :: v_dual_add_nc_u32 v2, 1, v0
	v_cndmask_b32_e32 v0, v0, v2, vcc_lo
	v_mov_b32_e32 v3, v4
	s_delay_alu instid0(VALU_DEP_3) | instskip(NEXT) | instid1(VALU_DEP_3)
	v_cmp_le_u32_e32 vcc_lo, s8, v1
	v_add_nc_u32_e32 v2, 1, v0
	s_wait_alu 0xfffd
	s_delay_alu instid0(VALU_DEP_1)
	v_cndmask_b32_e32 v2, v0, v2, vcc_lo
.LBB31_11:                              ;   in Loop: Header=BB31_3 Depth=1
	s_wait_alu 0xfffe
	s_or_b32 exec_lo, exec_lo, s0
	v_mul_lo_u32 v5, v9, s22
	v_mul_lo_u32 v12, v8, s23
	s_wait_loadcnt 0x0
	v_mad_co_u64_u32 v[0:1], null, v8, s22, 0
	v_mul_lo_u32 v13, v3, s8
	v_mul_lo_u32 v14, v2, s9
	v_mad_co_u64_u32 v[10:11], null, v2, s8, 0
	s_delay_alu instid0(VALU_DEP_4) | instskip(SKIP_1) | instid1(VALU_DEP_3)
	v_add3_u32 v1, v1, v12, v5
	v_sub_co_u32 v0, vcc_lo, v6, v0
	v_add3_u32 v5, v11, v14, v13
	s_wait_alu 0xfffd
	s_delay_alu instid0(VALU_DEP_3) | instskip(NEXT) | instid1(VALU_DEP_3)
	v_sub_co_ci_u32_e64 v1, null, v7, v1, vcc_lo
	v_mul_lo_u32 v15, s15, v0
	v_mad_co_u64_u32 v[11:12], null, s14, v0, 0
	v_mul_lo_u32 v20, s19, v0
	s_delay_alu instid0(VALU_DEP_4)
	v_mul_lo_u32 v21, s14, v1
	v_mul_lo_u32 v22, s18, v1
	v_mad_co_u64_u32 v[13:14], null, s18, v0, 0
	v_sub_co_u32 v18, vcc_lo, v8, v10
	s_wait_alu 0xfffd
	v_sub_co_ci_u32_e64 v19, null, v9, v5, vcc_lo
	v_add3_u32 v12, v12, v21, v15
	s_delay_alu instid0(VALU_DEP_3) | instskip(SKIP_1) | instid1(VALU_DEP_4)
	v_mul_lo_u32 v5, s13, v18
	v_add3_u32 v14, v14, v22, v20
	v_mul_lo_u32 v15, s12, v19
	v_mul_lo_u32 v20, s17, v18
	v_mad_co_u64_u32 v[10:11], null, s12, v18, v[11:12]
	v_mul_lo_u32 v12, s16, v19
	v_mad_co_u64_u32 v[8:9], null, s16, v18, v[13:14]
	s_and_not1_b32 vcc_lo, exec_lo, s62
	v_add3_u32 v11, v5, v11, v15
	v_add3_u32 v9, v20, v9, v12
	s_wait_alu 0xfffe
	s_cbranch_vccnz .LBB31_29
; %bb.12:                               ;   in Loop: Header=BB31_3 Depth=1
	s_and_not1_b32 vcc_lo, exec_lo, s60
	s_wait_alu 0xfffe
	s_cbranch_vccnz .LBB31_18
; %bb.13:                               ;   in Loop: Header=BB31_3 Depth=1
	s_load_b64 s[42:43], s[34:35], 0x8
                                        ; implicit-def: $vgpr12_vgpr13
	s_mov_b32 s0, exec_lo
	s_wait_kmcnt 0x0
	v_or_b32_e32 v5, s43, v3
	s_delay_alu instid0(VALU_DEP_1)
	v_cmpx_ne_u64_e32 0, v[4:5]
	s_wait_alu 0xfffe
	s_xor_b32 s1, exec_lo, s0
	s_cbranch_execz .LBB31_15
; %bb.14:                               ;   in Loop: Header=BB31_3 Depth=1
	s_ashr_i32 s44, s43, 31
	v_ashrrev_i32_e32 v5, 31, v3
	s_wait_alu 0xfffe
	s_mov_b32 s45, s44
	s_wait_alu 0xfffe
	s_add_nc_u64 s[46:47], s[42:43], s[44:45]
	v_add_co_u32 v12, vcc_lo, v2, v5
	s_wait_alu 0xfffe
	s_xor_b64 s[46:47], s[46:47], s[44:45]
	s_wait_alu 0xfffd
	v_add_co_ci_u32_e64 v13, null, v3, v5, vcc_lo
	s_wait_alu 0xfffe
	s_cvt_f32_u32 s0, s46
	s_cvt_f32_u32 s26, s47
	s_sub_nc_u64 s[50:51], 0, s[46:47]
	v_xor_b32_e32 v22, v12, v5
	v_xor_b32_e32 v23, v13, v5
	s_wait_alu 0xfffe
	s_fmamk_f32 s0, s26, 0x4f800000, s0
	v_xor_b32_e32 v5, s44, v5
	s_wait_alu 0xfffe
	s_delay_alu instid0(SALU_CYCLE_1) | instskip(NEXT) | instid1(TRANS32_DEP_1)
	v_s_rcp_f32 s0, s0
	s_mul_f32 s0, s0, 0x5f7ffffc
	s_wait_alu 0xfffe
	s_delay_alu instid0(SALU_CYCLE_2) | instskip(SKIP_1) | instid1(SALU_CYCLE_2)
	s_mul_f32 s26, s0, 0x2f800000
	s_wait_alu 0xfffe
	s_trunc_f32 s26, s26
	s_wait_alu 0xfffe
	s_delay_alu instid0(SALU_CYCLE_2) | instskip(SKIP_2) | instid1(SALU_CYCLE_1)
	s_fmamk_f32 s0, s26, 0xcf800000, s0
	s_cvt_u32_f32 s49, s26
	s_wait_alu 0xfffe
	s_cvt_u32_f32 s48, s0
	s_wait_alu 0xfffe
	s_delay_alu instid0(SALU_CYCLE_2)
	s_mul_u64 s[52:53], s[50:51], s[48:49]
	s_wait_alu 0xfffe
	s_mul_hi_u32 s55, s48, s53
	s_mul_i32 s54, s48, s53
	s_mul_hi_u32 s26, s48, s52
	s_mul_i32 s41, s49, s52
	s_wait_alu 0xfffe
	s_add_nc_u64 s[54:55], s[26:27], s[54:55]
	s_mul_hi_u32 s0, s49, s52
	s_mul_hi_u32 s45, s49, s53
	s_wait_alu 0xfffe
	s_add_co_u32 s26, s54, s41
	s_add_co_ci_u32 s26, s55, s0
	s_mul_i32 s52, s49, s53
	s_add_co_ci_u32 s53, s45, 0
	s_wait_alu 0xfffe
	s_add_nc_u64 s[52:53], s[26:27], s[52:53]
	s_wait_alu 0xfffe
	s_add_co_u32 s48, s48, s52
	s_cselect_b32 s0, -1, 0
	s_wait_alu 0xfffe
	s_cmp_lg_u32 s0, 0
	s_add_co_ci_u32 s49, s49, s53
	s_wait_alu 0xfffe
	s_mul_u64 s[50:51], s[50:51], s[48:49]
	s_wait_alu 0xfffe
	s_mul_hi_u32 s53, s48, s51
	s_mul_i32 s52, s48, s51
	s_mul_hi_u32 s26, s48, s50
	s_mul_i32 s41, s49, s50
	s_wait_alu 0xfffe
	s_add_nc_u64 s[52:53], s[26:27], s[52:53]
	s_mul_hi_u32 s0, s49, s50
	s_mul_hi_u32 s45, s49, s51
	s_wait_alu 0xfffe
	s_add_co_u32 s26, s52, s41
	s_add_co_ci_u32 s26, s53, s0
	s_mul_i32 s50, s49, s51
	s_add_co_ci_u32 s51, s45, 0
	s_wait_alu 0xfffe
	s_add_nc_u64 s[50:51], s[26:27], s[50:51]
	s_wait_alu 0xfffe
	s_add_co_u32 s0, s48, s50
	s_cselect_b32 s26, -1, 0
	s_wait_alu 0xfffe
	v_mul_hi_u32 v24, v22, s0
	s_cmp_lg_u32 s26, 0
	v_mad_co_u64_u32 v[14:15], null, v23, s0, 0
	s_add_co_ci_u32 s26, s49, s51
	s_wait_alu 0xfffe
	v_mad_co_u64_u32 v[12:13], null, v22, s26, 0
	v_mad_co_u64_u32 v[20:21], null, v23, s26, 0
	s_delay_alu instid0(VALU_DEP_2) | instskip(SKIP_1) | instid1(VALU_DEP_3)
	v_add_co_u32 v12, vcc_lo, v24, v12
	s_wait_alu 0xfffd
	v_add_co_ci_u32_e64 v13, null, 0, v13, vcc_lo
	s_delay_alu instid0(VALU_DEP_2) | instskip(SKIP_1) | instid1(VALU_DEP_2)
	v_add_co_u32 v12, vcc_lo, v12, v14
	s_wait_alu 0xfffd
	v_add_co_ci_u32_e32 v12, vcc_lo, v13, v15, vcc_lo
	s_wait_alu 0xfffd
	v_add_co_ci_u32_e32 v13, vcc_lo, 0, v21, vcc_lo
	s_delay_alu instid0(VALU_DEP_2) | instskip(SKIP_1) | instid1(VALU_DEP_2)
	v_add_co_u32 v14, vcc_lo, v12, v20
	s_wait_alu 0xfffd
	v_add_co_ci_u32_e64 v15, null, 0, v13, vcc_lo
	s_delay_alu instid0(VALU_DEP_2) | instskip(SKIP_1) | instid1(VALU_DEP_3)
	v_mul_lo_u32 v20, s47, v14
	v_mad_co_u64_u32 v[12:13], null, s46, v14, 0
	v_mul_lo_u32 v21, s46, v15
	s_delay_alu instid0(VALU_DEP_2) | instskip(NEXT) | instid1(VALU_DEP_2)
	v_sub_co_u32 v12, vcc_lo, v22, v12
	v_add3_u32 v13, v13, v21, v20
	v_add_co_u32 v21, s0, v14, 2
	s_wait_alu 0xf1ff
	v_add_co_ci_u32_e64 v22, null, 0, v15, s0
	s_delay_alu instid0(VALU_DEP_3) | instskip(SKIP_3) | instid1(VALU_DEP_3)
	v_sub_nc_u32_e32 v20, v23, v13
	v_sub_co_u32 v24, s0, v12, s46
	s_wait_alu 0xfffd
	v_sub_co_ci_u32_e64 v13, null, v23, v13, vcc_lo
	v_subrev_co_ci_u32_e64 v20, null, s47, v20, vcc_lo
	s_delay_alu instid0(VALU_DEP_3) | instskip(SKIP_1) | instid1(VALU_DEP_2)
	v_cmp_le_u32_e32 vcc_lo, s46, v24
	s_wait_alu 0xf1ff
	v_subrev_co_ci_u32_e64 v20, null, 0, v20, s0
	s_wait_alu 0xfffd
	v_cndmask_b32_e64 v23, 0, -1, vcc_lo
	s_delay_alu instid0(VALU_DEP_2)
	v_cmp_le_u32_e32 vcc_lo, s47, v20
	s_wait_alu 0xfffd
	v_cndmask_b32_e64 v24, 0, -1, vcc_lo
	v_cmp_le_u32_e32 vcc_lo, s46, v12
	s_wait_alu 0xfffd
	v_cndmask_b32_e64 v12, 0, -1, vcc_lo
	;; [unrolled: 3-line block ×3, first 2 shown]
	v_cmp_eq_u32_e32 vcc_lo, s47, v20
	s_wait_alu 0xfffd
	v_cndmask_b32_e32 v20, v24, v23, vcc_lo
	v_add_co_u32 v23, vcc_lo, v14, 1
	s_wait_alu 0xfffd
	v_add_co_ci_u32_e64 v24, null, 0, v15, vcc_lo
	v_cmp_eq_u32_e32 vcc_lo, s47, v13
	s_wait_alu 0xfffd
	v_cndmask_b32_e32 v12, v25, v12, vcc_lo
	v_cmp_ne_u32_e32 vcc_lo, 0, v20
	s_wait_alu 0xfffd
	v_cndmask_b32_e32 v13, v24, v22, vcc_lo
	s_delay_alu instid0(VALU_DEP_3) | instskip(SKIP_2) | instid1(VALU_DEP_2)
	v_cmp_ne_u32_e64 s0, 0, v12
	v_cndmask_b32_e32 v12, v23, v21, vcc_lo
	s_wait_alu 0xf1ff
	v_cndmask_b32_e64 v13, v15, v13, s0
	s_delay_alu instid0(VALU_DEP_2) | instskip(NEXT) | instid1(VALU_DEP_2)
	v_cndmask_b32_e64 v12, v14, v12, s0
	v_xor_b32_e32 v13, v13, v5
	s_delay_alu instid0(VALU_DEP_2) | instskip(NEXT) | instid1(VALU_DEP_1)
	v_xor_b32_e32 v12, v12, v5
	v_sub_co_u32 v12, vcc_lo, v12, v5
	s_wait_alu 0xfffd
	s_delay_alu instid0(VALU_DEP_3)
	v_sub_co_ci_u32_e64 v13, null, v13, v5, vcc_lo
.LBB31_15:                              ;   in Loop: Header=BB31_3 Depth=1
	s_wait_alu 0xfffe
	s_and_not1_saveexec_b32 s0, s1
	s_cbranch_execz .LBB31_17
; %bb.16:                               ;   in Loop: Header=BB31_3 Depth=1
	v_cvt_f32_u32_e32 v5, s42
	s_sub_co_i32 s1, 0, s42
	s_delay_alu instid0(VALU_DEP_1) | instskip(NEXT) | instid1(TRANS32_DEP_1)
	v_rcp_iflag_f32_e32 v5, v5
	v_mul_f32_e32 v5, 0x4f7ffffe, v5
	s_delay_alu instid0(VALU_DEP_1) | instskip(SKIP_1) | instid1(VALU_DEP_1)
	v_cvt_u32_f32_e32 v5, v5
	s_wait_alu 0xfffe
	v_mul_lo_u32 v12, s1, v5
	s_delay_alu instid0(VALU_DEP_1) | instskip(NEXT) | instid1(VALU_DEP_1)
	v_mul_hi_u32 v12, v5, v12
	v_add_nc_u32_e32 v5, v5, v12
	s_delay_alu instid0(VALU_DEP_1) | instskip(NEXT) | instid1(VALU_DEP_1)
	v_mul_hi_u32 v5, v2, v5
	v_mul_lo_u32 v12, v5, s42
	v_add_nc_u32_e32 v13, 1, v5
	s_delay_alu instid0(VALU_DEP_2) | instskip(NEXT) | instid1(VALU_DEP_1)
	v_sub_nc_u32_e32 v12, v2, v12
	v_subrev_nc_u32_e32 v14, s42, v12
	v_cmp_le_u32_e32 vcc_lo, s42, v12
	s_wait_alu 0xfffd
	s_delay_alu instid0(VALU_DEP_2) | instskip(NEXT) | instid1(VALU_DEP_1)
	v_dual_cndmask_b32 v12, v12, v14 :: v_dual_cndmask_b32 v5, v5, v13
	v_cmp_le_u32_e32 vcc_lo, s42, v12
	s_delay_alu instid0(VALU_DEP_2) | instskip(SKIP_1) | instid1(VALU_DEP_1)
	v_add_nc_u32_e32 v13, 1, v5
	s_wait_alu 0xfffd
	v_dual_cndmask_b32 v12, v5, v13 :: v_dual_mov_b32 v13, v4
.LBB31_17:                              ;   in Loop: Header=BB31_3 Depth=1
	s_wait_alu 0xfffe
	s_or_b32 exec_lo, exec_lo, s0
	s_delay_alu instid0(VALU_DEP_1) | instskip(NEXT) | instid1(VALU_DEP_2)
	v_mul_lo_u32 v5, v13, s42
	v_mul_lo_u32 v20, v12, s43
	s_load_b64 s[0:1], s[34:35], 0xd0
	v_mad_co_u64_u32 v[14:15], null, v12, s42, 0
	s_load_b64 s[42:43], s[36:37], 0xd0
	v_add3_u32 v5, v15, v20, v5
	v_sub_co_u32 v2, vcc_lo, v2, v14
	s_wait_alu 0xfffd
	s_delay_alu instid0(VALU_DEP_2) | instskip(SKIP_1) | instid1(VALU_DEP_1)
	v_sub_co_ci_u32_e64 v3, null, v3, v5, vcc_lo
	s_wait_kmcnt 0x0
	v_mul_lo_u32 v5, s0, v3
	v_mul_lo_u32 v14, s1, v2
	v_mad_co_u64_u32 v[10:11], null, s0, v2, v[10:11]
	v_mul_lo_u32 v3, s42, v3
	v_mul_lo_u32 v15, s43, v2
	v_mad_co_u64_u32 v[8:9], null, s42, v2, v[8:9]
	s_mov_b64 s[0:1], s[30:31]
	v_add3_u32 v11, v14, v11, v5
	v_add3_u32 v9, v15, v9, v3
	v_dual_mov_b32 v2, v12 :: v_dual_mov_b32 v3, v13
	s_and_not1_b32 vcc_lo, exec_lo, s61
	s_wait_alu 0xfffe
	s_cbranch_vccz .LBB31_19
	s_branch .LBB31_29
.LBB31_18:                              ;   in Loop: Header=BB31_3 Depth=1
	s_mov_b64 s[0:1], s[28:29]
	s_and_not1_b32 vcc_lo, exec_lo, s61
	s_wait_alu 0xfffe
	s_cbranch_vccnz .LBB31_29
.LBB31_19:                              ;   in Loop: Header=BB31_3 Depth=1
	s_lshl_b64 s[44:45], s[0:1], 3
	s_add_nc_u64 s[46:47], s[0:1], 1
	s_wait_alu 0xfffe
	s_add_nc_u64 s[42:43], s[38:39], s[44:45]
	s_add_nc_u64 s[44:45], s[20:21], s[44:45]
	s_branch .LBB31_21
.LBB31_20:                              ;   in Loop: Header=BB31_21 Depth=2
	s_wait_alu 0xfffe
	s_or_b32 exec_lo, exec_lo, s0
	v_mul_lo_u32 v5, v13, s48
	v_mul_lo_u32 v24, v12, s49
	v_mad_co_u64_u32 v[20:21], null, v12, s48, 0
	s_load_b64 s[0:1], s[44:45], 0xc8
	s_load_b64 s[48:49], s[42:43], 0x0
	v_mul_lo_u32 v25, v15, s54
	v_mul_lo_u32 v26, v14, s55
	v_mad_co_u64_u32 v[22:23], null, v14, s54, 0
	v_add3_u32 v5, v21, v24, v5
	v_sub_co_u32 v20, vcc_lo, v2, v20
	s_add_nc_u64 s[46:47], s[46:47], -2
	s_add_nc_u64 s[42:43], s[42:43], -16
	s_wait_alu 0xfffd
	v_sub_co_ci_u32_e64 v5, null, v3, v5, vcc_lo
	v_mul_lo_u32 v21, s53, v20
	v_mad_co_u64_u32 v[2:3], null, s52, v20, v[10:11]
	s_delay_alu instid0(VALU_DEP_3)
	v_mul_lo_u32 v10, s52, v5
	v_mul_lo_u32 v11, s51, v20
	v_mad_co_u64_u32 v[8:9], null, s50, v20, v[8:9]
	v_mul_lo_u32 v5, s50, v5
	v_add3_u32 v20, v23, v26, v25
	v_sub_co_u32 v12, vcc_lo, v12, v22
	v_add3_u32 v3, v21, v3, v10
	s_wait_alu 0xfffe
	s_cmp_eq_u64 s[46:47], 0
	s_wait_alu 0xfffd
	v_sub_co_ci_u32_e64 v13, null, v13, v20, vcc_lo
	v_add3_u32 v9, v11, v9, v5
	s_wait_kmcnt 0x0
	v_mad_co_u64_u32 v[10:11], null, s0, v12, v[2:3]
	s_delay_alu instid0(VALU_DEP_3)
	v_mul_lo_u32 v2, s0, v13
	v_mul_lo_u32 v3, s1, v12
	;; [unrolled: 1-line block ×4, first 2 shown]
	v_mad_co_u64_u32 v[8:9], null, s48, v12, v[8:9]
	s_add_nc_u64 s[44:45], s[44:45], -16
	v_add3_u32 v11, v3, v11, v2
	v_dual_mov_b32 v2, v14 :: v_dual_mov_b32 v3, v15
	v_add3_u32 v9, v13, v9, v5
	s_cbranch_scc1 .LBB31_29
.LBB31_21:                              ;   Parent Loop BB31_3 Depth=1
                                        ; =>  This Inner Loop Header: Depth=2
	s_load_b64 s[48:49], s[44:45], 0x8
                                        ; implicit-def: $vgpr12_vgpr13
	s_mov_b32 s0, exec_lo
	s_wait_kmcnt 0x0
	v_or_b32_e32 v5, s49, v3
	s_delay_alu instid0(VALU_DEP_1)
	v_cmpx_ne_u64_e32 0, v[4:5]
	s_wait_alu 0xfffe
	s_xor_b32 s1, exec_lo, s0
	s_cbranch_execz .LBB31_23
; %bb.22:                               ;   in Loop: Header=BB31_21 Depth=2
	s_ashr_i32 s50, s49, 31
	v_ashrrev_i32_e32 v5, 31, v3
	s_wait_alu 0xfffe
	s_mov_b32 s51, s50
	s_wait_alu 0xfffe
	s_add_nc_u64 s[52:53], s[48:49], s[50:51]
	v_add_co_u32 v12, vcc_lo, v2, v5
	s_wait_alu 0xfffe
	s_xor_b64 s[52:53], s[52:53], s[50:51]
	s_wait_alu 0xfffd
	v_add_co_ci_u32_e64 v13, null, v3, v5, vcc_lo
	s_wait_alu 0xfffe
	s_cvt_f32_u32 s0, s52
	s_cvt_f32_u32 s26, s53
	s_sub_nc_u64 s[56:57], 0, s[52:53]
	v_xor_b32_e32 v22, v12, v5
	v_xor_b32_e32 v23, v13, v5
	s_wait_alu 0xfffe
	s_fmamk_f32 s0, s26, 0x4f800000, s0
	v_xor_b32_e32 v5, s50, v5
	s_wait_alu 0xfffe
	s_delay_alu instid0(SALU_CYCLE_1) | instskip(NEXT) | instid1(TRANS32_DEP_1)
	v_s_rcp_f32 s0, s0
	s_mul_f32 s0, s0, 0x5f7ffffc
	s_wait_alu 0xfffe
	s_delay_alu instid0(SALU_CYCLE_2) | instskip(SKIP_1) | instid1(SALU_CYCLE_2)
	s_mul_f32 s26, s0, 0x2f800000
	s_wait_alu 0xfffe
	s_trunc_f32 s26, s26
	s_wait_alu 0xfffe
	s_delay_alu instid0(SALU_CYCLE_2) | instskip(SKIP_2) | instid1(SALU_CYCLE_1)
	s_fmamk_f32 s0, s26, 0xcf800000, s0
	s_cvt_u32_f32 s55, s26
	s_wait_alu 0xfffe
	s_cvt_u32_f32 s54, s0
	s_wait_alu 0xfffe
	s_delay_alu instid0(SALU_CYCLE_2)
	s_mul_u64 s[58:59], s[56:57], s[54:55]
	s_wait_alu 0xfffe
	s_mul_hi_u32 s65, s54, s59
	s_mul_i32 s64, s54, s59
	s_mul_hi_u32 s26, s54, s58
	s_mul_i32 s41, s55, s58
	s_wait_alu 0xfffe
	s_add_nc_u64 s[64:65], s[26:27], s[64:65]
	s_mul_hi_u32 s0, s55, s58
	s_mul_hi_u32 s51, s55, s59
	s_add_co_u32 s26, s64, s41
	s_wait_alu 0xfffe
	s_add_co_ci_u32 s26, s65, s0
	s_mul_i32 s58, s55, s59
	s_add_co_ci_u32 s59, s51, 0
	s_wait_alu 0xfffe
	s_add_nc_u64 s[58:59], s[26:27], s[58:59]
	s_wait_alu 0xfffe
	s_add_co_u32 s54, s54, s58
	s_cselect_b32 s0, -1, 0
	s_wait_alu 0xfffe
	s_cmp_lg_u32 s0, 0
	s_add_co_ci_u32 s55, s55, s59
	s_wait_alu 0xfffe
	s_mul_u64 s[56:57], s[56:57], s[54:55]
	s_wait_alu 0xfffe
	s_mul_hi_u32 s59, s54, s57
	s_mul_i32 s58, s54, s57
	s_mul_hi_u32 s26, s54, s56
	s_mul_i32 s41, s55, s56
	s_wait_alu 0xfffe
	s_add_nc_u64 s[58:59], s[26:27], s[58:59]
	s_mul_hi_u32 s0, s55, s56
	s_mul_hi_u32 s51, s55, s57
	s_wait_alu 0xfffe
	s_add_co_u32 s26, s58, s41
	s_add_co_ci_u32 s26, s59, s0
	s_mul_i32 s56, s55, s57
	s_add_co_ci_u32 s57, s51, 0
	s_wait_alu 0xfffe
	s_add_nc_u64 s[56:57], s[26:27], s[56:57]
	s_wait_alu 0xfffe
	s_add_co_u32 s0, s54, s56
	s_cselect_b32 s26, -1, 0
	s_wait_alu 0xfffe
	v_mul_hi_u32 v24, v22, s0
	s_cmp_lg_u32 s26, 0
	v_mad_co_u64_u32 v[14:15], null, v23, s0, 0
	s_add_co_ci_u32 s26, s55, s57
	s_wait_alu 0xfffe
	v_mad_co_u64_u32 v[12:13], null, v22, s26, 0
	v_mad_co_u64_u32 v[20:21], null, v23, s26, 0
	s_delay_alu instid0(VALU_DEP_2) | instskip(SKIP_1) | instid1(VALU_DEP_3)
	v_add_co_u32 v12, vcc_lo, v24, v12
	s_wait_alu 0xfffd
	v_add_co_ci_u32_e64 v13, null, 0, v13, vcc_lo
	s_delay_alu instid0(VALU_DEP_2) | instskip(SKIP_1) | instid1(VALU_DEP_2)
	v_add_co_u32 v12, vcc_lo, v12, v14
	s_wait_alu 0xfffd
	v_add_co_ci_u32_e32 v12, vcc_lo, v13, v15, vcc_lo
	s_wait_alu 0xfffd
	v_add_co_ci_u32_e32 v13, vcc_lo, 0, v21, vcc_lo
	s_delay_alu instid0(VALU_DEP_2) | instskip(SKIP_1) | instid1(VALU_DEP_2)
	v_add_co_u32 v14, vcc_lo, v12, v20
	s_wait_alu 0xfffd
	v_add_co_ci_u32_e64 v15, null, 0, v13, vcc_lo
	s_delay_alu instid0(VALU_DEP_2) | instskip(SKIP_1) | instid1(VALU_DEP_3)
	v_mul_lo_u32 v20, s53, v14
	v_mad_co_u64_u32 v[12:13], null, s52, v14, 0
	v_mul_lo_u32 v21, s52, v15
	s_delay_alu instid0(VALU_DEP_2) | instskip(NEXT) | instid1(VALU_DEP_2)
	v_sub_co_u32 v12, vcc_lo, v22, v12
	v_add3_u32 v13, v13, v21, v20
	v_add_co_u32 v21, s0, v14, 2
	s_wait_alu 0xf1ff
	v_add_co_ci_u32_e64 v22, null, 0, v15, s0
	s_delay_alu instid0(VALU_DEP_3) | instskip(SKIP_3) | instid1(VALU_DEP_3)
	v_sub_nc_u32_e32 v20, v23, v13
	v_sub_co_u32 v24, s0, v12, s52
	s_wait_alu 0xfffd
	v_sub_co_ci_u32_e64 v13, null, v23, v13, vcc_lo
	v_subrev_co_ci_u32_e64 v20, null, s53, v20, vcc_lo
	s_delay_alu instid0(VALU_DEP_3) | instskip(SKIP_1) | instid1(VALU_DEP_2)
	v_cmp_le_u32_e32 vcc_lo, s52, v24
	s_wait_alu 0xf1ff
	v_subrev_co_ci_u32_e64 v20, null, 0, v20, s0
	s_wait_alu 0xfffd
	v_cndmask_b32_e64 v23, 0, -1, vcc_lo
	s_delay_alu instid0(VALU_DEP_2)
	v_cmp_le_u32_e32 vcc_lo, s53, v20
	s_wait_alu 0xfffd
	v_cndmask_b32_e64 v24, 0, -1, vcc_lo
	v_cmp_le_u32_e32 vcc_lo, s52, v12
	s_wait_alu 0xfffd
	v_cndmask_b32_e64 v12, 0, -1, vcc_lo
	;; [unrolled: 3-line block ×3, first 2 shown]
	v_cmp_eq_u32_e32 vcc_lo, s53, v20
	s_wait_alu 0xfffd
	v_cndmask_b32_e32 v20, v24, v23, vcc_lo
	v_add_co_u32 v23, vcc_lo, v14, 1
	s_wait_alu 0xfffd
	v_add_co_ci_u32_e64 v24, null, 0, v15, vcc_lo
	v_cmp_eq_u32_e32 vcc_lo, s53, v13
	s_wait_alu 0xfffd
	v_cndmask_b32_e32 v12, v25, v12, vcc_lo
	v_cmp_ne_u32_e32 vcc_lo, 0, v20
	s_wait_alu 0xfffd
	v_cndmask_b32_e32 v13, v24, v22, vcc_lo
	s_delay_alu instid0(VALU_DEP_3) | instskip(SKIP_2) | instid1(VALU_DEP_2)
	v_cmp_ne_u32_e64 s0, 0, v12
	v_cndmask_b32_e32 v12, v23, v21, vcc_lo
	s_wait_alu 0xf1ff
	v_cndmask_b32_e64 v13, v15, v13, s0
	s_delay_alu instid0(VALU_DEP_2) | instskip(NEXT) | instid1(VALU_DEP_2)
	v_cndmask_b32_e64 v12, v14, v12, s0
	v_xor_b32_e32 v13, v13, v5
	s_delay_alu instid0(VALU_DEP_2) | instskip(NEXT) | instid1(VALU_DEP_1)
	v_xor_b32_e32 v12, v12, v5
	v_sub_co_u32 v12, vcc_lo, v12, v5
	s_wait_alu 0xfffd
	s_delay_alu instid0(VALU_DEP_3)
	v_sub_co_ci_u32_e64 v13, null, v13, v5, vcc_lo
.LBB31_23:                              ;   in Loop: Header=BB31_21 Depth=2
	s_wait_alu 0xfffe
	s_and_not1_saveexec_b32 s0, s1
	s_cbranch_execz .LBB31_25
; %bb.24:                               ;   in Loop: Header=BB31_21 Depth=2
	v_cvt_f32_u32_e32 v5, s48
	s_sub_co_i32 s1, 0, s48
	s_delay_alu instid0(VALU_DEP_1) | instskip(NEXT) | instid1(TRANS32_DEP_1)
	v_rcp_iflag_f32_e32 v5, v5
	v_mul_f32_e32 v5, 0x4f7ffffe, v5
	s_delay_alu instid0(VALU_DEP_1) | instskip(SKIP_1) | instid1(VALU_DEP_1)
	v_cvt_u32_f32_e32 v5, v5
	s_wait_alu 0xfffe
	v_mul_lo_u32 v12, s1, v5
	s_delay_alu instid0(VALU_DEP_1) | instskip(NEXT) | instid1(VALU_DEP_1)
	v_mul_hi_u32 v12, v5, v12
	v_add_nc_u32_e32 v5, v5, v12
	s_delay_alu instid0(VALU_DEP_1) | instskip(NEXT) | instid1(VALU_DEP_1)
	v_mul_hi_u32 v5, v2, v5
	v_mul_lo_u32 v12, v5, s48
	v_add_nc_u32_e32 v13, 1, v5
	s_delay_alu instid0(VALU_DEP_2) | instskip(NEXT) | instid1(VALU_DEP_1)
	v_sub_nc_u32_e32 v12, v2, v12
	v_subrev_nc_u32_e32 v14, s48, v12
	v_cmp_le_u32_e32 vcc_lo, s48, v12
	s_wait_alu 0xfffd
	s_delay_alu instid0(VALU_DEP_2) | instskip(NEXT) | instid1(VALU_DEP_1)
	v_dual_cndmask_b32 v12, v12, v14 :: v_dual_cndmask_b32 v5, v5, v13
	v_cmp_le_u32_e32 vcc_lo, s48, v12
	s_delay_alu instid0(VALU_DEP_2) | instskip(SKIP_1) | instid1(VALU_DEP_1)
	v_add_nc_u32_e32 v13, 1, v5
	s_wait_alu 0xfffd
	v_dual_cndmask_b32 v12, v5, v13 :: v_dual_mov_b32 v13, v4
.LBB31_25:                              ;   in Loop: Header=BB31_21 Depth=2
	s_wait_alu 0xfffe
	s_or_b32 exec_lo, exec_lo, s0
	s_clause 0x1
	s_load_b64 s[54:55], s[44:45], 0x0
	s_load_b64 s[52:53], s[44:45], 0xd0
	;; [unrolled: 1-line block ×3, first 2 shown]
                                        ; implicit-def: $vgpr14_vgpr15
	s_mov_b32 s0, exec_lo
	s_wait_kmcnt 0x0
	v_or_b32_e32 v5, s55, v13
	s_delay_alu instid0(VALU_DEP_1)
	v_cmpx_ne_u64_e32 0, v[4:5]
	s_wait_alu 0xfffe
	s_xor_b32 s1, exec_lo, s0
	s_cbranch_execz .LBB31_27
; %bb.26:                               ;   in Loop: Header=BB31_21 Depth=2
	s_ashr_i32 s56, s55, 31
	v_ashrrev_i32_e32 v5, 31, v13
	s_wait_alu 0xfffe
	s_mov_b32 s57, s56
	s_wait_alu 0xfffe
	s_add_nc_u64 s[58:59], s[54:55], s[56:57]
	v_add_co_u32 v14, vcc_lo, v12, v5
	s_wait_alu 0xfffe
	s_xor_b64 s[58:59], s[58:59], s[56:57]
	s_wait_alu 0xfffd
	v_add_co_ci_u32_e64 v15, null, v13, v5, vcc_lo
	s_wait_alu 0xfffe
	s_cvt_f32_u32 s0, s58
	s_cvt_f32_u32 s26, s59
	s_sub_nc_u64 s[66:67], 0, s[58:59]
	v_xor_b32_e32 v24, v14, v5
	v_xor_b32_e32 v25, v15, v5
	s_wait_alu 0xfffe
	s_fmamk_f32 s0, s26, 0x4f800000, s0
	v_xor_b32_e32 v5, s56, v5
	s_wait_alu 0xfffe
	s_delay_alu instid0(SALU_CYCLE_1) | instskip(NEXT) | instid1(TRANS32_DEP_1)
	v_s_rcp_f32 s0, s0
	s_mul_f32 s0, s0, 0x5f7ffffc
	s_wait_alu 0xfffe
	s_delay_alu instid0(SALU_CYCLE_2) | instskip(SKIP_1) | instid1(SALU_CYCLE_2)
	s_mul_f32 s26, s0, 0x2f800000
	s_wait_alu 0xfffe
	s_trunc_f32 s26, s26
	s_wait_alu 0xfffe
	s_delay_alu instid0(SALU_CYCLE_2) | instskip(SKIP_2) | instid1(SALU_CYCLE_1)
	s_fmamk_f32 s0, s26, 0xcf800000, s0
	s_cvt_u32_f32 s65, s26
	s_wait_alu 0xfffe
	s_cvt_u32_f32 s64, s0
	s_delay_alu instid0(SALU_CYCLE_3) | instskip(NEXT) | instid1(SALU_CYCLE_1)
	s_mul_u64 s[68:69], s[66:67], s[64:65]
	s_mul_hi_u32 s71, s64, s69
	s_mul_i32 s70, s64, s69
	s_mul_hi_u32 s26, s64, s68
	s_mul_i32 s41, s65, s68
	s_wait_alu 0xfffe
	s_add_nc_u64 s[70:71], s[26:27], s[70:71]
	s_mul_hi_u32 s0, s65, s68
	s_mul_hi_u32 s57, s65, s69
	s_add_co_u32 s26, s70, s41
	s_wait_alu 0xfffe
	s_add_co_ci_u32 s26, s71, s0
	s_mul_i32 s68, s65, s69
	s_add_co_ci_u32 s69, s57, 0
	s_wait_alu 0xfffe
	s_add_nc_u64 s[68:69], s[26:27], s[68:69]
	s_delay_alu instid0(SALU_CYCLE_1) | instskip(SKIP_4) | instid1(SALU_CYCLE_1)
	s_add_co_u32 s64, s64, s68
	s_cselect_b32 s0, -1, 0
	s_wait_alu 0xfffe
	s_cmp_lg_u32 s0, 0
	s_add_co_ci_u32 s65, s65, s69
	s_mul_u64 s[66:67], s[66:67], s[64:65]
	s_delay_alu instid0(SALU_CYCLE_1)
	s_mul_hi_u32 s69, s64, s67
	s_mul_i32 s68, s64, s67
	s_mul_hi_u32 s26, s64, s66
	s_mul_i32 s41, s65, s66
	s_wait_alu 0xfffe
	s_add_nc_u64 s[68:69], s[26:27], s[68:69]
	s_mul_hi_u32 s0, s65, s66
	s_mul_hi_u32 s57, s65, s67
	s_add_co_u32 s26, s68, s41
	s_wait_alu 0xfffe
	s_add_co_ci_u32 s26, s69, s0
	s_mul_i32 s66, s65, s67
	s_add_co_ci_u32 s67, s57, 0
	s_wait_alu 0xfffe
	s_add_nc_u64 s[66:67], s[26:27], s[66:67]
	s_delay_alu instid0(SALU_CYCLE_1)
	s_add_co_u32 s0, s64, s66
	s_cselect_b32 s26, -1, 0
	s_wait_alu 0xfffe
	v_mul_hi_u32 v26, v24, s0
	s_cmp_lg_u32 s26, 0
	v_mad_co_u64_u32 v[20:21], null, v25, s0, 0
	s_add_co_ci_u32 s26, s65, s67
	s_wait_alu 0xfffe
	v_mad_co_u64_u32 v[14:15], null, v24, s26, 0
	v_mad_co_u64_u32 v[22:23], null, v25, s26, 0
	s_delay_alu instid0(VALU_DEP_2) | instskip(SKIP_1) | instid1(VALU_DEP_3)
	v_add_co_u32 v14, vcc_lo, v26, v14
	s_wait_alu 0xfffd
	v_add_co_ci_u32_e64 v15, null, 0, v15, vcc_lo
	s_delay_alu instid0(VALU_DEP_2) | instskip(SKIP_1) | instid1(VALU_DEP_2)
	v_add_co_u32 v14, vcc_lo, v14, v20
	s_wait_alu 0xfffd
	v_add_co_ci_u32_e32 v14, vcc_lo, v15, v21, vcc_lo
	s_wait_alu 0xfffd
	v_add_co_ci_u32_e32 v15, vcc_lo, 0, v23, vcc_lo
	s_delay_alu instid0(VALU_DEP_2) | instskip(SKIP_1) | instid1(VALU_DEP_2)
	v_add_co_u32 v20, vcc_lo, v14, v22
	s_wait_alu 0xfffd
	v_add_co_ci_u32_e64 v21, null, 0, v15, vcc_lo
	s_delay_alu instid0(VALU_DEP_2) | instskip(SKIP_1) | instid1(VALU_DEP_3)
	v_mul_lo_u32 v22, s59, v20
	v_mad_co_u64_u32 v[14:15], null, s58, v20, 0
	v_mul_lo_u32 v23, s58, v21
	s_delay_alu instid0(VALU_DEP_2) | instskip(NEXT) | instid1(VALU_DEP_2)
	v_sub_co_u32 v14, vcc_lo, v24, v14
	v_add3_u32 v15, v15, v23, v22
	v_add_co_u32 v23, s0, v20, 2
	s_wait_alu 0xf1ff
	v_add_co_ci_u32_e64 v24, null, 0, v21, s0
	s_delay_alu instid0(VALU_DEP_3) | instskip(SKIP_3) | instid1(VALU_DEP_3)
	v_sub_nc_u32_e32 v22, v25, v15
	v_sub_co_u32 v26, s0, v14, s58
	s_wait_alu 0xfffd
	v_sub_co_ci_u32_e64 v15, null, v25, v15, vcc_lo
	v_subrev_co_ci_u32_e64 v22, null, s59, v22, vcc_lo
	s_delay_alu instid0(VALU_DEP_3) | instskip(SKIP_1) | instid1(VALU_DEP_2)
	v_cmp_le_u32_e32 vcc_lo, s58, v26
	s_wait_alu 0xf1ff
	v_subrev_co_ci_u32_e64 v22, null, 0, v22, s0
	s_wait_alu 0xfffd
	v_cndmask_b32_e64 v25, 0, -1, vcc_lo
	s_delay_alu instid0(VALU_DEP_2)
	v_cmp_le_u32_e32 vcc_lo, s59, v22
	s_wait_alu 0xfffd
	v_cndmask_b32_e64 v26, 0, -1, vcc_lo
	v_cmp_le_u32_e32 vcc_lo, s58, v14
	s_wait_alu 0xfffd
	v_cndmask_b32_e64 v14, 0, -1, vcc_lo
	;; [unrolled: 3-line block ×3, first 2 shown]
	v_cmp_eq_u32_e32 vcc_lo, s59, v22
	s_wait_alu 0xfffd
	v_cndmask_b32_e32 v22, v26, v25, vcc_lo
	v_add_co_u32 v25, vcc_lo, v20, 1
	s_wait_alu 0xfffd
	v_add_co_ci_u32_e64 v26, null, 0, v21, vcc_lo
	v_cmp_eq_u32_e32 vcc_lo, s59, v15
	s_wait_alu 0xfffd
	v_cndmask_b32_e32 v14, v27, v14, vcc_lo
	v_cmp_ne_u32_e32 vcc_lo, 0, v22
	s_wait_alu 0xfffd
	v_cndmask_b32_e32 v15, v26, v24, vcc_lo
	s_delay_alu instid0(VALU_DEP_3) | instskip(SKIP_2) | instid1(VALU_DEP_2)
	v_cmp_ne_u32_e64 s0, 0, v14
	v_cndmask_b32_e32 v14, v25, v23, vcc_lo
	s_wait_alu 0xf1ff
	v_cndmask_b32_e64 v15, v21, v15, s0
	s_delay_alu instid0(VALU_DEP_2) | instskip(NEXT) | instid1(VALU_DEP_2)
	v_cndmask_b32_e64 v14, v20, v14, s0
	v_xor_b32_e32 v15, v15, v5
	s_delay_alu instid0(VALU_DEP_2) | instskip(NEXT) | instid1(VALU_DEP_1)
	v_xor_b32_e32 v14, v14, v5
	v_sub_co_u32 v14, vcc_lo, v14, v5
	s_wait_alu 0xfffd
	s_delay_alu instid0(VALU_DEP_3)
	v_sub_co_ci_u32_e64 v15, null, v15, v5, vcc_lo
.LBB31_27:                              ;   in Loop: Header=BB31_21 Depth=2
	s_wait_alu 0xfffe
	s_and_not1_saveexec_b32 s0, s1
	s_cbranch_execz .LBB31_20
; %bb.28:                               ;   in Loop: Header=BB31_21 Depth=2
	v_cvt_f32_u32_e32 v5, s54
	s_sub_co_i32 s1, 0, s54
	s_delay_alu instid0(VALU_DEP_1) | instskip(NEXT) | instid1(TRANS32_DEP_1)
	v_rcp_iflag_f32_e32 v5, v5
	v_mul_f32_e32 v5, 0x4f7ffffe, v5
	s_delay_alu instid0(VALU_DEP_1) | instskip(SKIP_1) | instid1(VALU_DEP_1)
	v_cvt_u32_f32_e32 v5, v5
	s_wait_alu 0xfffe
	v_mul_lo_u32 v14, s1, v5
	s_delay_alu instid0(VALU_DEP_1) | instskip(NEXT) | instid1(VALU_DEP_1)
	v_mul_hi_u32 v14, v5, v14
	v_add_nc_u32_e32 v5, v5, v14
	s_delay_alu instid0(VALU_DEP_1) | instskip(NEXT) | instid1(VALU_DEP_1)
	v_mul_hi_u32 v5, v12, v5
	v_mul_lo_u32 v14, v5, s54
	v_add_nc_u32_e32 v15, 1, v5
	s_delay_alu instid0(VALU_DEP_2) | instskip(NEXT) | instid1(VALU_DEP_1)
	v_sub_nc_u32_e32 v14, v12, v14
	v_subrev_nc_u32_e32 v20, s54, v14
	v_cmp_le_u32_e32 vcc_lo, s54, v14
	s_wait_alu 0xfffd
	s_delay_alu instid0(VALU_DEP_2) | instskip(NEXT) | instid1(VALU_DEP_1)
	v_dual_cndmask_b32 v14, v14, v20 :: v_dual_cndmask_b32 v5, v5, v15
	v_cmp_le_u32_e32 vcc_lo, s54, v14
	s_delay_alu instid0(VALU_DEP_2) | instskip(SKIP_1) | instid1(VALU_DEP_1)
	v_add_nc_u32_e32 v15, 1, v5
	s_wait_alu 0xfffd
	v_dual_cndmask_b32 v14, v5, v15 :: v_dual_mov_b32 v15, v4
	s_branch .LBB31_20
.LBB31_29:                              ;   in Loop: Header=BB31_3 Depth=1
	v_sub_co_u32 v2, vcc_lo, v0, v18
	s_wait_alu 0xfffd
	v_sub_co_ci_u32_e64 v3, null, v1, v19, vcc_lo
	v_cmp_gt_i64_e32 vcc_lo, s[10:11], v[0:1]
	v_mov_b32_e32 v0, 0
	v_mov_b32_e32 v1, 0
	s_delay_alu instid0(VALU_DEP_4)
	v_cmp_ge_i64_e64 s0, s[4:5], v[2:3]
	v_mov_b32_e32 v2, 0
	v_mov_b32_e32 v3, 0
	s_and_b32 s0, s0, vcc_lo
	s_wait_alu 0xfffe
	s_and_saveexec_b32 s1, s0
	s_cbranch_execz .LBB31_31
; %bb.30:                               ;   in Loop: Header=BB31_3 Depth=1
	v_lshlrev_b64_e32 v[0:1], 4, v[10:11]
	s_delay_alu instid0(VALU_DEP_1) | instskip(SKIP_1) | instid1(VALU_DEP_2)
	v_add_co_u32 v0, s0, s2, v0
	s_wait_alu 0xf1ff
	v_add_co_ci_u32_e64 v1, null, s3, v1, s0
	global_load_b128 v[0:3], v[0:1], off
.LBB31_31:                              ;   in Loop: Header=BB31_3 Depth=1
	s_wait_alu 0xfffe
	s_or_b32 exec_lo, exec_lo, s1
	s_and_saveexec_b32 s0, vcc_lo
	s_cbranch_execz .LBB31_2
; %bb.32:                               ;   in Loop: Header=BB31_3 Depth=1
	v_lshlrev_b64_e32 v[8:9], 4, v[8:9]
	s_delay_alu instid0(VALU_DEP_1) | instskip(SKIP_1) | instid1(VALU_DEP_2)
	v_add_co_u32 v8, vcc_lo, s24, v8
	s_wait_alu 0xfffd
	v_add_co_ci_u32_e64 v9, null, s25, v9, vcc_lo
	s_wait_loadcnt 0x0
	global_store_b128 v[8:9], v[0:3], off
	s_branch .LBB31_2
.LBB31_33:
	s_endpgm
	.section	.rodata,"a",@progbits
	.p2align	6, 0x0
	.amdhsa_kernel _ZN2at6native16triu_tril_kernelIN3c107complexIdEElLb0ELi1ELb0EEEvNS_4cuda6detail10TensorInfoIT_T0_EENS7_IKS8_S9_EEllS9_
		.amdhsa_group_segment_fixed_size 0
		.amdhsa_private_segment_fixed_size 0
		.amdhsa_kernarg_size 1112
		.amdhsa_user_sgpr_count 2
		.amdhsa_user_sgpr_dispatch_ptr 0
		.amdhsa_user_sgpr_queue_ptr 0
		.amdhsa_user_sgpr_kernarg_segment_ptr 1
		.amdhsa_user_sgpr_dispatch_id 0
		.amdhsa_user_sgpr_private_segment_size 0
		.amdhsa_wavefront_size32 1
		.amdhsa_uses_dynamic_stack 0
		.amdhsa_enable_private_segment 0
		.amdhsa_system_sgpr_workgroup_id_x 1
		.amdhsa_system_sgpr_workgroup_id_y 0
		.amdhsa_system_sgpr_workgroup_id_z 0
		.amdhsa_system_sgpr_workgroup_info 0
		.amdhsa_system_vgpr_workitem_id 0
		.amdhsa_next_free_vgpr 28
		.amdhsa_next_free_sgpr 72
		.amdhsa_reserve_vcc 1
		.amdhsa_float_round_mode_32 0
		.amdhsa_float_round_mode_16_64 0
		.amdhsa_float_denorm_mode_32 3
		.amdhsa_float_denorm_mode_16_64 3
		.amdhsa_fp16_overflow 0
		.amdhsa_workgroup_processor_mode 1
		.amdhsa_memory_ordered 1
		.amdhsa_forward_progress 1
		.amdhsa_inst_pref_size 49
		.amdhsa_round_robin_scheduling 0
		.amdhsa_exception_fp_ieee_invalid_op 0
		.amdhsa_exception_fp_denorm_src 0
		.amdhsa_exception_fp_ieee_div_zero 0
		.amdhsa_exception_fp_ieee_overflow 0
		.amdhsa_exception_fp_ieee_underflow 0
		.amdhsa_exception_fp_ieee_inexact 0
		.amdhsa_exception_int_div_zero 0
	.end_amdhsa_kernel
	.section	.text._ZN2at6native16triu_tril_kernelIN3c107complexIdEElLb0ELi1ELb0EEEvNS_4cuda6detail10TensorInfoIT_T0_EENS7_IKS8_S9_EEllS9_,"axG",@progbits,_ZN2at6native16triu_tril_kernelIN3c107complexIdEElLb0ELi1ELb0EEEvNS_4cuda6detail10TensorInfoIT_T0_EENS7_IKS8_S9_EEllS9_,comdat
.Lfunc_end31:
	.size	_ZN2at6native16triu_tril_kernelIN3c107complexIdEElLb0ELi1ELb0EEEvNS_4cuda6detail10TensorInfoIT_T0_EENS7_IKS8_S9_EEllS9_, .Lfunc_end31-_ZN2at6native16triu_tril_kernelIN3c107complexIdEElLb0ELi1ELb0EEEvNS_4cuda6detail10TensorInfoIT_T0_EENS7_IKS8_S9_EEllS9_
                                        ; -- End function
	.set _ZN2at6native16triu_tril_kernelIN3c107complexIdEElLb0ELi1ELb0EEEvNS_4cuda6detail10TensorInfoIT_T0_EENS7_IKS8_S9_EEllS9_.num_vgpr, 28
	.set _ZN2at6native16triu_tril_kernelIN3c107complexIdEElLb0ELi1ELb0EEEvNS_4cuda6detail10TensorInfoIT_T0_EENS7_IKS8_S9_EEllS9_.num_agpr, 0
	.set _ZN2at6native16triu_tril_kernelIN3c107complexIdEElLb0ELi1ELb0EEEvNS_4cuda6detail10TensorInfoIT_T0_EENS7_IKS8_S9_EEllS9_.numbered_sgpr, 72
	.set _ZN2at6native16triu_tril_kernelIN3c107complexIdEElLb0ELi1ELb0EEEvNS_4cuda6detail10TensorInfoIT_T0_EENS7_IKS8_S9_EEllS9_.num_named_barrier, 0
	.set _ZN2at6native16triu_tril_kernelIN3c107complexIdEElLb0ELi1ELb0EEEvNS_4cuda6detail10TensorInfoIT_T0_EENS7_IKS8_S9_EEllS9_.private_seg_size, 0
	.set _ZN2at6native16triu_tril_kernelIN3c107complexIdEElLb0ELi1ELb0EEEvNS_4cuda6detail10TensorInfoIT_T0_EENS7_IKS8_S9_EEllS9_.uses_vcc, 1
	.set _ZN2at6native16triu_tril_kernelIN3c107complexIdEElLb0ELi1ELb0EEEvNS_4cuda6detail10TensorInfoIT_T0_EENS7_IKS8_S9_EEllS9_.uses_flat_scratch, 0
	.set _ZN2at6native16triu_tril_kernelIN3c107complexIdEElLb0ELi1ELb0EEEvNS_4cuda6detail10TensorInfoIT_T0_EENS7_IKS8_S9_EEllS9_.has_dyn_sized_stack, 0
	.set _ZN2at6native16triu_tril_kernelIN3c107complexIdEElLb0ELi1ELb0EEEvNS_4cuda6detail10TensorInfoIT_T0_EENS7_IKS8_S9_EEllS9_.has_recursion, 0
	.set _ZN2at6native16triu_tril_kernelIN3c107complexIdEElLb0ELi1ELb0EEEvNS_4cuda6detail10TensorInfoIT_T0_EENS7_IKS8_S9_EEllS9_.has_indirect_call, 0
	.section	.AMDGPU.csdata,"",@progbits
; Kernel info:
; codeLenInByte = 6236
; TotalNumSgprs: 74
; NumVgprs: 28
; ScratchSize: 0
; MemoryBound: 1
; FloatMode: 240
; IeeeMode: 1
; LDSByteSize: 0 bytes/workgroup (compile time only)
; SGPRBlocks: 0
; VGPRBlocks: 3
; NumSGPRsForWavesPerEU: 74
; NumVGPRsForWavesPerEU: 28
; Occupancy: 16
; WaveLimiterHint : 0
; COMPUTE_PGM_RSRC2:SCRATCH_EN: 0
; COMPUTE_PGM_RSRC2:USER_SGPR: 2
; COMPUTE_PGM_RSRC2:TRAP_HANDLER: 0
; COMPUTE_PGM_RSRC2:TGID_X_EN: 1
; COMPUTE_PGM_RSRC2:TGID_Y_EN: 0
; COMPUTE_PGM_RSRC2:TGID_Z_EN: 0
; COMPUTE_PGM_RSRC2:TIDIG_COMP_CNT: 0
	.section	.text._ZN2at6native16triu_tril_kernelIN3c107complexIfEEiLb0ELi2ELb1EEEvNS_4cuda6detail10TensorInfoIT_T0_EENS7_IKS8_S9_EEllS9_,"axG",@progbits,_ZN2at6native16triu_tril_kernelIN3c107complexIfEEiLb0ELi2ELb1EEEvNS_4cuda6detail10TensorInfoIT_T0_EENS7_IKS8_S9_EEllS9_,comdat
	.protected	_ZN2at6native16triu_tril_kernelIN3c107complexIfEEiLb0ELi2ELb1EEEvNS_4cuda6detail10TensorInfoIT_T0_EENS7_IKS8_S9_EEllS9_ ; -- Begin function _ZN2at6native16triu_tril_kernelIN3c107complexIfEEiLb0ELi2ELb1EEEvNS_4cuda6detail10TensorInfoIT_T0_EENS7_IKS8_S9_EEllS9_
	.globl	_ZN2at6native16triu_tril_kernelIN3c107complexIfEEiLb0ELi2ELb1EEEvNS_4cuda6detail10TensorInfoIT_T0_EENS7_IKS8_S9_EEllS9_
	.p2align	8
	.type	_ZN2at6native16triu_tril_kernelIN3c107complexIfEEiLb0ELi2ELb1EEEvNS_4cuda6detail10TensorInfoIT_T0_EENS7_IKS8_S9_EEllS9_,@function
_ZN2at6native16triu_tril_kernelIN3c107complexIfEEiLb0ELi2ELb1EEEvNS_4cuda6detail10TensorInfoIT_T0_EENS7_IKS8_S9_EEllS9_: ; @_ZN2at6native16triu_tril_kernelIN3c107complexIfEEiLb0ELi2ELb1EEEvNS_4cuda6detail10TensorInfoIT_T0_EENS7_IKS8_S9_EEllS9_
; %bb.0:
	s_clause 0x1
	s_load_b32 s2, s[0:1], 0x1d4
	s_load_b128 s[4:7], s[0:1], 0x1b0
	v_mov_b32_e32 v2, 0
	s_mov_b32 s3, exec_lo
	s_delay_alu instid0(VALU_DEP_1)
	v_mov_b32_e32 v1, v2
	s_wait_kmcnt 0x0
	s_and_b32 s2, s2, 0xffff
	s_delay_alu instid0(VALU_DEP_1) | instid1(SALU_CYCLE_1)
	v_mad_co_u64_u32 v[0:1], null, s2, ttmp9, v[0:1]
	s_delay_alu instid0(VALU_DEP_1) | instskip(NEXT) | instid1(VALU_DEP_1)
	v_lshlrev_b64_e32 v[0:1], 1, v[0:1]
	v_cmpx_gt_i64_e64 s[6:7], v[0:1]
	s_cbranch_execz .LBB32_62
; %bb.1:
	s_clause 0x1
	s_load_b32 s20, s[0:1], 0x1a8
	s_load_b32 s8, s[0:1], 0x1c0
	s_add_nc_u64 s[12:13], s[0:1], 0x1c8
	s_add_nc_u64 s[10:11], s[0:1], 0xd8
	s_load_b32 s3, s[12:13], 0x0
	s_mov_b32 s19, 0
	s_mov_b32 s57, 0
	s_wait_kmcnt 0x0
	s_ashr_i32 s21, s20, 31
	v_cvt_f32_u32_e32 v3, s8
	s_lshl_b64 s[22:23], s[20:21], 2
	s_add_co_i32 s9, s20, 6
	s_add_nc_u64 s[12:13], s[10:11], s[22:23]
	s_mul_i32 s3, s3, s2
	s_clause 0x1
	s_load_b32 s14, s[12:13], 0x0
	s_load_b64 s[16:17], s[0:1], 0x0
	v_rcp_iflag_f32_e32 v3, v3
	s_and_b32 s18, s20, 7
	s_add_co_i32 s33, s20, -3
	s_and_b32 s52, s9, 7
	s_lshl_b32 s53, s3, 1
	s_ashr_i32 s9, s8, 31
	v_cmp_gt_i64_e64 s56, s[20:21], 2
	s_add_nc_u64 s[20:21], s[0:1], s[22:23]
	s_wait_kmcnt 0x0
	v_cvt_f32_u32_e32 v4, s14
	s_ashr_i32 s15, s14, 31
	s_cmp_lg_u32 s18, 2
	s_cselect_b32 s54, -1, 0
	s_delay_alu instid0(VALU_DEP_1)
	v_rcp_iflag_f32_e32 v4, v4
	v_mul_f32_e32 v3, 0x4f7ffffe, v3
	s_cmp_gt_u32 s33, 6
	s_cselect_b32 s55, -1, 0
	s_sub_co_i32 s2, 0, s8
	s_wait_alu 0xfffe
	s_ashr_i32 s22, s9, 31
	s_ashr_i32 s24, s15, 31
	s_delay_alu instid0(TRANS32_DEP_1) | instskip(SKIP_1) | instid1(VALU_DEP_2)
	v_mul_f32_e32 v4, 0x4f7ffffe, v4
	v_cvt_u32_f32_e32 v3, v3
	v_cvt_u32_f32_e32 v25, v4
	s_delay_alu instid0(VALU_DEP_2) | instskip(NEXT) | instid1(VALU_DEP_1)
	v_mul_lo_u32 v5, s2, v3
	v_mul_hi_u32 v5, v3, v5
	s_delay_alu instid0(VALU_DEP_1)
	v_add_nc_u32_e32 v26, v3, v5
	s_branch .LBB32_3
.LBB32_2:                               ;   in Loop: Header=BB32_3 Depth=1
	s_wait_alu 0xfffe
	s_or_b32 exec_lo, exec_lo, s23
	v_add_co_u32 v0, vcc_lo, v0, s53
	s_wait_alu 0xfffd
	v_add_co_ci_u32_e64 v1, null, 0, v1, vcc_lo
	s_delay_alu instid0(VALU_DEP_1) | instskip(SKIP_1) | instid1(SALU_CYCLE_1)
	v_cmp_le_i64_e32 vcc_lo, s[6:7], v[0:1]
	s_or_b32 s57, vcc_lo, s57
	s_and_not1_b32 exec_lo, exec_lo, s57
	s_cbranch_execz .LBB32_62
.LBB32_3:                               ; =>This Loop Header: Depth=1
                                        ;     Child Loop BB32_16 Depth 2
                                        ;     Child Loop BB32_22 Depth 2
	v_or_b32_e32 v3, s9, v1
                                        ; implicit-def: $vgpr4_vgpr5
	s_mov_b32 s2, exec_lo
	s_delay_alu instid0(VALU_DEP_1)
	v_cmpx_ne_u64_e32 0, v[2:3]
	s_wait_alu 0xfffe
	s_xor_b32 s3, exec_lo, s2
	s_cbranch_execz .LBB32_5
; %bb.4:                                ;   in Loop: Header=BB32_3 Depth=1
	s_mov_b32 s23, s22
	v_ashrrev_i32_e32 v9, 31, v1
	s_wait_alu 0xfffe
	s_add_nc_u64 s[26:27], s[8:9], s[22:23]
	s_wait_alu 0xfffe
	s_xor_b64 s[26:27], s[26:27], s[22:23]
	v_add_co_u32 v3, vcc_lo, v0, v9
	s_wait_alu 0xfffe
	s_cvt_f32_u32 s2, s26
	s_cvt_f32_u32 s18, s27
	s_sub_nc_u64 s[30:31], 0, s[26:27]
	s_wait_alu 0xfffd
	v_add_co_ci_u32_e64 v4, null, v1, v9, vcc_lo
	s_wait_alu 0xfffe
	s_fmamk_f32 s2, s18, 0x4f800000, s2
	v_xor_b32_e32 v10, v3, v9
	s_delay_alu instid0(VALU_DEP_2) | instskip(SKIP_2) | instid1(TRANS32_DEP_1)
	v_xor_b32_e32 v11, v4, v9
	s_wait_alu 0xfffe
	v_s_rcp_f32 s2, s2
	s_mul_f32 s2, s2, 0x5f7ffffc
	s_wait_alu 0xfffe
	s_delay_alu instid0(SALU_CYCLE_2) | instskip(SKIP_1) | instid1(SALU_CYCLE_2)
	s_mul_f32 s18, s2, 0x2f800000
	s_wait_alu 0xfffe
	s_trunc_f32 s18, s18
	s_wait_alu 0xfffe
	s_delay_alu instid0(SALU_CYCLE_2) | instskip(SKIP_2) | instid1(SALU_CYCLE_1)
	s_fmamk_f32 s2, s18, 0xcf800000, s2
	s_cvt_u32_f32 s29, s18
	s_wait_alu 0xfffe
	s_cvt_u32_f32 s28, s2
	s_wait_alu 0xfffe
	s_delay_alu instid0(SALU_CYCLE_2)
	s_mul_u64 s[34:35], s[30:31], s[28:29]
	s_wait_alu 0xfffe
	s_mul_hi_u32 s37, s28, s35
	s_mul_i32 s36, s28, s35
	s_mul_hi_u32 s18, s28, s34
	s_mul_i32 s23, s29, s34
	s_wait_alu 0xfffe
	s_add_nc_u64 s[36:37], s[18:19], s[36:37]
	s_mul_hi_u32 s2, s29, s34
	s_mul_hi_u32 s25, s29, s35
	s_wait_alu 0xfffe
	s_add_co_u32 s18, s36, s23
	s_add_co_ci_u32 s18, s37, s2
	s_mul_i32 s34, s29, s35
	s_add_co_ci_u32 s35, s25, 0
	s_wait_alu 0xfffe
	s_add_nc_u64 s[34:35], s[18:19], s[34:35]
	s_wait_alu 0xfffe
	s_add_co_u32 s28, s28, s34
	s_cselect_b32 s2, -1, 0
	s_wait_alu 0xfffe
	s_cmp_lg_u32 s2, 0
	s_add_co_ci_u32 s29, s29, s35
	s_wait_alu 0xfffe
	s_mul_u64 s[30:31], s[30:31], s[28:29]
	s_wait_alu 0xfffe
	s_mul_hi_u32 s35, s28, s31
	s_mul_i32 s34, s28, s31
	s_mul_hi_u32 s18, s28, s30
	s_mul_i32 s23, s29, s30
	s_wait_alu 0xfffe
	s_add_nc_u64 s[34:35], s[18:19], s[34:35]
	s_mul_hi_u32 s2, s29, s30
	s_mul_hi_u32 s25, s29, s31
	s_wait_alu 0xfffe
	s_add_co_u32 s18, s34, s23
	s_add_co_ci_u32 s18, s35, s2
	s_mul_i32 s30, s29, s31
	s_add_co_ci_u32 s31, s25, 0
	s_wait_alu 0xfffe
	s_add_nc_u64 s[30:31], s[18:19], s[30:31]
	s_wait_alu 0xfffe
	s_add_co_u32 s2, s28, s30
	s_cselect_b32 s18, -1, 0
	s_wait_alu 0xfffe
	v_mul_hi_u32 v12, v10, s2
	s_cmp_lg_u32 s18, 0
	v_mad_co_u64_u32 v[5:6], null, v11, s2, 0
	s_add_co_ci_u32 s18, s29, s31
	s_wait_alu 0xfffe
	v_mad_co_u64_u32 v[3:4], null, v10, s18, 0
	v_mad_co_u64_u32 v[7:8], null, v11, s18, 0
	s_delay_alu instid0(VALU_DEP_2) | instskip(SKIP_1) | instid1(VALU_DEP_3)
	v_add_co_u32 v3, vcc_lo, v12, v3
	s_wait_alu 0xfffd
	v_add_co_ci_u32_e64 v4, null, 0, v4, vcc_lo
	s_delay_alu instid0(VALU_DEP_2) | instskip(SKIP_1) | instid1(VALU_DEP_2)
	v_add_co_u32 v3, vcc_lo, v3, v5
	s_wait_alu 0xfffd
	v_add_co_ci_u32_e32 v3, vcc_lo, v4, v6, vcc_lo
	s_wait_alu 0xfffd
	v_add_co_ci_u32_e32 v4, vcc_lo, 0, v8, vcc_lo
	s_delay_alu instid0(VALU_DEP_2) | instskip(SKIP_1) | instid1(VALU_DEP_2)
	v_add_co_u32 v5, vcc_lo, v3, v7
	s_wait_alu 0xfffd
	v_add_co_ci_u32_e64 v6, null, 0, v4, vcc_lo
	s_delay_alu instid0(VALU_DEP_2) | instskip(SKIP_1) | instid1(VALU_DEP_3)
	v_mul_lo_u32 v7, s27, v5
	v_mad_co_u64_u32 v[3:4], null, s26, v5, 0
	v_mul_lo_u32 v8, s26, v6
	s_delay_alu instid0(VALU_DEP_2) | instskip(NEXT) | instid1(VALU_DEP_2)
	v_sub_co_u32 v3, vcc_lo, v10, v3
	v_add3_u32 v4, v4, v8, v7
	v_add_co_u32 v8, s2, v5, 2
	s_wait_alu 0xf1ff
	v_add_co_ci_u32_e64 v10, null, 0, v6, s2
	s_delay_alu instid0(VALU_DEP_3) | instskip(SKIP_3) | instid1(VALU_DEP_3)
	v_sub_nc_u32_e32 v7, v11, v4
	v_sub_co_u32 v12, s2, v3, s26
	s_wait_alu 0xfffd
	v_sub_co_ci_u32_e64 v4, null, v11, v4, vcc_lo
	v_subrev_co_ci_u32_e64 v7, null, s27, v7, vcc_lo
	s_delay_alu instid0(VALU_DEP_3) | instskip(SKIP_1) | instid1(VALU_DEP_2)
	v_cmp_le_u32_e32 vcc_lo, s26, v12
	s_wait_alu 0xf1ff
	v_subrev_co_ci_u32_e64 v7, null, 0, v7, s2
	s_wait_alu 0xfffd
	v_cndmask_b32_e64 v11, 0, -1, vcc_lo
	s_delay_alu instid0(VALU_DEP_2)
	v_cmp_le_u32_e32 vcc_lo, s27, v7
	s_wait_alu 0xfffd
	v_cndmask_b32_e64 v12, 0, -1, vcc_lo
	v_cmp_le_u32_e32 vcc_lo, s26, v3
	s_wait_alu 0xfffd
	v_cndmask_b32_e64 v3, 0, -1, vcc_lo
	;; [unrolled: 3-line block ×3, first 2 shown]
	v_cmp_eq_u32_e32 vcc_lo, s27, v7
	s_wait_alu 0xfffd
	v_cndmask_b32_e32 v7, v12, v11, vcc_lo
	v_add_co_u32 v11, vcc_lo, v5, 1
	s_wait_alu 0xfffd
	v_add_co_ci_u32_e64 v12, null, 0, v6, vcc_lo
	v_cmp_eq_u32_e32 vcc_lo, s27, v4
	s_wait_alu 0xfffd
	v_cndmask_b32_e32 v3, v13, v3, vcc_lo
	v_cmp_ne_u32_e32 vcc_lo, 0, v7
	v_xor_b32_e32 v7, s22, v9
	s_wait_alu 0xfffd
	v_cndmask_b32_e32 v4, v12, v10, vcc_lo
	v_cmp_ne_u32_e64 s2, 0, v3
	v_cndmask_b32_e32 v3, v11, v8, vcc_lo
	s_wait_alu 0xf1ff
	s_delay_alu instid0(VALU_DEP_2) | instskip(NEXT) | instid1(VALU_DEP_2)
	v_cndmask_b32_e64 v4, v6, v4, s2
	v_cndmask_b32_e64 v3, v5, v3, s2
	s_delay_alu instid0(VALU_DEP_2) | instskip(NEXT) | instid1(VALU_DEP_2)
	v_xor_b32_e32 v5, v4, v7
	v_xor_b32_e32 v3, v3, v7
	s_delay_alu instid0(VALU_DEP_1) | instskip(SKIP_1) | instid1(VALU_DEP_3)
	v_sub_co_u32 v4, vcc_lo, v3, v7
	s_wait_alu 0xfffd
	v_sub_co_ci_u32_e64 v5, null, v5, v7, vcc_lo
.LBB32_5:                               ;   in Loop: Header=BB32_3 Depth=1
	s_wait_alu 0xfffe
	s_and_not1_saveexec_b32 s2, s3
	s_cbranch_execz .LBB32_7
; %bb.6:                                ;   in Loop: Header=BB32_3 Depth=1
	v_mul_hi_u32 v3, v0, v26
	s_delay_alu instid0(VALU_DEP_1) | instskip(NEXT) | instid1(VALU_DEP_1)
	v_mul_lo_u32 v4, v3, s8
	v_sub_nc_u32_e32 v4, v0, v4
	s_delay_alu instid0(VALU_DEP_1) | instskip(SKIP_2) | instid1(VALU_DEP_2)
	v_subrev_nc_u32_e32 v6, s8, v4
	v_cmp_le_u32_e32 vcc_lo, s8, v4
	s_wait_alu 0xfffd
	v_dual_cndmask_b32 v4, v4, v6 :: v_dual_add_nc_u32 v5, 1, v3
	s_delay_alu instid0(VALU_DEP_1) | instskip(NEXT) | instid1(VALU_DEP_2)
	v_cndmask_b32_e32 v3, v3, v5, vcc_lo
	v_cmp_le_u32_e32 vcc_lo, s8, v4
	s_delay_alu instid0(VALU_DEP_2) | instskip(SKIP_1) | instid1(VALU_DEP_1)
	v_add_nc_u32_e32 v5, 1, v3
	s_wait_alu 0xfffd
	v_dual_cndmask_b32 v4, v3, v5 :: v_dual_mov_b32 v5, v2
.LBB32_7:                               ;   in Loop: Header=BB32_3 Depth=1
	s_wait_alu 0xfffe
	s_or_b32 exec_lo, exec_lo, s2
	s_delay_alu instid0(VALU_DEP_1) | instskip(SKIP_1) | instid1(VALU_DEP_1)
	v_or_b32_e32 v3, s15, v5
                                        ; implicit-def: $vgpr7_vgpr8
	s_mov_b32 s2, exec_lo
	v_cmpx_ne_u64_e32 0, v[2:3]
	s_wait_alu 0xfffe
	s_xor_b32 s3, exec_lo, s2
	s_cbranch_execz .LBB32_9
; %bb.8:                                ;   in Loop: Header=BB32_3 Depth=1
	s_mov_b32 s25, s24
	v_ashrrev_i32_e32 v3, 31, v5
	s_wait_alu 0xfffe
	s_add_nc_u64 s[26:27], s[14:15], s[24:25]
	s_wait_alu 0xfffe
	s_xor_b64 s[26:27], s[26:27], s[24:25]
	v_add_co_u32 v6, vcc_lo, v4, v3
	s_wait_alu 0xfffe
	s_cvt_f32_u32 s2, s26
	s_cvt_f32_u32 s18, s27
	s_sub_nc_u64 s[30:31], 0, s[26:27]
	s_wait_alu 0xfffd
	v_add_co_ci_u32_e64 v5, null, v5, v3, vcc_lo
	s_wait_alu 0xfffe
	s_fmamk_f32 s2, s18, 0x4f800000, s2
	v_xor_b32_e32 v11, v6, v3
	s_delay_alu instid0(VALU_DEP_2) | instskip(SKIP_3) | instid1(TRANS32_DEP_1)
	v_xor_b32_e32 v12, v5, v3
	s_wait_alu 0xfffe
	v_s_rcp_f32 s2, s2
	v_xor_b32_e32 v3, s24, v3
	s_mul_f32 s2, s2, 0x5f7ffffc
	s_wait_alu 0xfffe
	s_delay_alu instid0(SALU_CYCLE_2) | instskip(SKIP_1) | instid1(SALU_CYCLE_2)
	s_mul_f32 s18, s2, 0x2f800000
	s_wait_alu 0xfffe
	s_trunc_f32 s18, s18
	s_wait_alu 0xfffe
	s_delay_alu instid0(SALU_CYCLE_2) | instskip(SKIP_2) | instid1(SALU_CYCLE_1)
	s_fmamk_f32 s2, s18, 0xcf800000, s2
	s_cvt_u32_f32 s29, s18
	s_wait_alu 0xfffe
	s_cvt_u32_f32 s28, s2
	s_wait_alu 0xfffe
	s_delay_alu instid0(SALU_CYCLE_2)
	s_mul_u64 s[34:35], s[30:31], s[28:29]
	s_wait_alu 0xfffe
	s_mul_hi_u32 s37, s28, s35
	s_mul_i32 s36, s28, s35
	s_mul_hi_u32 s18, s28, s34
	s_mul_i32 s23, s29, s34
	s_wait_alu 0xfffe
	s_add_nc_u64 s[36:37], s[18:19], s[36:37]
	s_mul_hi_u32 s2, s29, s34
	s_mul_hi_u32 s25, s29, s35
	s_wait_alu 0xfffe
	s_add_co_u32 s18, s36, s23
	s_add_co_ci_u32 s18, s37, s2
	s_mul_i32 s34, s29, s35
	s_add_co_ci_u32 s35, s25, 0
	s_wait_alu 0xfffe
	s_add_nc_u64 s[34:35], s[18:19], s[34:35]
	s_wait_alu 0xfffe
	s_add_co_u32 s28, s28, s34
	s_cselect_b32 s2, -1, 0
	s_wait_alu 0xfffe
	s_cmp_lg_u32 s2, 0
	s_add_co_ci_u32 s29, s29, s35
	s_wait_alu 0xfffe
	s_mul_u64 s[30:31], s[30:31], s[28:29]
	s_wait_alu 0xfffe
	s_mul_hi_u32 s35, s28, s31
	s_mul_i32 s34, s28, s31
	s_mul_hi_u32 s18, s28, s30
	s_mul_i32 s23, s29, s30
	s_wait_alu 0xfffe
	s_add_nc_u64 s[34:35], s[18:19], s[34:35]
	s_mul_hi_u32 s2, s29, s30
	s_mul_hi_u32 s25, s29, s31
	s_wait_alu 0xfffe
	s_add_co_u32 s18, s34, s23
	s_add_co_ci_u32 s18, s35, s2
	s_mul_i32 s30, s29, s31
	s_add_co_ci_u32 s31, s25, 0
	s_wait_alu 0xfffe
	s_add_nc_u64 s[30:31], s[18:19], s[30:31]
	s_wait_alu 0xfffe
	s_add_co_u32 s2, s28, s30
	s_cselect_b32 s18, -1, 0
	s_wait_alu 0xfffe
	v_mul_hi_u32 v13, v11, s2
	s_cmp_lg_u32 s18, 0
	v_mad_co_u64_u32 v[7:8], null, v12, s2, 0
	s_add_co_ci_u32 s18, s29, s31
	s_wait_alu 0xfffe
	v_mad_co_u64_u32 v[5:6], null, v11, s18, 0
	v_mad_co_u64_u32 v[9:10], null, v12, s18, 0
	s_delay_alu instid0(VALU_DEP_2) | instskip(SKIP_1) | instid1(VALU_DEP_3)
	v_add_co_u32 v5, vcc_lo, v13, v5
	s_wait_alu 0xfffd
	v_add_co_ci_u32_e64 v6, null, 0, v6, vcc_lo
	s_delay_alu instid0(VALU_DEP_2) | instskip(SKIP_1) | instid1(VALU_DEP_2)
	v_add_co_u32 v5, vcc_lo, v5, v7
	s_wait_alu 0xfffd
	v_add_co_ci_u32_e32 v5, vcc_lo, v6, v8, vcc_lo
	s_wait_alu 0xfffd
	v_add_co_ci_u32_e32 v6, vcc_lo, 0, v10, vcc_lo
	s_delay_alu instid0(VALU_DEP_2) | instskip(SKIP_1) | instid1(VALU_DEP_2)
	v_add_co_u32 v7, vcc_lo, v5, v9
	s_wait_alu 0xfffd
	v_add_co_ci_u32_e64 v8, null, 0, v6, vcc_lo
	s_delay_alu instid0(VALU_DEP_2) | instskip(SKIP_1) | instid1(VALU_DEP_3)
	v_mul_lo_u32 v9, s27, v7
	v_mad_co_u64_u32 v[5:6], null, s26, v7, 0
	v_mul_lo_u32 v10, s26, v8
	s_delay_alu instid0(VALU_DEP_2) | instskip(NEXT) | instid1(VALU_DEP_2)
	v_sub_co_u32 v5, vcc_lo, v11, v5
	v_add3_u32 v6, v6, v10, v9
	v_add_co_u32 v10, s2, v7, 2
	s_wait_alu 0xf1ff
	v_add_co_ci_u32_e64 v11, null, 0, v8, s2
	s_delay_alu instid0(VALU_DEP_3) | instskip(SKIP_3) | instid1(VALU_DEP_3)
	v_sub_nc_u32_e32 v9, v12, v6
	v_sub_co_u32 v13, s2, v5, s26
	s_wait_alu 0xfffd
	v_sub_co_ci_u32_e64 v6, null, v12, v6, vcc_lo
	v_subrev_co_ci_u32_e64 v9, null, s27, v9, vcc_lo
	s_delay_alu instid0(VALU_DEP_3) | instskip(SKIP_1) | instid1(VALU_DEP_2)
	v_cmp_le_u32_e32 vcc_lo, s26, v13
	s_wait_alu 0xf1ff
	v_subrev_co_ci_u32_e64 v9, null, 0, v9, s2
	s_wait_alu 0xfffd
	v_cndmask_b32_e64 v12, 0, -1, vcc_lo
	s_delay_alu instid0(VALU_DEP_2)
	v_cmp_le_u32_e32 vcc_lo, s27, v9
	s_wait_alu 0xfffd
	v_cndmask_b32_e64 v13, 0, -1, vcc_lo
	v_cmp_le_u32_e32 vcc_lo, s26, v5
	s_wait_alu 0xfffd
	v_cndmask_b32_e64 v5, 0, -1, vcc_lo
	;; [unrolled: 3-line block ×3, first 2 shown]
	v_cmp_eq_u32_e32 vcc_lo, s27, v9
	s_wait_alu 0xfffd
	v_cndmask_b32_e32 v9, v13, v12, vcc_lo
	v_add_co_u32 v12, vcc_lo, v7, 1
	s_wait_alu 0xfffd
	v_add_co_ci_u32_e64 v13, null, 0, v8, vcc_lo
	v_cmp_eq_u32_e32 vcc_lo, s27, v6
	s_wait_alu 0xfffd
	v_cndmask_b32_e32 v5, v14, v5, vcc_lo
	v_cmp_ne_u32_e32 vcc_lo, 0, v9
	s_wait_alu 0xfffd
	v_cndmask_b32_e32 v6, v13, v11, vcc_lo
	s_delay_alu instid0(VALU_DEP_3) | instskip(SKIP_2) | instid1(VALU_DEP_2)
	v_cmp_ne_u32_e64 s2, 0, v5
	v_cndmask_b32_e32 v5, v12, v10, vcc_lo
	s_wait_alu 0xf1ff
	v_cndmask_b32_e64 v6, v8, v6, s2
	s_delay_alu instid0(VALU_DEP_2) | instskip(NEXT) | instid1(VALU_DEP_2)
	v_cndmask_b32_e64 v5, v7, v5, s2
	v_xor_b32_e32 v6, v6, v3
	s_delay_alu instid0(VALU_DEP_2) | instskip(NEXT) | instid1(VALU_DEP_1)
	v_xor_b32_e32 v5, v5, v3
	v_sub_co_u32 v7, vcc_lo, v5, v3
	s_wait_alu 0xfffd
	s_delay_alu instid0(VALU_DEP_3)
	v_sub_co_ci_u32_e64 v8, null, v6, v3, vcc_lo
.LBB32_9:                               ;   in Loop: Header=BB32_3 Depth=1
	s_wait_alu 0xfffe
	s_and_not1_saveexec_b32 s2, s3
	s_cbranch_execz .LBB32_11
; %bb.10:                               ;   in Loop: Header=BB32_3 Depth=1
	s_sub_co_i32 s3, 0, s14
	v_mov_b32_e32 v8, v2
	s_wait_alu 0xfffe
	v_mul_lo_u32 v3, s3, v25
	s_delay_alu instid0(VALU_DEP_1) | instskip(NEXT) | instid1(VALU_DEP_1)
	v_mul_hi_u32 v3, v25, v3
	v_add_nc_u32_e32 v3, v25, v3
	s_delay_alu instid0(VALU_DEP_1) | instskip(NEXT) | instid1(VALU_DEP_1)
	v_mul_hi_u32 v3, v4, v3
	v_mul_lo_u32 v5, v3, s14
	v_add_nc_u32_e32 v6, 1, v3
	s_delay_alu instid0(VALU_DEP_2) | instskip(NEXT) | instid1(VALU_DEP_1)
	v_sub_nc_u32_e32 v5, v4, v5
	v_subrev_nc_u32_e32 v7, s14, v5
	v_cmp_le_u32_e32 vcc_lo, s14, v5
	s_wait_alu 0xfffd
	s_delay_alu instid0(VALU_DEP_2) | instskip(SKIP_1) | instid1(VALU_DEP_2)
	v_cndmask_b32_e32 v5, v5, v7, vcc_lo
	v_cndmask_b32_e32 v3, v3, v6, vcc_lo
	v_cmp_le_u32_e32 vcc_lo, s14, v5
	s_delay_alu instid0(VALU_DEP_2) | instskip(SKIP_1) | instid1(VALU_DEP_1)
	v_add_nc_u32_e32 v6, 1, v3
	s_wait_alu 0xfffd
	v_cndmask_b32_e32 v7, v3, v6, vcc_lo
.LBB32_11:                              ;   in Loop: Header=BB32_3 Depth=1
	s_wait_alu 0xfffe
	s_or_b32 exec_lo, exec_lo, s2
	v_mad_co_u64_u32 v[5:6], null, v4, s8, 0
	s_delay_alu instid0(VALU_DEP_2) | instskip(SKIP_3) | instid1(VALU_DEP_1)
	v_mad_co_u64_u32 v[9:10], null, v7, s14, 0
	s_mov_b32 s23, exec_lo
	v_sub_co_u32 v28, null, v0, v5
	v_sub_co_u32 v27, null, v4, v9
	v_sub_nc_u32_e32 v6, v28, v27
	s_delay_alu instid0(VALU_DEP_1) | instskip(NEXT) | instid1(VALU_DEP_1)
	v_add_nc_u32_e32 v3, 2, v6
	v_ashrrev_i32_e32 v4, 31, v3
	s_delay_alu instid0(VALU_DEP_1)
	v_cmpx_lt_i64_e64 s[4:5], v[3:4]
	s_cbranch_execz .LBB32_2
; %bb.12:                               ;   in Loop: Header=BB32_3 Depth=1
	s_load_b64 s[2:3], s[20:21], 0x64
	s_and_not1_b32 vcc_lo, exec_lo, s56
	s_wait_kmcnt 0x0
	v_mul_lo_u32 v3, s3, v28
	s_delay_alu instid0(VALU_DEP_1)
	v_mad_co_u64_u32 v[4:5], null, s2, v27, v[3:4]
	s_wait_alu 0xfffe
	s_cbranch_vccnz .LBB32_56
; %bb.13:                               ;   in Loop: Header=BB32_3 Depth=1
	s_mov_b32 s25, s52
	s_and_not1_b32 vcc_lo, exec_lo, s54
	s_mov_b32 s18, s33
	s_mov_b32 s2, s33
	s_wait_alu 0xfffe
	s_cbranch_vccz .LBB32_16
; %bb.14:                               ;   in Loop: Header=BB32_3 Depth=1
	s_and_not1_b32 vcc_lo, exec_lo, s55
	s_wait_alu 0xfffe
	s_cbranch_vccz .LBB32_21
	s_branch .LBB32_56
.LBB32_15:                              ;   in Loop: Header=BB32_16 Depth=2
	s_wait_alu 0xfffe
	s_or_b32 exec_lo, exec_lo, s2
	s_add_nc_u64 s[26:27], s[0:1], s[26:27]
	v_mul_lo_u32 v3, v9, s28
	s_load_b32 s2, s[26:27], 0x6c
	s_add_co_i32 s25, s25, -1
	s_add_co_i32 s18, s18, -1
	s_wait_alu 0xfffe
	s_cmp_lg_u32 s25, 0
	s_delay_alu instid0(VALU_DEP_1) | instskip(SKIP_2) | instid1(VALU_DEP_2)
	v_sub_nc_u32_e32 v3, v7, v3
	v_dual_mov_b32 v7, v9 :: v_dual_mov_b32 v8, v10
	s_wait_kmcnt 0x0
	v_mad_co_u64_u32 v[4:5], null, s2, v3, v[4:5]
	s_cbranch_scc0 .LBB32_20
.LBB32_16:                              ;   Parent Loop BB32_3 Depth=1
                                        ; =>  This Inner Loop Header: Depth=2
	s_lshl_b64 s[26:27], s[18:19], 2
                                        ; implicit-def: $vgpr9_vgpr10
	s_mov_b32 s2, exec_lo
	s_wait_alu 0xfffe
	s_add_nc_u64 s[28:29], s[10:11], s[26:27]
	s_load_b32 s28, s[28:29], 0x8
	s_wait_kmcnt 0x0
	s_ashr_i32 s29, s28, 31
	s_wait_alu 0xfffe
	v_or_b32_e32 v3, s29, v8
	s_delay_alu instid0(VALU_DEP_1)
	v_cmpx_ne_u64_e32 0, v[2:3]
	s_xor_b32 s36, exec_lo, s2
	s_cbranch_execz .LBB32_18
; %bb.17:                               ;   in Loop: Header=BB32_16 Depth=2
	s_ashr_i32 s30, s29, 31
	s_mov_b32 s43, s19
	s_wait_alu 0xfffe
	s_mov_b32 s31, s30
	s_mov_b32 s47, s19
	s_wait_alu 0xfffe
	s_add_nc_u64 s[34:35], s[28:29], s[30:31]
	v_ashrrev_i32_e32 v3, 31, v8
	s_wait_alu 0xfffe
	s_xor_b64 s[34:35], s[34:35], s[30:31]
	s_wait_alu 0xfffe
	s_cvt_f32_u32 s2, s34
	s_cvt_f32_u32 s29, s35
	s_sub_nc_u64 s[40:41], 0, s[34:35]
	v_add_co_u32 v5, vcc_lo, v7, v3
	s_wait_alu 0xfffe
	s_fmamk_f32 s2, s29, 0x4f800000, s2
	s_wait_alu 0xfffd
	v_add_co_ci_u32_e64 v8, null, v8, v3, vcc_lo
	v_xor_b32_e32 v5, v5, v3
	s_wait_alu 0xfffe
	v_s_rcp_f32 s2, s2
	s_delay_alu instid0(VALU_DEP_2) | instskip(SKIP_1) | instid1(TRANS32_DEP_1)
	v_xor_b32_e32 v14, v8, v3
	v_xor_b32_e32 v3, s30, v3
	s_mul_f32 s2, s2, 0x5f7ffffc
	s_wait_alu 0xfffe
	s_delay_alu instid0(SALU_CYCLE_2) | instskip(SKIP_1) | instid1(SALU_CYCLE_2)
	s_mul_f32 s29, s2, 0x2f800000
	s_wait_alu 0xfffe
	s_trunc_f32 s29, s29
	s_wait_alu 0xfffe
	s_delay_alu instid0(SALU_CYCLE_2) | instskip(SKIP_2) | instid1(SALU_CYCLE_1)
	s_fmamk_f32 s2, s29, 0xcf800000, s2
	s_cvt_u32_f32 s39, s29
	s_wait_alu 0xfffe
	s_cvt_u32_f32 s38, s2
	s_wait_alu 0xfffe
	s_delay_alu instid0(SALU_CYCLE_2)
	s_mul_u64 s[44:45], s[40:41], s[38:39]
	s_wait_alu 0xfffe
	s_mul_hi_u32 s49, s38, s45
	s_mul_i32 s48, s38, s45
	s_mul_hi_u32 s42, s38, s44
	s_mul_i32 s29, s39, s44
	s_wait_alu 0xfffe
	s_add_nc_u64 s[42:43], s[42:43], s[48:49]
	s_mul_hi_u32 s2, s39, s44
	s_mul_hi_u32 s31, s39, s45
	s_wait_alu 0xfffe
	s_add_co_u32 s29, s42, s29
	s_add_co_ci_u32 s46, s43, s2
	s_mul_i32 s44, s39, s45
	s_add_co_ci_u32 s45, s31, 0
	s_wait_alu 0xfffe
	s_add_nc_u64 s[42:43], s[46:47], s[44:45]
	s_mov_b32 s45, s19
	s_wait_alu 0xfffe
	s_add_co_u32 s38, s38, s42
	s_cselect_b32 s2, -1, 0
	s_wait_alu 0xfffe
	s_cmp_lg_u32 s2, 0
	s_add_co_ci_u32 s39, s39, s43
	s_mov_b32 s43, s19
	s_wait_alu 0xfffe
	s_mul_u64 s[40:41], s[40:41], s[38:39]
	s_wait_alu 0xfffe
	s_mul_hi_u32 s47, s38, s41
	s_mul_i32 s46, s38, s41
	s_mul_hi_u32 s44, s38, s40
	s_mul_i32 s29, s39, s40
	s_wait_alu 0xfffe
	s_add_nc_u64 s[44:45], s[44:45], s[46:47]
	s_mul_hi_u32 s2, s39, s40
	s_mul_hi_u32 s31, s39, s41
	s_wait_alu 0xfffe
	s_add_co_u32 s29, s44, s29
	s_add_co_ci_u32 s42, s45, s2
	s_mul_i32 s40, s39, s41
	s_add_co_ci_u32 s41, s31, 0
	s_wait_alu 0xfffe
	s_add_nc_u64 s[40:41], s[42:43], s[40:41]
	s_wait_alu 0xfffe
	s_add_co_u32 s2, s38, s40
	s_cselect_b32 s29, -1, 0
	s_wait_alu 0xfffe
	v_mul_hi_u32 v15, v5, s2
	s_cmp_lg_u32 s29, 0
	v_mad_co_u64_u32 v[10:11], null, v14, s2, 0
	s_add_co_ci_u32 s29, s39, s41
	s_wait_alu 0xfffe
	v_mad_co_u64_u32 v[8:9], null, v5, s29, 0
	v_mad_co_u64_u32 v[12:13], null, v14, s29, 0
	s_delay_alu instid0(VALU_DEP_2) | instskip(SKIP_1) | instid1(VALU_DEP_3)
	v_add_co_u32 v8, vcc_lo, v15, v8
	s_wait_alu 0xfffd
	v_add_co_ci_u32_e64 v9, null, 0, v9, vcc_lo
	s_delay_alu instid0(VALU_DEP_2) | instskip(SKIP_1) | instid1(VALU_DEP_2)
	v_add_co_u32 v8, vcc_lo, v8, v10
	s_wait_alu 0xfffd
	v_add_co_ci_u32_e32 v8, vcc_lo, v9, v11, vcc_lo
	s_wait_alu 0xfffd
	v_add_co_ci_u32_e32 v9, vcc_lo, 0, v13, vcc_lo
	s_delay_alu instid0(VALU_DEP_2) | instskip(SKIP_1) | instid1(VALU_DEP_2)
	v_add_co_u32 v10, vcc_lo, v8, v12
	s_wait_alu 0xfffd
	v_add_co_ci_u32_e64 v11, null, 0, v9, vcc_lo
	s_delay_alu instid0(VALU_DEP_2) | instskip(SKIP_1) | instid1(VALU_DEP_3)
	v_mul_lo_u32 v12, s35, v10
	v_mad_co_u64_u32 v[8:9], null, s34, v10, 0
	v_mul_lo_u32 v13, s34, v11
	s_delay_alu instid0(VALU_DEP_2) | instskip(NEXT) | instid1(VALU_DEP_2)
	v_sub_co_u32 v5, vcc_lo, v5, v8
	v_add3_u32 v9, v9, v13, v12
	s_delay_alu instid0(VALU_DEP_1) | instskip(SKIP_2) | instid1(VALU_DEP_2)
	v_sub_nc_u32_e32 v12, v14, v9
	s_wait_alu 0xfffd
	v_sub_co_ci_u32_e64 v9, null, v14, v9, vcc_lo
	v_subrev_co_ci_u32_e64 v8, null, s35, v12, vcc_lo
	v_add_co_u32 v12, s2, v10, 2
	s_wait_alu 0xf1ff
	v_add_co_ci_u32_e64 v13, null, 0, v11, s2
	v_sub_co_u32 v15, s2, v5, s34
	s_wait_alu 0xf1ff
	v_subrev_co_ci_u32_e64 v8, null, 0, v8, s2
	s_delay_alu instid0(VALU_DEP_2) | instskip(SKIP_2) | instid1(VALU_DEP_3)
	v_cmp_le_u32_e32 vcc_lo, s34, v15
	s_wait_alu 0xfffd
	v_cndmask_b32_e64 v14, 0, -1, vcc_lo
	v_cmp_le_u32_e32 vcc_lo, s35, v8
	s_wait_alu 0xfffd
	v_cndmask_b32_e64 v15, 0, -1, vcc_lo
	;; [unrolled: 3-line block ×4, first 2 shown]
	v_cmp_eq_u32_e32 vcc_lo, s35, v8
	s_wait_alu 0xfffd
	v_cndmask_b32_e32 v8, v15, v14, vcc_lo
	v_add_co_u32 v14, vcc_lo, v10, 1
	s_wait_alu 0xfffd
	v_add_co_ci_u32_e64 v15, null, 0, v11, vcc_lo
	v_cmp_eq_u32_e32 vcc_lo, s35, v9
	s_wait_alu 0xfffd
	v_cndmask_b32_e32 v5, v16, v5, vcc_lo
	v_cmp_ne_u32_e32 vcc_lo, 0, v8
	s_delay_alu instid0(VALU_DEP_2) | instskip(SKIP_3) | instid1(VALU_DEP_1)
	v_cmp_ne_u32_e64 s2, 0, v5
	s_wait_alu 0xfffd
	v_dual_cndmask_b32 v8, v15, v13 :: v_dual_cndmask_b32 v5, v14, v12
	s_wait_alu 0xf1ff
	v_cndmask_b32_e64 v8, v11, v8, s2
	s_delay_alu instid0(VALU_DEP_2) | instskip(NEXT) | instid1(VALU_DEP_2)
	v_cndmask_b32_e64 v5, v10, v5, s2
	v_xor_b32_e32 v8, v8, v3
	s_delay_alu instid0(VALU_DEP_2) | instskip(NEXT) | instid1(VALU_DEP_1)
	v_xor_b32_e32 v5, v5, v3
	v_sub_co_u32 v9, vcc_lo, v5, v3
	s_wait_alu 0xfffd
	s_delay_alu instid0(VALU_DEP_3)
	v_sub_co_ci_u32_e64 v10, null, v8, v3, vcc_lo
.LBB32_18:                              ;   in Loop: Header=BB32_16 Depth=2
	s_wait_alu 0xfffe
	s_and_not1_saveexec_b32 s2, s36
	s_cbranch_execz .LBB32_15
; %bb.19:                               ;   in Loop: Header=BB32_16 Depth=2
	v_cvt_f32_u32_e32 v3, s28
	s_sub_co_i32 s29, 0, s28
	v_mov_b32_e32 v10, v2
	s_delay_alu instid0(VALU_DEP_2) | instskip(NEXT) | instid1(TRANS32_DEP_1)
	v_rcp_iflag_f32_e32 v3, v3
	v_mul_f32_e32 v3, 0x4f7ffffe, v3
	s_delay_alu instid0(VALU_DEP_1) | instskip(SKIP_1) | instid1(VALU_DEP_1)
	v_cvt_u32_f32_e32 v3, v3
	s_wait_alu 0xfffe
	v_mul_lo_u32 v5, s29, v3
	s_delay_alu instid0(VALU_DEP_1) | instskip(NEXT) | instid1(VALU_DEP_1)
	v_mul_hi_u32 v5, v3, v5
	v_add_nc_u32_e32 v3, v3, v5
	s_delay_alu instid0(VALU_DEP_1) | instskip(NEXT) | instid1(VALU_DEP_1)
	v_mul_hi_u32 v3, v7, v3
	v_mul_lo_u32 v5, v3, s28
	s_delay_alu instid0(VALU_DEP_1) | instskip(NEXT) | instid1(VALU_DEP_1)
	v_sub_nc_u32_e32 v5, v7, v5
	v_subrev_nc_u32_e32 v9, s28, v5
	v_cmp_le_u32_e32 vcc_lo, s28, v5
	s_wait_alu 0xfffd
	s_delay_alu instid0(VALU_DEP_2) | instskip(NEXT) | instid1(VALU_DEP_1)
	v_dual_cndmask_b32 v5, v5, v9 :: v_dual_add_nc_u32 v8, 1, v3
	v_cndmask_b32_e32 v3, v3, v8, vcc_lo
	s_delay_alu instid0(VALU_DEP_2) | instskip(NEXT) | instid1(VALU_DEP_2)
	v_cmp_le_u32_e32 vcc_lo, s28, v5
	v_add_nc_u32_e32 v8, 1, v3
	s_wait_alu 0xfffd
	s_delay_alu instid0(VALU_DEP_1)
	v_cndmask_b32_e32 v9, v3, v8, vcc_lo
	s_branch .LBB32_15
.LBB32_20:                              ;   in Loop: Header=BB32_3 Depth=1
	s_mov_b32 s2, s18
	s_and_not1_b32 vcc_lo, exec_lo, s55
	s_wait_alu 0xfffe
	s_cbranch_vccnz .LBB32_56
.LBB32_21:                              ;   in Loop: Header=BB32_3 Depth=1
	s_add_co_i32 s26, s2, -7
.LBB32_22:                              ;   Parent Loop BB32_3 Depth=1
                                        ; =>  This Inner Loop Header: Depth=2
	s_wait_alu 0xfffe
	s_add_co_i32 s18, s26, 7
                                        ; implicit-def: $vgpr9_vgpr10
	s_mov_b32 s2, exec_lo
	s_wait_alu 0xfffe
	s_lshl_b64 s[34:35], s[18:19], 2
	s_wait_alu 0xfffe
	s_add_nc_u64 s[28:29], s[10:11], s[34:35]
	s_load_b32 s28, s[28:29], 0x8
	s_wait_kmcnt 0x0
	s_ashr_i32 s29, s28, 31
	s_wait_alu 0xfffe
	v_or_b32_e32 v3, s29, v8
	s_delay_alu instid0(VALU_DEP_1)
	v_cmpx_ne_u64_e32 0, v[2:3]
	s_xor_b32 s25, exec_lo, s2
	s_cbranch_execz .LBB32_24
; %bb.23:                               ;   in Loop: Header=BB32_22 Depth=2
	s_ashr_i32 s30, s29, 31
	v_ashrrev_i32_e32 v3, 31, v8
	s_wait_alu 0xfffe
	s_mov_b32 s31, s30
	s_wait_alu 0xfffe
	s_add_nc_u64 s[36:37], s[28:29], s[30:31]
	v_add_co_u32 v5, vcc_lo, v7, v3
	s_wait_alu 0xfffe
	s_xor_b64 s[36:37], s[36:37], s[30:31]
	s_wait_alu 0xfffd
	v_add_co_ci_u32_e64 v8, null, v8, v3, vcc_lo
	s_wait_alu 0xfffe
	s_cvt_f32_u32 s2, s36
	s_cvt_f32_u32 s18, s37
	s_sub_nc_u64 s[40:41], 0, s[36:37]
	v_xor_b32_e32 v5, v5, v3
	v_xor_b32_e32 v14, v8, v3
	s_wait_alu 0xfffe
	s_fmamk_f32 s2, s18, 0x4f800000, s2
	v_xor_b32_e32 v3, s30, v3
	s_wait_alu 0xfffe
	s_delay_alu instid0(SALU_CYCLE_1) | instskip(NEXT) | instid1(TRANS32_DEP_1)
	v_s_rcp_f32 s2, s2
	s_mul_f32 s2, s2, 0x5f7ffffc
	s_wait_alu 0xfffe
	s_delay_alu instid0(SALU_CYCLE_2) | instskip(SKIP_1) | instid1(SALU_CYCLE_2)
	s_mul_f32 s18, s2, 0x2f800000
	s_wait_alu 0xfffe
	s_trunc_f32 s18, s18
	s_wait_alu 0xfffe
	s_delay_alu instid0(SALU_CYCLE_2) | instskip(SKIP_2) | instid1(SALU_CYCLE_1)
	s_fmamk_f32 s2, s18, 0xcf800000, s2
	s_cvt_u32_f32 s39, s18
	s_wait_alu 0xfffe
	s_cvt_u32_f32 s38, s2
	s_wait_alu 0xfffe
	s_delay_alu instid0(SALU_CYCLE_2)
	s_mul_u64 s[42:43], s[40:41], s[38:39]
	s_wait_alu 0xfffe
	s_mul_hi_u32 s45, s38, s43
	s_mul_i32 s44, s38, s43
	s_mul_hi_u32 s18, s38, s42
	s_mul_i32 s27, s39, s42
	s_wait_alu 0xfffe
	s_add_nc_u64 s[44:45], s[18:19], s[44:45]
	s_mul_hi_u32 s2, s39, s42
	s_mul_hi_u32 s29, s39, s43
	s_wait_alu 0xfffe
	s_add_co_u32 s18, s44, s27
	s_add_co_ci_u32 s18, s45, s2
	s_mul_i32 s42, s39, s43
	s_add_co_ci_u32 s43, s29, 0
	s_wait_alu 0xfffe
	s_add_nc_u64 s[42:43], s[18:19], s[42:43]
	s_wait_alu 0xfffe
	s_add_co_u32 s38, s38, s42
	s_cselect_b32 s2, -1, 0
	s_wait_alu 0xfffe
	s_cmp_lg_u32 s2, 0
	s_add_co_ci_u32 s39, s39, s43
	s_wait_alu 0xfffe
	s_mul_u64 s[40:41], s[40:41], s[38:39]
	s_wait_alu 0xfffe
	s_mul_hi_u32 s43, s38, s41
	s_mul_i32 s42, s38, s41
	s_mul_hi_u32 s18, s38, s40
	s_mul_i32 s27, s39, s40
	s_wait_alu 0xfffe
	s_add_nc_u64 s[42:43], s[18:19], s[42:43]
	s_mul_hi_u32 s2, s39, s40
	s_mul_hi_u32 s29, s39, s41
	s_wait_alu 0xfffe
	s_add_co_u32 s18, s42, s27
	s_add_co_ci_u32 s18, s43, s2
	s_mul_i32 s40, s39, s41
	s_add_co_ci_u32 s41, s29, 0
	s_wait_alu 0xfffe
	s_add_nc_u64 s[40:41], s[18:19], s[40:41]
	s_wait_alu 0xfffe
	s_add_co_u32 s2, s38, s40
	s_cselect_b32 s18, -1, 0
	s_wait_alu 0xfffe
	v_mul_hi_u32 v15, v5, s2
	s_cmp_lg_u32 s18, 0
	v_mad_co_u64_u32 v[10:11], null, v14, s2, 0
	s_add_co_ci_u32 s18, s39, s41
	s_wait_alu 0xfffe
	v_mad_co_u64_u32 v[8:9], null, v5, s18, 0
	v_mad_co_u64_u32 v[12:13], null, v14, s18, 0
	s_delay_alu instid0(VALU_DEP_2) | instskip(SKIP_1) | instid1(VALU_DEP_3)
	v_add_co_u32 v8, vcc_lo, v15, v8
	s_wait_alu 0xfffd
	v_add_co_ci_u32_e64 v9, null, 0, v9, vcc_lo
	s_delay_alu instid0(VALU_DEP_2) | instskip(SKIP_1) | instid1(VALU_DEP_2)
	v_add_co_u32 v8, vcc_lo, v8, v10
	s_wait_alu 0xfffd
	v_add_co_ci_u32_e32 v8, vcc_lo, v9, v11, vcc_lo
	s_wait_alu 0xfffd
	v_add_co_ci_u32_e32 v9, vcc_lo, 0, v13, vcc_lo
	s_delay_alu instid0(VALU_DEP_2) | instskip(SKIP_1) | instid1(VALU_DEP_2)
	v_add_co_u32 v10, vcc_lo, v8, v12
	s_wait_alu 0xfffd
	v_add_co_ci_u32_e64 v11, null, 0, v9, vcc_lo
	s_delay_alu instid0(VALU_DEP_2) | instskip(SKIP_1) | instid1(VALU_DEP_3)
	v_mul_lo_u32 v12, s37, v10
	v_mad_co_u64_u32 v[8:9], null, s36, v10, 0
	v_mul_lo_u32 v13, s36, v11
	s_delay_alu instid0(VALU_DEP_2) | instskip(NEXT) | instid1(VALU_DEP_2)
	v_sub_co_u32 v5, vcc_lo, v5, v8
	v_add3_u32 v9, v9, v13, v12
	s_delay_alu instid0(VALU_DEP_1) | instskip(SKIP_2) | instid1(VALU_DEP_2)
	v_sub_nc_u32_e32 v12, v14, v9
	s_wait_alu 0xfffd
	v_sub_co_ci_u32_e64 v9, null, v14, v9, vcc_lo
	v_subrev_co_ci_u32_e64 v8, null, s37, v12, vcc_lo
	v_add_co_u32 v12, s2, v10, 2
	s_wait_alu 0xf1ff
	v_add_co_ci_u32_e64 v13, null, 0, v11, s2
	v_sub_co_u32 v15, s2, v5, s36
	s_wait_alu 0xf1ff
	v_subrev_co_ci_u32_e64 v8, null, 0, v8, s2
	s_delay_alu instid0(VALU_DEP_2) | instskip(SKIP_2) | instid1(VALU_DEP_3)
	v_cmp_le_u32_e32 vcc_lo, s36, v15
	s_wait_alu 0xfffd
	v_cndmask_b32_e64 v14, 0, -1, vcc_lo
	v_cmp_le_u32_e32 vcc_lo, s37, v8
	s_wait_alu 0xfffd
	v_cndmask_b32_e64 v15, 0, -1, vcc_lo
	;; [unrolled: 3-line block ×4, first 2 shown]
	v_cmp_eq_u32_e32 vcc_lo, s37, v8
	s_wait_alu 0xfffd
	v_cndmask_b32_e32 v8, v15, v14, vcc_lo
	v_add_co_u32 v14, vcc_lo, v10, 1
	s_wait_alu 0xfffd
	v_add_co_ci_u32_e64 v15, null, 0, v11, vcc_lo
	v_cmp_eq_u32_e32 vcc_lo, s37, v9
	s_wait_alu 0xfffd
	v_cndmask_b32_e32 v5, v16, v5, vcc_lo
	v_cmp_ne_u32_e32 vcc_lo, 0, v8
	s_delay_alu instid0(VALU_DEP_2) | instskip(SKIP_3) | instid1(VALU_DEP_1)
	v_cmp_ne_u32_e64 s2, 0, v5
	s_wait_alu 0xfffd
	v_dual_cndmask_b32 v8, v15, v13 :: v_dual_cndmask_b32 v5, v14, v12
	s_wait_alu 0xf1ff
	v_cndmask_b32_e64 v8, v11, v8, s2
	s_delay_alu instid0(VALU_DEP_2) | instskip(NEXT) | instid1(VALU_DEP_2)
	v_cndmask_b32_e64 v5, v10, v5, s2
	v_xor_b32_e32 v8, v8, v3
	s_delay_alu instid0(VALU_DEP_2) | instskip(NEXT) | instid1(VALU_DEP_1)
	v_xor_b32_e32 v5, v5, v3
	v_sub_co_u32 v9, vcc_lo, v5, v3
	s_wait_alu 0xfffd
	s_delay_alu instid0(VALU_DEP_3)
	v_sub_co_ci_u32_e64 v10, null, v8, v3, vcc_lo
.LBB32_24:                              ;   in Loop: Header=BB32_22 Depth=2
	s_wait_alu 0xfffe
	s_and_not1_saveexec_b32 s2, s25
	s_cbranch_execz .LBB32_26
; %bb.25:                               ;   in Loop: Header=BB32_22 Depth=2
	v_cvt_f32_u32_e32 v3, s28
	s_sub_co_i32 s18, 0, s28
	v_mov_b32_e32 v10, v2
	s_delay_alu instid0(VALU_DEP_2) | instskip(NEXT) | instid1(TRANS32_DEP_1)
	v_rcp_iflag_f32_e32 v3, v3
	v_mul_f32_e32 v3, 0x4f7ffffe, v3
	s_delay_alu instid0(VALU_DEP_1) | instskip(SKIP_1) | instid1(VALU_DEP_1)
	v_cvt_u32_f32_e32 v3, v3
	s_wait_alu 0xfffe
	v_mul_lo_u32 v5, s18, v3
	s_delay_alu instid0(VALU_DEP_1) | instskip(NEXT) | instid1(VALU_DEP_1)
	v_mul_hi_u32 v5, v3, v5
	v_add_nc_u32_e32 v3, v3, v5
	s_delay_alu instid0(VALU_DEP_1) | instskip(NEXT) | instid1(VALU_DEP_1)
	v_mul_hi_u32 v3, v7, v3
	v_mul_lo_u32 v5, v3, s28
	s_delay_alu instid0(VALU_DEP_1) | instskip(NEXT) | instid1(VALU_DEP_1)
	v_sub_nc_u32_e32 v5, v7, v5
	v_subrev_nc_u32_e32 v9, s28, v5
	v_cmp_le_u32_e32 vcc_lo, s28, v5
	s_wait_alu 0xfffd
	s_delay_alu instid0(VALU_DEP_2) | instskip(NEXT) | instid1(VALU_DEP_1)
	v_dual_cndmask_b32 v5, v5, v9 :: v_dual_add_nc_u32 v8, 1, v3
	v_cndmask_b32_e32 v3, v3, v8, vcc_lo
	s_delay_alu instid0(VALU_DEP_2) | instskip(NEXT) | instid1(VALU_DEP_2)
	v_cmp_le_u32_e32 vcc_lo, s28, v5
	v_add_nc_u32_e32 v8, 1, v3
	s_wait_alu 0xfffd
	s_delay_alu instid0(VALU_DEP_1)
	v_cndmask_b32_e32 v9, v3, v8, vcc_lo
.LBB32_26:                              ;   in Loop: Header=BB32_22 Depth=2
	s_wait_alu 0xfffe
	s_or_b32 exec_lo, exec_lo, s2
	s_add_co_i32 s18, s26, 6
	s_add_nc_u64 s[34:35], s[0:1], s[34:35]
	s_wait_alu 0xfffe
	s_lshl_b64 s[36:37], s[18:19], 2
                                        ; implicit-def: $vgpr11_vgpr12
	s_mov_b32 s2, exec_lo
	s_wait_alu 0xfffe
	s_add_nc_u64 s[30:31], s[10:11], s[36:37]
	s_clause 0x1
	s_load_b32 s25, s[34:35], 0x6c
	s_load_b32 s30, s[30:31], 0x8
	s_wait_kmcnt 0x0
	s_ashr_i32 s31, s30, 31
	s_wait_alu 0xfffe
	v_or_b32_e32 v3, s31, v10
	s_delay_alu instid0(VALU_DEP_1)
	v_cmpx_ne_u64_e32 0, v[2:3]
	s_xor_b32 s27, exec_lo, s2
	s_cbranch_execz .LBB32_28
; %bb.27:                               ;   in Loop: Header=BB32_22 Depth=2
	s_ashr_i32 s34, s31, 31
	v_ashrrev_i32_e32 v3, 31, v10
	s_wait_alu 0xfffe
	s_mov_b32 s35, s34
	s_wait_alu 0xfffe
	s_add_nc_u64 s[38:39], s[30:31], s[34:35]
	v_add_co_u32 v5, vcc_lo, v9, v3
	s_wait_alu 0xfffe
	s_xor_b64 s[38:39], s[38:39], s[34:35]
	s_wait_alu 0xfffd
	v_add_co_ci_u32_e64 v8, null, v10, v3, vcc_lo
	s_wait_alu 0xfffe
	s_cvt_f32_u32 s2, s38
	s_cvt_f32_u32 s18, s39
	s_sub_nc_u64 s[42:43], 0, s[38:39]
	v_xor_b32_e32 v5, v5, v3
	v_xor_b32_e32 v8, v8, v3
	s_wait_alu 0xfffe
	s_fmamk_f32 s2, s18, 0x4f800000, s2
	v_xor_b32_e32 v3, s34, v3
	s_wait_alu 0xfffe
	s_delay_alu instid0(SALU_CYCLE_1) | instskip(NEXT) | instid1(TRANS32_DEP_1)
	v_s_rcp_f32 s2, s2
	s_mul_f32 s2, s2, 0x5f7ffffc
	s_wait_alu 0xfffe
	s_delay_alu instid0(SALU_CYCLE_2) | instskip(SKIP_1) | instid1(SALU_CYCLE_2)
	s_mul_f32 s18, s2, 0x2f800000
	s_wait_alu 0xfffe
	s_trunc_f32 s18, s18
	s_wait_alu 0xfffe
	s_delay_alu instid0(SALU_CYCLE_2) | instskip(SKIP_2) | instid1(SALU_CYCLE_1)
	s_fmamk_f32 s2, s18, 0xcf800000, s2
	s_cvt_u32_f32 s41, s18
	s_wait_alu 0xfffe
	s_cvt_u32_f32 s40, s2
	s_wait_alu 0xfffe
	s_delay_alu instid0(SALU_CYCLE_2)
	s_mul_u64 s[44:45], s[42:43], s[40:41]
	s_wait_alu 0xfffe
	s_mul_hi_u32 s47, s40, s45
	s_mul_i32 s46, s40, s45
	s_mul_hi_u32 s18, s40, s44
	s_mul_i32 s29, s41, s44
	s_wait_alu 0xfffe
	s_add_nc_u64 s[46:47], s[18:19], s[46:47]
	s_mul_hi_u32 s2, s41, s44
	s_mul_hi_u32 s31, s41, s45
	s_wait_alu 0xfffe
	s_add_co_u32 s18, s46, s29
	s_add_co_ci_u32 s18, s47, s2
	s_mul_i32 s44, s41, s45
	s_add_co_ci_u32 s45, s31, 0
	s_wait_alu 0xfffe
	s_add_nc_u64 s[44:45], s[18:19], s[44:45]
	s_wait_alu 0xfffe
	s_add_co_u32 s40, s40, s44
	s_cselect_b32 s2, -1, 0
	s_wait_alu 0xfffe
	s_cmp_lg_u32 s2, 0
	s_add_co_ci_u32 s41, s41, s45
	s_wait_alu 0xfffe
	s_mul_u64 s[42:43], s[42:43], s[40:41]
	s_wait_alu 0xfffe
	s_mul_hi_u32 s45, s40, s43
	s_mul_i32 s44, s40, s43
	s_mul_hi_u32 s18, s40, s42
	s_mul_i32 s29, s41, s42
	s_wait_alu 0xfffe
	s_add_nc_u64 s[44:45], s[18:19], s[44:45]
	s_mul_hi_u32 s2, s41, s42
	s_mul_hi_u32 s31, s41, s43
	s_wait_alu 0xfffe
	s_add_co_u32 s18, s44, s29
	s_add_co_ci_u32 s18, s45, s2
	s_mul_i32 s42, s41, s43
	s_add_co_ci_u32 s43, s31, 0
	s_wait_alu 0xfffe
	s_add_nc_u64 s[42:43], s[18:19], s[42:43]
	s_wait_alu 0xfffe
	s_add_co_u32 s2, s40, s42
	s_cselect_b32 s18, -1, 0
	s_wait_alu 0xfffe
	v_mul_hi_u32 v16, v5, s2
	s_cmp_lg_u32 s18, 0
	v_mad_co_u64_u32 v[12:13], null, v8, s2, 0
	s_add_co_ci_u32 s18, s41, s43
	s_wait_alu 0xfffe
	v_mad_co_u64_u32 v[10:11], null, v5, s18, 0
	v_mad_co_u64_u32 v[14:15], null, v8, s18, 0
	s_delay_alu instid0(VALU_DEP_2) | instskip(SKIP_1) | instid1(VALU_DEP_3)
	v_add_co_u32 v10, vcc_lo, v16, v10
	s_wait_alu 0xfffd
	v_add_co_ci_u32_e64 v11, null, 0, v11, vcc_lo
	s_delay_alu instid0(VALU_DEP_2) | instskip(SKIP_1) | instid1(VALU_DEP_2)
	v_add_co_u32 v10, vcc_lo, v10, v12
	s_wait_alu 0xfffd
	v_add_co_ci_u32_e32 v10, vcc_lo, v11, v13, vcc_lo
	s_wait_alu 0xfffd
	v_add_co_ci_u32_e32 v11, vcc_lo, 0, v15, vcc_lo
	s_delay_alu instid0(VALU_DEP_2) | instskip(SKIP_1) | instid1(VALU_DEP_2)
	v_add_co_u32 v12, vcc_lo, v10, v14
	s_wait_alu 0xfffd
	v_add_co_ci_u32_e64 v13, null, 0, v11, vcc_lo
	s_delay_alu instid0(VALU_DEP_2) | instskip(SKIP_1) | instid1(VALU_DEP_3)
	v_mul_lo_u32 v14, s39, v12
	v_mad_co_u64_u32 v[10:11], null, s38, v12, 0
	v_mul_lo_u32 v15, s38, v13
	s_delay_alu instid0(VALU_DEP_2) | instskip(NEXT) | instid1(VALU_DEP_2)
	v_sub_co_u32 v5, vcc_lo, v5, v10
	v_add3_u32 v11, v11, v15, v14
	s_delay_alu instid0(VALU_DEP_1) | instskip(SKIP_2) | instid1(VALU_DEP_2)
	v_sub_nc_u32_e32 v14, v8, v11
	s_wait_alu 0xfffd
	v_sub_co_ci_u32_e64 v8, null, v8, v11, vcc_lo
	v_subrev_co_ci_u32_e64 v10, null, s39, v14, vcc_lo
	v_add_co_u32 v14, s2, v12, 2
	s_wait_alu 0xf1ff
	v_add_co_ci_u32_e64 v15, null, 0, v13, s2
	v_sub_co_u32 v16, s2, v5, s38
	s_wait_alu 0xf1ff
	v_subrev_co_ci_u32_e64 v10, null, 0, v10, s2
	s_delay_alu instid0(VALU_DEP_2) | instskip(SKIP_2) | instid1(VALU_DEP_3)
	v_cmp_le_u32_e32 vcc_lo, s38, v16
	s_wait_alu 0xfffd
	v_cndmask_b32_e64 v11, 0, -1, vcc_lo
	v_cmp_le_u32_e32 vcc_lo, s39, v10
	s_wait_alu 0xfffd
	v_cndmask_b32_e64 v16, 0, -1, vcc_lo
	;; [unrolled: 3-line block ×4, first 2 shown]
	v_cmp_eq_u32_e32 vcc_lo, s39, v10
	s_wait_alu 0xfffd
	v_cndmask_b32_e32 v10, v16, v11, vcc_lo
	v_add_co_u32 v11, vcc_lo, v12, 1
	s_wait_alu 0xfffd
	v_add_co_ci_u32_e64 v16, null, 0, v13, vcc_lo
	v_cmp_eq_u32_e32 vcc_lo, s39, v8
	s_wait_alu 0xfffd
	v_cndmask_b32_e32 v5, v17, v5, vcc_lo
	v_cmp_ne_u32_e32 vcc_lo, 0, v10
	s_delay_alu instid0(VALU_DEP_2) | instskip(SKIP_3) | instid1(VALU_DEP_1)
	v_cmp_ne_u32_e64 s2, 0, v5
	s_wait_alu 0xfffd
	v_dual_cndmask_b32 v8, v16, v15 :: v_dual_cndmask_b32 v5, v11, v14
	s_wait_alu 0xf1ff
	v_cndmask_b32_e64 v8, v13, v8, s2
	s_delay_alu instid0(VALU_DEP_2) | instskip(NEXT) | instid1(VALU_DEP_2)
	v_cndmask_b32_e64 v5, v12, v5, s2
	v_xor_b32_e32 v8, v8, v3
	s_delay_alu instid0(VALU_DEP_2) | instskip(NEXT) | instid1(VALU_DEP_1)
	v_xor_b32_e32 v5, v5, v3
	v_sub_co_u32 v11, vcc_lo, v5, v3
	s_wait_alu 0xfffd
	s_delay_alu instid0(VALU_DEP_3)
	v_sub_co_ci_u32_e64 v12, null, v8, v3, vcc_lo
.LBB32_28:                              ;   in Loop: Header=BB32_22 Depth=2
	s_wait_alu 0xfffe
	s_and_not1_saveexec_b32 s2, s27
	s_cbranch_execz .LBB32_30
; %bb.29:                               ;   in Loop: Header=BB32_22 Depth=2
	v_cvt_f32_u32_e32 v3, s30
	s_sub_co_i32 s18, 0, s30
	v_mov_b32_e32 v12, v2
	s_delay_alu instid0(VALU_DEP_2) | instskip(NEXT) | instid1(TRANS32_DEP_1)
	v_rcp_iflag_f32_e32 v3, v3
	v_mul_f32_e32 v3, 0x4f7ffffe, v3
	s_delay_alu instid0(VALU_DEP_1) | instskip(SKIP_1) | instid1(VALU_DEP_1)
	v_cvt_u32_f32_e32 v3, v3
	s_wait_alu 0xfffe
	v_mul_lo_u32 v5, s18, v3
	s_delay_alu instid0(VALU_DEP_1) | instskip(NEXT) | instid1(VALU_DEP_1)
	v_mul_hi_u32 v5, v3, v5
	v_add_nc_u32_e32 v3, v3, v5
	s_delay_alu instid0(VALU_DEP_1) | instskip(NEXT) | instid1(VALU_DEP_1)
	v_mul_hi_u32 v3, v9, v3
	v_mul_lo_u32 v5, v3, s30
	s_delay_alu instid0(VALU_DEP_1) | instskip(NEXT) | instid1(VALU_DEP_1)
	v_sub_nc_u32_e32 v5, v9, v5
	v_subrev_nc_u32_e32 v10, s30, v5
	v_cmp_le_u32_e32 vcc_lo, s30, v5
	s_wait_alu 0xfffd
	s_delay_alu instid0(VALU_DEP_2) | instskip(NEXT) | instid1(VALU_DEP_1)
	v_dual_cndmask_b32 v5, v5, v10 :: v_dual_add_nc_u32 v8, 1, v3
	v_cndmask_b32_e32 v3, v3, v8, vcc_lo
	s_delay_alu instid0(VALU_DEP_2) | instskip(NEXT) | instid1(VALU_DEP_2)
	v_cmp_le_u32_e32 vcc_lo, s30, v5
	v_add_nc_u32_e32 v8, 1, v3
	s_wait_alu 0xfffd
	s_delay_alu instid0(VALU_DEP_1)
	v_cndmask_b32_e32 v11, v3, v8, vcc_lo
.LBB32_30:                              ;   in Loop: Header=BB32_22 Depth=2
	s_wait_alu 0xfffe
	s_or_b32 exec_lo, exec_lo, s2
	s_add_co_i32 s18, s26, 5
	s_add_nc_u64 s[36:37], s[0:1], s[36:37]
	s_wait_alu 0xfffe
	s_lshl_b64 s[38:39], s[18:19], 2
                                        ; implicit-def: $vgpr13_vgpr14
	s_mov_b32 s2, exec_lo
	s_wait_alu 0xfffe
	s_add_nc_u64 s[34:35], s[10:11], s[38:39]
	s_clause 0x1
	s_load_b32 s29, s[36:37], 0x6c
	s_load_b32 s34, s[34:35], 0x8
	s_wait_kmcnt 0x0
	s_ashr_i32 s35, s34, 31
	s_wait_alu 0xfffe
	v_or_b32_e32 v3, s35, v12
	s_delay_alu instid0(VALU_DEP_1)
	v_cmpx_ne_u64_e32 0, v[2:3]
	s_xor_b32 s27, exec_lo, s2
	s_cbranch_execz .LBB32_32
; %bb.31:                               ;   in Loop: Header=BB32_22 Depth=2
	s_ashr_i32 s36, s35, 31
	v_ashrrev_i32_e32 v3, 31, v12
	s_wait_alu 0xfffe
	s_mov_b32 s37, s36
	s_wait_alu 0xfffe
	s_add_nc_u64 s[40:41], s[34:35], s[36:37]
	v_add_co_u32 v5, vcc_lo, v11, v3
	s_wait_alu 0xfffe
	s_xor_b64 s[40:41], s[40:41], s[36:37]
	s_wait_alu 0xfffd
	v_add_co_ci_u32_e64 v8, null, v12, v3, vcc_lo
	s_wait_alu 0xfffe
	s_cvt_f32_u32 s2, s40
	s_cvt_f32_u32 s18, s41
	s_sub_nc_u64 s[44:45], 0, s[40:41]
	v_xor_b32_e32 v5, v5, v3
	v_xor_b32_e32 v8, v8, v3
	s_wait_alu 0xfffe
	s_fmamk_f32 s2, s18, 0x4f800000, s2
	v_xor_b32_e32 v3, s36, v3
	s_wait_alu 0xfffe
	s_delay_alu instid0(SALU_CYCLE_1) | instskip(NEXT) | instid1(TRANS32_DEP_1)
	v_s_rcp_f32 s2, s2
	s_mul_f32 s2, s2, 0x5f7ffffc
	s_wait_alu 0xfffe
	s_delay_alu instid0(SALU_CYCLE_2) | instskip(SKIP_1) | instid1(SALU_CYCLE_2)
	s_mul_f32 s18, s2, 0x2f800000
	s_wait_alu 0xfffe
	s_trunc_f32 s18, s18
	s_wait_alu 0xfffe
	s_delay_alu instid0(SALU_CYCLE_2) | instskip(SKIP_2) | instid1(SALU_CYCLE_1)
	s_fmamk_f32 s2, s18, 0xcf800000, s2
	s_cvt_u32_f32 s43, s18
	s_wait_alu 0xfffe
	s_cvt_u32_f32 s42, s2
	s_wait_alu 0xfffe
	s_delay_alu instid0(SALU_CYCLE_2)
	s_mul_u64 s[46:47], s[44:45], s[42:43]
	s_wait_alu 0xfffe
	s_mul_hi_u32 s49, s42, s47
	s_mul_i32 s48, s42, s47
	s_mul_hi_u32 s18, s42, s46
	s_mul_i32 s31, s43, s46
	s_wait_alu 0xfffe
	s_add_nc_u64 s[48:49], s[18:19], s[48:49]
	s_mul_hi_u32 s2, s43, s46
	s_mul_hi_u32 s35, s43, s47
	s_wait_alu 0xfffe
	s_add_co_u32 s18, s48, s31
	s_add_co_ci_u32 s18, s49, s2
	s_mul_i32 s46, s43, s47
	s_add_co_ci_u32 s47, s35, 0
	s_wait_alu 0xfffe
	s_add_nc_u64 s[46:47], s[18:19], s[46:47]
	s_wait_alu 0xfffe
	s_add_co_u32 s42, s42, s46
	s_cselect_b32 s2, -1, 0
	s_wait_alu 0xfffe
	s_cmp_lg_u32 s2, 0
	s_add_co_ci_u32 s43, s43, s47
	s_wait_alu 0xfffe
	s_mul_u64 s[44:45], s[44:45], s[42:43]
	s_wait_alu 0xfffe
	s_mul_hi_u32 s47, s42, s45
	s_mul_i32 s46, s42, s45
	s_mul_hi_u32 s18, s42, s44
	s_mul_i32 s31, s43, s44
	s_wait_alu 0xfffe
	s_add_nc_u64 s[46:47], s[18:19], s[46:47]
	s_mul_hi_u32 s2, s43, s44
	s_mul_hi_u32 s35, s43, s45
	s_wait_alu 0xfffe
	s_add_co_u32 s18, s46, s31
	s_add_co_ci_u32 s18, s47, s2
	s_mul_i32 s44, s43, s45
	s_add_co_ci_u32 s45, s35, 0
	s_wait_alu 0xfffe
	s_add_nc_u64 s[44:45], s[18:19], s[44:45]
	s_wait_alu 0xfffe
	s_add_co_u32 s2, s42, s44
	s_cselect_b32 s18, -1, 0
	s_wait_alu 0xfffe
	v_mul_hi_u32 v10, v5, s2
	s_cmp_lg_u32 s18, 0
	v_mad_co_u64_u32 v[14:15], null, v8, s2, 0
	s_add_co_ci_u32 s18, s43, s45
	s_wait_alu 0xfffe
	v_mad_co_u64_u32 v[12:13], null, v5, s18, 0
	v_mad_co_u64_u32 v[16:17], null, v8, s18, 0
	s_delay_alu instid0(VALU_DEP_2) | instskip(SKIP_1) | instid1(VALU_DEP_3)
	v_add_co_u32 v10, vcc_lo, v10, v12
	s_wait_alu 0xfffd
	v_add_co_ci_u32_e64 v12, null, 0, v13, vcc_lo
	s_delay_alu instid0(VALU_DEP_2) | instskip(SKIP_1) | instid1(VALU_DEP_2)
	v_add_co_u32 v10, vcc_lo, v10, v14
	s_wait_alu 0xfffd
	v_add_co_ci_u32_e32 v10, vcc_lo, v12, v15, vcc_lo
	s_wait_alu 0xfffd
	v_add_co_ci_u32_e32 v12, vcc_lo, 0, v17, vcc_lo
	s_delay_alu instid0(VALU_DEP_2) | instskip(SKIP_1) | instid1(VALU_DEP_2)
	v_add_co_u32 v10, vcc_lo, v10, v16
	s_wait_alu 0xfffd
	v_add_co_ci_u32_e64 v14, null, 0, v12, vcc_lo
	s_delay_alu instid0(VALU_DEP_2) | instskip(SKIP_1) | instid1(VALU_DEP_3)
	v_mul_lo_u32 v15, s41, v10
	v_mad_co_u64_u32 v[12:13], null, s40, v10, 0
	v_mul_lo_u32 v16, s40, v14
	s_delay_alu instid0(VALU_DEP_2) | instskip(NEXT) | instid1(VALU_DEP_2)
	v_sub_co_u32 v5, vcc_lo, v5, v12
	v_add3_u32 v13, v13, v16, v15
	s_delay_alu instid0(VALU_DEP_1) | instskip(SKIP_2) | instid1(VALU_DEP_2)
	v_sub_nc_u32_e32 v15, v8, v13
	s_wait_alu 0xfffd
	v_sub_co_ci_u32_e64 v8, null, v8, v13, vcc_lo
	v_subrev_co_ci_u32_e64 v12, null, s41, v15, vcc_lo
	v_add_co_u32 v15, s2, v10, 2
	s_wait_alu 0xf1ff
	v_add_co_ci_u32_e64 v16, null, 0, v14, s2
	v_sub_co_u32 v17, s2, v5, s40
	s_wait_alu 0xf1ff
	v_subrev_co_ci_u32_e64 v12, null, 0, v12, s2
	s_delay_alu instid0(VALU_DEP_2) | instskip(SKIP_2) | instid1(VALU_DEP_3)
	v_cmp_le_u32_e32 vcc_lo, s40, v17
	s_wait_alu 0xfffd
	v_cndmask_b32_e64 v13, 0, -1, vcc_lo
	v_cmp_le_u32_e32 vcc_lo, s41, v12
	s_wait_alu 0xfffd
	v_cndmask_b32_e64 v17, 0, -1, vcc_lo
	;; [unrolled: 3-line block ×4, first 2 shown]
	v_cmp_eq_u32_e32 vcc_lo, s41, v12
	s_wait_alu 0xfffd
	v_cndmask_b32_e32 v12, v17, v13, vcc_lo
	v_add_co_u32 v13, vcc_lo, v10, 1
	s_wait_alu 0xfffd
	v_add_co_ci_u32_e64 v17, null, 0, v14, vcc_lo
	v_cmp_eq_u32_e32 vcc_lo, s41, v8
	s_wait_alu 0xfffd
	v_cndmask_b32_e32 v5, v18, v5, vcc_lo
	v_cmp_ne_u32_e32 vcc_lo, 0, v12
	s_wait_alu 0xfffd
	v_cndmask_b32_e32 v8, v17, v16, vcc_lo
	s_delay_alu instid0(VALU_DEP_3) | instskip(SKIP_2) | instid1(VALU_DEP_2)
	v_cmp_ne_u32_e64 s2, 0, v5
	v_cndmask_b32_e32 v5, v13, v15, vcc_lo
	s_wait_alu 0xf1ff
	v_cndmask_b32_e64 v8, v14, v8, s2
	s_delay_alu instid0(VALU_DEP_2) | instskip(NEXT) | instid1(VALU_DEP_2)
	v_cndmask_b32_e64 v5, v10, v5, s2
	v_xor_b32_e32 v8, v8, v3
	s_delay_alu instid0(VALU_DEP_2) | instskip(NEXT) | instid1(VALU_DEP_1)
	v_xor_b32_e32 v5, v5, v3
	v_sub_co_u32 v13, vcc_lo, v5, v3
	s_wait_alu 0xfffd
	s_delay_alu instid0(VALU_DEP_3)
	v_sub_co_ci_u32_e64 v14, null, v8, v3, vcc_lo
.LBB32_32:                              ;   in Loop: Header=BB32_22 Depth=2
	s_wait_alu 0xfffe
	s_and_not1_saveexec_b32 s2, s27
	s_cbranch_execz .LBB32_34
; %bb.33:                               ;   in Loop: Header=BB32_22 Depth=2
	v_cvt_f32_u32_e32 v3, s34
	s_sub_co_i32 s18, 0, s34
	v_mov_b32_e32 v14, v2
	s_delay_alu instid0(VALU_DEP_2) | instskip(NEXT) | instid1(TRANS32_DEP_1)
	v_rcp_iflag_f32_e32 v3, v3
	v_mul_f32_e32 v3, 0x4f7ffffe, v3
	s_delay_alu instid0(VALU_DEP_1) | instskip(SKIP_1) | instid1(VALU_DEP_1)
	v_cvt_u32_f32_e32 v3, v3
	s_wait_alu 0xfffe
	v_mul_lo_u32 v5, s18, v3
	s_delay_alu instid0(VALU_DEP_1) | instskip(NEXT) | instid1(VALU_DEP_1)
	v_mul_hi_u32 v5, v3, v5
	v_add_nc_u32_e32 v3, v3, v5
	s_delay_alu instid0(VALU_DEP_1) | instskip(NEXT) | instid1(VALU_DEP_1)
	v_mul_hi_u32 v3, v11, v3
	v_mul_lo_u32 v5, v3, s34
	s_delay_alu instid0(VALU_DEP_1) | instskip(NEXT) | instid1(VALU_DEP_1)
	v_sub_nc_u32_e32 v5, v11, v5
	v_subrev_nc_u32_e32 v10, s34, v5
	v_cmp_le_u32_e32 vcc_lo, s34, v5
	s_wait_alu 0xfffd
	s_delay_alu instid0(VALU_DEP_2) | instskip(NEXT) | instid1(VALU_DEP_1)
	v_dual_cndmask_b32 v5, v5, v10 :: v_dual_add_nc_u32 v8, 1, v3
	v_cndmask_b32_e32 v3, v3, v8, vcc_lo
	s_delay_alu instid0(VALU_DEP_2) | instskip(NEXT) | instid1(VALU_DEP_2)
	v_cmp_le_u32_e32 vcc_lo, s34, v5
	v_add_nc_u32_e32 v8, 1, v3
	s_wait_alu 0xfffd
	s_delay_alu instid0(VALU_DEP_1)
	v_cndmask_b32_e32 v13, v3, v8, vcc_lo
.LBB32_34:                              ;   in Loop: Header=BB32_22 Depth=2
	s_wait_alu 0xfffe
	s_or_b32 exec_lo, exec_lo, s2
	s_add_co_i32 s18, s26, 4
	s_add_nc_u64 s[38:39], s[0:1], s[38:39]
	s_wait_alu 0xfffe
	s_lshl_b64 s[40:41], s[18:19], 2
                                        ; implicit-def: $vgpr15_vgpr16
	s_mov_b32 s2, exec_lo
	s_wait_alu 0xfffe
	s_add_nc_u64 s[36:37], s[10:11], s[40:41]
	s_clause 0x1
	s_load_b32 s31, s[38:39], 0x6c
	s_load_b32 s36, s[36:37], 0x8
	s_wait_kmcnt 0x0
	s_ashr_i32 s37, s36, 31
	s_wait_alu 0xfffe
	v_or_b32_e32 v3, s37, v14
	s_delay_alu instid0(VALU_DEP_1)
	v_cmpx_ne_u64_e32 0, v[2:3]
	s_xor_b32 s27, exec_lo, s2
	s_cbranch_execz .LBB32_36
; %bb.35:                               ;   in Loop: Header=BB32_22 Depth=2
	s_ashr_i32 s38, s37, 31
	v_ashrrev_i32_e32 v3, 31, v14
	s_wait_alu 0xfffe
	s_mov_b32 s39, s38
	s_wait_alu 0xfffe
	s_add_nc_u64 s[42:43], s[36:37], s[38:39]
	v_add_co_u32 v5, vcc_lo, v13, v3
	s_wait_alu 0xfffe
	s_xor_b64 s[42:43], s[42:43], s[38:39]
	s_wait_alu 0xfffd
	v_add_co_ci_u32_e64 v8, null, v14, v3, vcc_lo
	s_wait_alu 0xfffe
	s_cvt_f32_u32 s2, s42
	s_cvt_f32_u32 s18, s43
	s_sub_nc_u64 s[46:47], 0, s[42:43]
	v_xor_b32_e32 v5, v5, v3
	v_xor_b32_e32 v8, v8, v3
	s_wait_alu 0xfffe
	s_fmamk_f32 s2, s18, 0x4f800000, s2
	v_xor_b32_e32 v3, s38, v3
	s_wait_alu 0xfffe
	s_delay_alu instid0(SALU_CYCLE_1) | instskip(NEXT) | instid1(TRANS32_DEP_1)
	v_s_rcp_f32 s2, s2
	s_mul_f32 s2, s2, 0x5f7ffffc
	s_wait_alu 0xfffe
	s_delay_alu instid0(SALU_CYCLE_2) | instskip(SKIP_1) | instid1(SALU_CYCLE_2)
	s_mul_f32 s18, s2, 0x2f800000
	s_wait_alu 0xfffe
	s_trunc_f32 s18, s18
	s_wait_alu 0xfffe
	s_delay_alu instid0(SALU_CYCLE_2) | instskip(SKIP_2) | instid1(SALU_CYCLE_1)
	s_fmamk_f32 s2, s18, 0xcf800000, s2
	s_cvt_u32_f32 s45, s18
	s_wait_alu 0xfffe
	s_cvt_u32_f32 s44, s2
	s_wait_alu 0xfffe
	s_delay_alu instid0(SALU_CYCLE_2)
	s_mul_u64 s[48:49], s[46:47], s[44:45]
	s_wait_alu 0xfffe
	s_mul_hi_u32 s51, s44, s49
	s_mul_i32 s50, s44, s49
	s_mul_hi_u32 s18, s44, s48
	s_mul_i32 s35, s45, s48
	s_wait_alu 0xfffe
	s_add_nc_u64 s[50:51], s[18:19], s[50:51]
	s_mul_hi_u32 s2, s45, s48
	s_mul_hi_u32 s37, s45, s49
	s_wait_alu 0xfffe
	s_add_co_u32 s18, s50, s35
	s_add_co_ci_u32 s18, s51, s2
	s_mul_i32 s48, s45, s49
	s_add_co_ci_u32 s49, s37, 0
	s_wait_alu 0xfffe
	s_add_nc_u64 s[48:49], s[18:19], s[48:49]
	s_wait_alu 0xfffe
	s_add_co_u32 s44, s44, s48
	s_cselect_b32 s2, -1, 0
	s_wait_alu 0xfffe
	s_cmp_lg_u32 s2, 0
	s_add_co_ci_u32 s45, s45, s49
	s_wait_alu 0xfffe
	s_mul_u64 s[46:47], s[46:47], s[44:45]
	s_wait_alu 0xfffe
	s_mul_hi_u32 s49, s44, s47
	s_mul_i32 s48, s44, s47
	s_mul_hi_u32 s18, s44, s46
	s_mul_i32 s35, s45, s46
	s_wait_alu 0xfffe
	s_add_nc_u64 s[48:49], s[18:19], s[48:49]
	s_mul_hi_u32 s2, s45, s46
	s_mul_hi_u32 s37, s45, s47
	s_wait_alu 0xfffe
	s_add_co_u32 s18, s48, s35
	s_add_co_ci_u32 s18, s49, s2
	s_mul_i32 s46, s45, s47
	s_add_co_ci_u32 s47, s37, 0
	s_wait_alu 0xfffe
	s_add_nc_u64 s[46:47], s[18:19], s[46:47]
	s_wait_alu 0xfffe
	s_add_co_u32 s2, s44, s46
	s_cselect_b32 s18, -1, 0
	s_wait_alu 0xfffe
	v_mul_hi_u32 v10, v5, s2
	s_cmp_lg_u32 s18, 0
	v_mad_co_u64_u32 v[16:17], null, v8, s2, 0
	s_add_co_ci_u32 s18, s45, s47
	s_wait_alu 0xfffe
	v_mad_co_u64_u32 v[14:15], null, v5, s18, 0
	v_mad_co_u64_u32 v[18:19], null, v8, s18, 0
	s_delay_alu instid0(VALU_DEP_2) | instskip(SKIP_1) | instid1(VALU_DEP_3)
	v_add_co_u32 v10, vcc_lo, v10, v14
	s_wait_alu 0xfffd
	v_add_co_ci_u32_e64 v12, null, 0, v15, vcc_lo
	s_delay_alu instid0(VALU_DEP_2) | instskip(SKIP_1) | instid1(VALU_DEP_2)
	v_add_co_u32 v10, vcc_lo, v10, v16
	s_wait_alu 0xfffd
	v_add_co_ci_u32_e32 v10, vcc_lo, v12, v17, vcc_lo
	s_wait_alu 0xfffd
	v_add_co_ci_u32_e32 v12, vcc_lo, 0, v19, vcc_lo
	s_delay_alu instid0(VALU_DEP_2) | instskip(SKIP_1) | instid1(VALU_DEP_2)
	v_add_co_u32 v10, vcc_lo, v10, v18
	s_wait_alu 0xfffd
	v_add_co_ci_u32_e64 v12, null, 0, v12, vcc_lo
	s_delay_alu instid0(VALU_DEP_2) | instskip(SKIP_1) | instid1(VALU_DEP_3)
	v_mul_lo_u32 v16, s43, v10
	v_mad_co_u64_u32 v[14:15], null, s42, v10, 0
	v_mul_lo_u32 v17, s42, v12
	s_delay_alu instid0(VALU_DEP_2) | instskip(NEXT) | instid1(VALU_DEP_2)
	v_sub_co_u32 v5, vcc_lo, v5, v14
	v_add3_u32 v15, v15, v17, v16
	s_delay_alu instid0(VALU_DEP_1) | instskip(SKIP_2) | instid1(VALU_DEP_2)
	v_sub_nc_u32_e32 v16, v8, v15
	s_wait_alu 0xfffd
	v_sub_co_ci_u32_e64 v8, null, v8, v15, vcc_lo
	v_subrev_co_ci_u32_e64 v14, null, s43, v16, vcc_lo
	v_add_co_u32 v16, s2, v10, 2
	s_wait_alu 0xf1ff
	v_add_co_ci_u32_e64 v17, null, 0, v12, s2
	v_sub_co_u32 v18, s2, v5, s42
	s_wait_alu 0xf1ff
	v_subrev_co_ci_u32_e64 v14, null, 0, v14, s2
	s_delay_alu instid0(VALU_DEP_2) | instskip(SKIP_2) | instid1(VALU_DEP_3)
	v_cmp_le_u32_e32 vcc_lo, s42, v18
	s_wait_alu 0xfffd
	v_cndmask_b32_e64 v15, 0, -1, vcc_lo
	v_cmp_le_u32_e32 vcc_lo, s43, v14
	s_wait_alu 0xfffd
	v_cndmask_b32_e64 v18, 0, -1, vcc_lo
	;; [unrolled: 3-line block ×4, first 2 shown]
	v_cmp_eq_u32_e32 vcc_lo, s43, v14
	s_wait_alu 0xfffd
	v_cndmask_b32_e32 v14, v18, v15, vcc_lo
	v_add_co_u32 v15, vcc_lo, v10, 1
	s_wait_alu 0xfffd
	v_add_co_ci_u32_e64 v18, null, 0, v12, vcc_lo
	v_cmp_eq_u32_e32 vcc_lo, s43, v8
	s_wait_alu 0xfffd
	v_cndmask_b32_e32 v5, v19, v5, vcc_lo
	v_cmp_ne_u32_e32 vcc_lo, 0, v14
	s_delay_alu instid0(VALU_DEP_2) | instskip(SKIP_3) | instid1(VALU_DEP_1)
	v_cmp_ne_u32_e64 s2, 0, v5
	s_wait_alu 0xfffd
	v_dual_cndmask_b32 v8, v18, v17 :: v_dual_cndmask_b32 v5, v15, v16
	s_wait_alu 0xf1ff
	v_cndmask_b32_e64 v8, v12, v8, s2
	s_delay_alu instid0(VALU_DEP_2) | instskip(NEXT) | instid1(VALU_DEP_2)
	v_cndmask_b32_e64 v5, v10, v5, s2
	v_xor_b32_e32 v8, v8, v3
	s_delay_alu instid0(VALU_DEP_2) | instskip(NEXT) | instid1(VALU_DEP_1)
	v_xor_b32_e32 v5, v5, v3
	v_sub_co_u32 v15, vcc_lo, v5, v3
	s_wait_alu 0xfffd
	s_delay_alu instid0(VALU_DEP_3)
	v_sub_co_ci_u32_e64 v16, null, v8, v3, vcc_lo
.LBB32_36:                              ;   in Loop: Header=BB32_22 Depth=2
	s_wait_alu 0xfffe
	s_and_not1_saveexec_b32 s2, s27
	s_cbranch_execz .LBB32_38
; %bb.37:                               ;   in Loop: Header=BB32_22 Depth=2
	v_cvt_f32_u32_e32 v3, s36
	s_sub_co_i32 s18, 0, s36
	v_mov_b32_e32 v16, v2
	s_delay_alu instid0(VALU_DEP_2) | instskip(NEXT) | instid1(TRANS32_DEP_1)
	v_rcp_iflag_f32_e32 v3, v3
	v_mul_f32_e32 v3, 0x4f7ffffe, v3
	s_delay_alu instid0(VALU_DEP_1) | instskip(SKIP_1) | instid1(VALU_DEP_1)
	v_cvt_u32_f32_e32 v3, v3
	s_wait_alu 0xfffe
	v_mul_lo_u32 v5, s18, v3
	s_delay_alu instid0(VALU_DEP_1) | instskip(NEXT) | instid1(VALU_DEP_1)
	v_mul_hi_u32 v5, v3, v5
	v_add_nc_u32_e32 v3, v3, v5
	s_delay_alu instid0(VALU_DEP_1) | instskip(NEXT) | instid1(VALU_DEP_1)
	v_mul_hi_u32 v3, v13, v3
	v_mul_lo_u32 v5, v3, s36
	s_delay_alu instid0(VALU_DEP_1) | instskip(NEXT) | instid1(VALU_DEP_1)
	v_sub_nc_u32_e32 v5, v13, v5
	v_subrev_nc_u32_e32 v10, s36, v5
	v_cmp_le_u32_e32 vcc_lo, s36, v5
	s_wait_alu 0xfffd
	s_delay_alu instid0(VALU_DEP_2) | instskip(NEXT) | instid1(VALU_DEP_1)
	v_dual_cndmask_b32 v5, v5, v10 :: v_dual_add_nc_u32 v8, 1, v3
	v_cndmask_b32_e32 v3, v3, v8, vcc_lo
	s_delay_alu instid0(VALU_DEP_2) | instskip(NEXT) | instid1(VALU_DEP_2)
	v_cmp_le_u32_e32 vcc_lo, s36, v5
	v_add_nc_u32_e32 v8, 1, v3
	s_wait_alu 0xfffd
	s_delay_alu instid0(VALU_DEP_1)
	v_cndmask_b32_e32 v15, v3, v8, vcc_lo
.LBB32_38:                              ;   in Loop: Header=BB32_22 Depth=2
	s_wait_alu 0xfffe
	s_or_b32 exec_lo, exec_lo, s2
	s_add_co_i32 s18, s26, 3
	s_add_nc_u64 s[40:41], s[0:1], s[40:41]
	s_wait_alu 0xfffe
	s_lshl_b64 s[42:43], s[18:19], 2
                                        ; implicit-def: $vgpr17_vgpr18
	s_mov_b32 s2, exec_lo
	s_wait_alu 0xfffe
	s_add_nc_u64 s[38:39], s[10:11], s[42:43]
	s_clause 0x1
	s_load_b32 s35, s[40:41], 0x6c
	s_load_b32 s38, s[38:39], 0x8
	s_wait_kmcnt 0x0
	s_ashr_i32 s39, s38, 31
	s_wait_alu 0xfffe
	v_or_b32_e32 v3, s39, v16
	s_delay_alu instid0(VALU_DEP_1)
	v_cmpx_ne_u64_e32 0, v[2:3]
	s_xor_b32 s27, exec_lo, s2
	s_cbranch_execz .LBB32_40
; %bb.39:                               ;   in Loop: Header=BB32_22 Depth=2
	s_ashr_i32 s40, s39, 31
	v_ashrrev_i32_e32 v3, 31, v16
	s_wait_alu 0xfffe
	s_mov_b32 s41, s40
	s_wait_alu 0xfffe
	s_add_nc_u64 s[44:45], s[38:39], s[40:41]
	v_add_co_u32 v5, vcc_lo, v15, v3
	s_wait_alu 0xfffe
	s_xor_b64 s[44:45], s[44:45], s[40:41]
	s_wait_alu 0xfffd
	v_add_co_ci_u32_e64 v8, null, v16, v3, vcc_lo
	s_wait_alu 0xfffe
	s_cvt_f32_u32 s2, s44
	s_cvt_f32_u32 s18, s45
	s_sub_nc_u64 s[48:49], 0, s[44:45]
	v_xor_b32_e32 v5, v5, v3
	v_xor_b32_e32 v8, v8, v3
	s_wait_alu 0xfffe
	s_fmamk_f32 s2, s18, 0x4f800000, s2
	v_xor_b32_e32 v3, s40, v3
	s_wait_alu 0xfffe
	s_delay_alu instid0(SALU_CYCLE_1) | instskip(NEXT) | instid1(TRANS32_DEP_1)
	v_s_rcp_f32 s2, s2
	s_mul_f32 s2, s2, 0x5f7ffffc
	s_wait_alu 0xfffe
	s_delay_alu instid0(SALU_CYCLE_2) | instskip(SKIP_1) | instid1(SALU_CYCLE_2)
	s_mul_f32 s18, s2, 0x2f800000
	s_wait_alu 0xfffe
	s_trunc_f32 s18, s18
	s_wait_alu 0xfffe
	s_delay_alu instid0(SALU_CYCLE_2) | instskip(SKIP_2) | instid1(SALU_CYCLE_1)
	s_fmamk_f32 s2, s18, 0xcf800000, s2
	s_cvt_u32_f32 s47, s18
	s_wait_alu 0xfffe
	s_cvt_u32_f32 s46, s2
	s_wait_alu 0xfffe
	s_delay_alu instid0(SALU_CYCLE_2)
	s_mul_u64 s[50:51], s[48:49], s[46:47]
	s_wait_alu 0xfffe
	s_mul_hi_u32 s59, s46, s51
	s_mul_i32 s58, s46, s51
	s_mul_hi_u32 s18, s46, s50
	s_mul_i32 s37, s47, s50
	s_wait_alu 0xfffe
	s_add_nc_u64 s[58:59], s[18:19], s[58:59]
	s_mul_hi_u32 s2, s47, s50
	s_mul_hi_u32 s39, s47, s51
	s_add_co_u32 s18, s58, s37
	s_wait_alu 0xfffe
	s_add_co_ci_u32 s18, s59, s2
	s_mul_i32 s50, s47, s51
	s_add_co_ci_u32 s51, s39, 0
	s_wait_alu 0xfffe
	s_add_nc_u64 s[50:51], s[18:19], s[50:51]
	s_wait_alu 0xfffe
	s_add_co_u32 s46, s46, s50
	s_cselect_b32 s2, -1, 0
	s_wait_alu 0xfffe
	s_cmp_lg_u32 s2, 0
	s_add_co_ci_u32 s47, s47, s51
	s_wait_alu 0xfffe
	s_mul_u64 s[48:49], s[48:49], s[46:47]
	s_wait_alu 0xfffe
	s_mul_hi_u32 s51, s46, s49
	s_mul_i32 s50, s46, s49
	s_mul_hi_u32 s18, s46, s48
	s_mul_i32 s37, s47, s48
	s_wait_alu 0xfffe
	s_add_nc_u64 s[50:51], s[18:19], s[50:51]
	s_mul_hi_u32 s2, s47, s48
	s_mul_hi_u32 s39, s47, s49
	s_wait_alu 0xfffe
	s_add_co_u32 s18, s50, s37
	s_add_co_ci_u32 s18, s51, s2
	s_mul_i32 s48, s47, s49
	s_add_co_ci_u32 s49, s39, 0
	s_wait_alu 0xfffe
	s_add_nc_u64 s[48:49], s[18:19], s[48:49]
	s_wait_alu 0xfffe
	s_add_co_u32 s2, s46, s48
	s_cselect_b32 s18, -1, 0
	s_wait_alu 0xfffe
	v_mul_hi_u32 v10, v5, s2
	s_cmp_lg_u32 s18, 0
	v_mad_co_u64_u32 v[18:19], null, v8, s2, 0
	s_add_co_ci_u32 s18, s47, s49
	s_wait_alu 0xfffe
	v_mad_co_u64_u32 v[16:17], null, v5, s18, 0
	v_mad_co_u64_u32 v[20:21], null, v8, s18, 0
	s_delay_alu instid0(VALU_DEP_2) | instskip(SKIP_1) | instid1(VALU_DEP_3)
	v_add_co_u32 v10, vcc_lo, v10, v16
	s_wait_alu 0xfffd
	v_add_co_ci_u32_e64 v12, null, 0, v17, vcc_lo
	s_delay_alu instid0(VALU_DEP_2) | instskip(SKIP_1) | instid1(VALU_DEP_2)
	v_add_co_u32 v10, vcc_lo, v10, v18
	s_wait_alu 0xfffd
	v_add_co_ci_u32_e32 v10, vcc_lo, v12, v19, vcc_lo
	s_wait_alu 0xfffd
	v_add_co_ci_u32_e32 v12, vcc_lo, 0, v21, vcc_lo
	s_delay_alu instid0(VALU_DEP_2) | instskip(SKIP_1) | instid1(VALU_DEP_2)
	v_add_co_u32 v10, vcc_lo, v10, v20
	s_wait_alu 0xfffd
	v_add_co_ci_u32_e64 v12, null, 0, v12, vcc_lo
	s_delay_alu instid0(VALU_DEP_2) | instskip(SKIP_1) | instid1(VALU_DEP_3)
	v_mul_lo_u32 v14, s45, v10
	v_mad_co_u64_u32 v[16:17], null, s44, v10, 0
	v_mul_lo_u32 v18, s44, v12
	s_delay_alu instid0(VALU_DEP_2) | instskip(NEXT) | instid1(VALU_DEP_2)
	v_sub_co_u32 v5, vcc_lo, v5, v16
	v_add3_u32 v14, v17, v18, v14
	s_delay_alu instid0(VALU_DEP_1) | instskip(SKIP_2) | instid1(VALU_DEP_2)
	v_sub_nc_u32_e32 v17, v8, v14
	s_wait_alu 0xfffd
	v_sub_co_ci_u32_e64 v8, null, v8, v14, vcc_lo
	v_subrev_co_ci_u32_e64 v16, null, s45, v17, vcc_lo
	v_add_co_u32 v17, s2, v10, 2
	s_wait_alu 0xf1ff
	v_add_co_ci_u32_e64 v18, null, 0, v12, s2
	v_sub_co_u32 v19, s2, v5, s44
	s_wait_alu 0xf1ff
	v_subrev_co_ci_u32_e64 v16, null, 0, v16, s2
	s_delay_alu instid0(VALU_DEP_2) | instskip(SKIP_2) | instid1(VALU_DEP_3)
	v_cmp_le_u32_e32 vcc_lo, s44, v19
	s_wait_alu 0xfffd
	v_cndmask_b32_e64 v14, 0, -1, vcc_lo
	v_cmp_le_u32_e32 vcc_lo, s45, v16
	s_wait_alu 0xfffd
	v_cndmask_b32_e64 v19, 0, -1, vcc_lo
	;; [unrolled: 3-line block ×4, first 2 shown]
	v_cmp_eq_u32_e32 vcc_lo, s45, v16
	s_wait_alu 0xfffd
	v_cndmask_b32_e32 v14, v19, v14, vcc_lo
	v_add_co_u32 v16, vcc_lo, v10, 1
	s_wait_alu 0xfffd
	v_add_co_ci_u32_e64 v19, null, 0, v12, vcc_lo
	v_cmp_eq_u32_e32 vcc_lo, s45, v8
	s_wait_alu 0xfffd
	v_cndmask_b32_e32 v5, v20, v5, vcc_lo
	v_cmp_ne_u32_e32 vcc_lo, 0, v14
	s_delay_alu instid0(VALU_DEP_2) | instskip(SKIP_3) | instid1(VALU_DEP_1)
	v_cmp_ne_u32_e64 s2, 0, v5
	s_wait_alu 0xfffd
	v_dual_cndmask_b32 v8, v19, v18 :: v_dual_cndmask_b32 v5, v16, v17
	s_wait_alu 0xf1ff
	v_cndmask_b32_e64 v8, v12, v8, s2
	s_delay_alu instid0(VALU_DEP_2) | instskip(NEXT) | instid1(VALU_DEP_2)
	v_cndmask_b32_e64 v5, v10, v5, s2
	v_xor_b32_e32 v8, v8, v3
	s_delay_alu instid0(VALU_DEP_2) | instskip(NEXT) | instid1(VALU_DEP_1)
	v_xor_b32_e32 v5, v5, v3
	v_sub_co_u32 v17, vcc_lo, v5, v3
	s_wait_alu 0xfffd
	s_delay_alu instid0(VALU_DEP_3)
	v_sub_co_ci_u32_e64 v18, null, v8, v3, vcc_lo
.LBB32_40:                              ;   in Loop: Header=BB32_22 Depth=2
	s_wait_alu 0xfffe
	s_and_not1_saveexec_b32 s2, s27
	s_cbranch_execz .LBB32_42
; %bb.41:                               ;   in Loop: Header=BB32_22 Depth=2
	v_cvt_f32_u32_e32 v3, s38
	s_sub_co_i32 s18, 0, s38
	v_mov_b32_e32 v18, v2
	s_delay_alu instid0(VALU_DEP_2) | instskip(NEXT) | instid1(TRANS32_DEP_1)
	v_rcp_iflag_f32_e32 v3, v3
	v_mul_f32_e32 v3, 0x4f7ffffe, v3
	s_delay_alu instid0(VALU_DEP_1) | instskip(SKIP_1) | instid1(VALU_DEP_1)
	v_cvt_u32_f32_e32 v3, v3
	s_wait_alu 0xfffe
	v_mul_lo_u32 v5, s18, v3
	s_delay_alu instid0(VALU_DEP_1) | instskip(NEXT) | instid1(VALU_DEP_1)
	v_mul_hi_u32 v5, v3, v5
	v_add_nc_u32_e32 v3, v3, v5
	s_delay_alu instid0(VALU_DEP_1) | instskip(NEXT) | instid1(VALU_DEP_1)
	v_mul_hi_u32 v3, v15, v3
	v_mul_lo_u32 v5, v3, s38
	s_delay_alu instid0(VALU_DEP_1) | instskip(NEXT) | instid1(VALU_DEP_1)
	v_sub_nc_u32_e32 v5, v15, v5
	v_subrev_nc_u32_e32 v10, s38, v5
	v_cmp_le_u32_e32 vcc_lo, s38, v5
	s_wait_alu 0xfffd
	s_delay_alu instid0(VALU_DEP_2) | instskip(NEXT) | instid1(VALU_DEP_1)
	v_dual_cndmask_b32 v5, v5, v10 :: v_dual_add_nc_u32 v8, 1, v3
	v_cndmask_b32_e32 v3, v3, v8, vcc_lo
	s_delay_alu instid0(VALU_DEP_2) | instskip(NEXT) | instid1(VALU_DEP_2)
	v_cmp_le_u32_e32 vcc_lo, s38, v5
	v_add_nc_u32_e32 v8, 1, v3
	s_wait_alu 0xfffd
	s_delay_alu instid0(VALU_DEP_1)
	v_cndmask_b32_e32 v17, v3, v8, vcc_lo
.LBB32_42:                              ;   in Loop: Header=BB32_22 Depth=2
	s_wait_alu 0xfffe
	s_or_b32 exec_lo, exec_lo, s2
	s_add_co_i32 s18, s26, 2
	s_add_nc_u64 s[42:43], s[0:1], s[42:43]
	s_wait_alu 0xfffe
	s_lshl_b64 s[44:45], s[18:19], 2
                                        ; implicit-def: $vgpr19_vgpr20
	s_mov_b32 s2, exec_lo
	s_wait_alu 0xfffe
	s_add_nc_u64 s[40:41], s[10:11], s[44:45]
	s_clause 0x1
	s_load_b32 s37, s[42:43], 0x6c
	s_load_b32 s40, s[40:41], 0x8
	s_wait_kmcnt 0x0
	s_ashr_i32 s41, s40, 31
	s_wait_alu 0xfffe
	v_or_b32_e32 v3, s41, v18
	s_delay_alu instid0(VALU_DEP_1)
	v_cmpx_ne_u64_e32 0, v[2:3]
	s_xor_b32 s27, exec_lo, s2
	s_cbranch_execz .LBB32_44
; %bb.43:                               ;   in Loop: Header=BB32_22 Depth=2
	s_ashr_i32 s42, s41, 31
	v_ashrrev_i32_e32 v3, 31, v18
	s_wait_alu 0xfffe
	s_mov_b32 s43, s42
	s_wait_alu 0xfffe
	s_add_nc_u64 s[46:47], s[40:41], s[42:43]
	v_add_co_u32 v5, vcc_lo, v17, v3
	s_wait_alu 0xfffe
	s_xor_b64 s[46:47], s[46:47], s[42:43]
	s_wait_alu 0xfffd
	v_add_co_ci_u32_e64 v8, null, v18, v3, vcc_lo
	s_wait_alu 0xfffe
	s_cvt_f32_u32 s2, s46
	s_cvt_f32_u32 s18, s47
	s_sub_nc_u64 s[50:51], 0, s[46:47]
	v_xor_b32_e32 v5, v5, v3
	v_xor_b32_e32 v8, v8, v3
	s_wait_alu 0xfffe
	s_fmamk_f32 s2, s18, 0x4f800000, s2
	v_xor_b32_e32 v3, s42, v3
	s_wait_alu 0xfffe
	s_delay_alu instid0(SALU_CYCLE_1) | instskip(NEXT) | instid1(TRANS32_DEP_1)
	v_s_rcp_f32 s2, s2
	s_mul_f32 s2, s2, 0x5f7ffffc
	s_wait_alu 0xfffe
	s_delay_alu instid0(SALU_CYCLE_2) | instskip(SKIP_1) | instid1(SALU_CYCLE_2)
	s_mul_f32 s18, s2, 0x2f800000
	s_wait_alu 0xfffe
	s_trunc_f32 s18, s18
	s_wait_alu 0xfffe
	s_delay_alu instid0(SALU_CYCLE_2) | instskip(SKIP_2) | instid1(SALU_CYCLE_1)
	s_fmamk_f32 s2, s18, 0xcf800000, s2
	s_cvt_u32_f32 s49, s18
	s_wait_alu 0xfffe
	s_cvt_u32_f32 s48, s2
	s_wait_alu 0xfffe
	s_delay_alu instid0(SALU_CYCLE_2) | instskip(NEXT) | instid1(SALU_CYCLE_1)
	s_mul_u64 s[58:59], s[50:51], s[48:49]
	s_mul_hi_u32 s61, s48, s59
	s_mul_i32 s60, s48, s59
	s_mul_hi_u32 s18, s48, s58
	s_mul_i32 s39, s49, s58
	s_wait_alu 0xfffe
	s_add_nc_u64 s[60:61], s[18:19], s[60:61]
	s_mul_hi_u32 s2, s49, s58
	s_mul_hi_u32 s41, s49, s59
	s_add_co_u32 s18, s60, s39
	s_wait_alu 0xfffe
	s_add_co_ci_u32 s18, s61, s2
	s_mul_i32 s58, s49, s59
	s_add_co_ci_u32 s59, s41, 0
	s_wait_alu 0xfffe
	s_add_nc_u64 s[58:59], s[18:19], s[58:59]
	s_delay_alu instid0(SALU_CYCLE_1)
	s_add_co_u32 s48, s48, s58
	s_cselect_b32 s2, -1, 0
	s_wait_alu 0xfffe
	s_cmp_lg_u32 s2, 0
	s_add_co_ci_u32 s49, s49, s59
	s_wait_alu 0xfffe
	s_mul_u64 s[50:51], s[50:51], s[48:49]
	s_wait_alu 0xfffe
	s_mul_hi_u32 s59, s48, s51
	s_mul_i32 s58, s48, s51
	s_mul_hi_u32 s18, s48, s50
	s_mul_i32 s39, s49, s50
	s_wait_alu 0xfffe
	s_add_nc_u64 s[58:59], s[18:19], s[58:59]
	s_mul_hi_u32 s2, s49, s50
	s_mul_hi_u32 s41, s49, s51
	s_add_co_u32 s18, s58, s39
	s_wait_alu 0xfffe
	s_add_co_ci_u32 s18, s59, s2
	s_mul_i32 s50, s49, s51
	s_add_co_ci_u32 s51, s41, 0
	s_wait_alu 0xfffe
	s_add_nc_u64 s[50:51], s[18:19], s[50:51]
	s_wait_alu 0xfffe
	s_add_co_u32 s2, s48, s50
	s_cselect_b32 s18, -1, 0
	s_wait_alu 0xfffe
	v_mul_hi_u32 v10, v5, s2
	s_cmp_lg_u32 s18, 0
	v_mad_co_u64_u32 v[20:21], null, v8, s2, 0
	s_add_co_ci_u32 s18, s49, s51
	s_wait_alu 0xfffe
	v_mad_co_u64_u32 v[18:19], null, v5, s18, 0
	v_mad_co_u64_u32 v[22:23], null, v8, s18, 0
	s_delay_alu instid0(VALU_DEP_2) | instskip(SKIP_1) | instid1(VALU_DEP_3)
	v_add_co_u32 v10, vcc_lo, v10, v18
	s_wait_alu 0xfffd
	v_add_co_ci_u32_e64 v12, null, 0, v19, vcc_lo
	s_delay_alu instid0(VALU_DEP_2) | instskip(SKIP_1) | instid1(VALU_DEP_2)
	v_add_co_u32 v10, vcc_lo, v10, v20
	s_wait_alu 0xfffd
	v_add_co_ci_u32_e32 v10, vcc_lo, v12, v21, vcc_lo
	s_wait_alu 0xfffd
	v_add_co_ci_u32_e32 v12, vcc_lo, 0, v23, vcc_lo
	s_delay_alu instid0(VALU_DEP_2) | instskip(SKIP_1) | instid1(VALU_DEP_2)
	v_add_co_u32 v10, vcc_lo, v10, v22
	s_wait_alu 0xfffd
	v_add_co_ci_u32_e64 v12, null, 0, v12, vcc_lo
	s_delay_alu instid0(VALU_DEP_2) | instskip(SKIP_1) | instid1(VALU_DEP_3)
	v_mul_lo_u32 v14, s47, v10
	v_mad_co_u64_u32 v[18:19], null, s46, v10, 0
	v_mul_lo_u32 v16, s46, v12
	s_delay_alu instid0(VALU_DEP_2) | instskip(NEXT) | instid1(VALU_DEP_2)
	v_sub_co_u32 v5, vcc_lo, v5, v18
	v_add3_u32 v14, v19, v16, v14
	v_add_co_u32 v18, s2, v10, 2
	s_wait_alu 0xf1ff
	v_add_co_ci_u32_e64 v19, null, 0, v12, s2
	s_delay_alu instid0(VALU_DEP_3) | instskip(SKIP_3) | instid1(VALU_DEP_3)
	v_sub_nc_u32_e32 v16, v8, v14
	v_sub_co_u32 v20, s2, v5, s46
	s_wait_alu 0xfffd
	v_sub_co_ci_u32_e64 v8, null, v8, v14, vcc_lo
	v_subrev_co_ci_u32_e64 v16, null, s47, v16, vcc_lo
	s_delay_alu instid0(VALU_DEP_3) | instskip(SKIP_1) | instid1(VALU_DEP_2)
	v_cmp_le_u32_e32 vcc_lo, s46, v20
	s_wait_alu 0xf1ff
	v_subrev_co_ci_u32_e64 v16, null, 0, v16, s2
	s_wait_alu 0xfffd
	v_cndmask_b32_e64 v14, 0, -1, vcc_lo
	s_delay_alu instid0(VALU_DEP_2)
	v_cmp_le_u32_e32 vcc_lo, s47, v16
	s_wait_alu 0xfffd
	v_cndmask_b32_e64 v20, 0, -1, vcc_lo
	v_cmp_le_u32_e32 vcc_lo, s46, v5
	s_wait_alu 0xfffd
	v_cndmask_b32_e64 v5, 0, -1, vcc_lo
	;; [unrolled: 3-line block ×3, first 2 shown]
	v_cmp_eq_u32_e32 vcc_lo, s47, v16
	s_wait_alu 0xfffd
	v_cndmask_b32_e32 v14, v20, v14, vcc_lo
	v_add_co_u32 v16, vcc_lo, v10, 1
	s_wait_alu 0xfffd
	v_add_co_ci_u32_e64 v20, null, 0, v12, vcc_lo
	v_cmp_eq_u32_e32 vcc_lo, s47, v8
	s_wait_alu 0xfffd
	v_cndmask_b32_e32 v5, v21, v5, vcc_lo
	v_cmp_ne_u32_e32 vcc_lo, 0, v14
	s_delay_alu instid0(VALU_DEP_2) | instskip(SKIP_4) | instid1(VALU_DEP_2)
	v_cmp_ne_u32_e64 s2, 0, v5
	s_wait_alu 0xfffd
	v_cndmask_b32_e32 v5, v16, v18, vcc_lo
	v_cndmask_b32_e32 v8, v20, v19, vcc_lo
	s_wait_alu 0xf1ff
	v_cndmask_b32_e64 v5, v10, v5, s2
	s_delay_alu instid0(VALU_DEP_2) | instskip(NEXT) | instid1(VALU_DEP_2)
	v_cndmask_b32_e64 v8, v12, v8, s2
	v_xor_b32_e32 v5, v5, v3
	s_delay_alu instid0(VALU_DEP_2) | instskip(NEXT) | instid1(VALU_DEP_2)
	v_xor_b32_e32 v8, v8, v3
	v_sub_co_u32 v19, vcc_lo, v5, v3
	s_wait_alu 0xfffd
	s_delay_alu instid0(VALU_DEP_2)
	v_sub_co_ci_u32_e64 v20, null, v8, v3, vcc_lo
.LBB32_44:                              ;   in Loop: Header=BB32_22 Depth=2
	s_wait_alu 0xfffe
	s_and_not1_saveexec_b32 s2, s27
	s_cbranch_execz .LBB32_46
; %bb.45:                               ;   in Loop: Header=BB32_22 Depth=2
	v_cvt_f32_u32_e32 v3, s40
	s_sub_co_i32 s18, 0, s40
	v_mov_b32_e32 v20, v2
	s_delay_alu instid0(VALU_DEP_2) | instskip(NEXT) | instid1(TRANS32_DEP_1)
	v_rcp_iflag_f32_e32 v3, v3
	v_mul_f32_e32 v3, 0x4f7ffffe, v3
	s_delay_alu instid0(VALU_DEP_1) | instskip(SKIP_1) | instid1(VALU_DEP_1)
	v_cvt_u32_f32_e32 v3, v3
	s_wait_alu 0xfffe
	v_mul_lo_u32 v5, s18, v3
	s_delay_alu instid0(VALU_DEP_1) | instskip(NEXT) | instid1(VALU_DEP_1)
	v_mul_hi_u32 v5, v3, v5
	v_add_nc_u32_e32 v3, v3, v5
	s_delay_alu instid0(VALU_DEP_1) | instskip(NEXT) | instid1(VALU_DEP_1)
	v_mul_hi_u32 v3, v17, v3
	v_mul_lo_u32 v5, v3, s40
	s_delay_alu instid0(VALU_DEP_1) | instskip(NEXT) | instid1(VALU_DEP_1)
	v_sub_nc_u32_e32 v5, v17, v5
	v_subrev_nc_u32_e32 v10, s40, v5
	v_cmp_le_u32_e32 vcc_lo, s40, v5
	s_wait_alu 0xfffd
	s_delay_alu instid0(VALU_DEP_2) | instskip(NEXT) | instid1(VALU_DEP_1)
	v_dual_cndmask_b32 v5, v5, v10 :: v_dual_add_nc_u32 v8, 1, v3
	v_cndmask_b32_e32 v3, v3, v8, vcc_lo
	s_delay_alu instid0(VALU_DEP_2) | instskip(NEXT) | instid1(VALU_DEP_2)
	v_cmp_le_u32_e32 vcc_lo, s40, v5
	v_add_nc_u32_e32 v8, 1, v3
	s_wait_alu 0xfffd
	s_delay_alu instid0(VALU_DEP_1)
	v_cndmask_b32_e32 v19, v3, v8, vcc_lo
.LBB32_46:                              ;   in Loop: Header=BB32_22 Depth=2
	s_wait_alu 0xfffe
	s_or_b32 exec_lo, exec_lo, s2
	s_add_co_i32 s18, s26, 1
	s_add_nc_u64 s[44:45], s[0:1], s[44:45]
	s_wait_alu 0xfffe
	s_lshl_b64 s[48:49], s[18:19], 2
                                        ; implicit-def: $vgpr21_vgpr22
	s_mov_b32 s2, exec_lo
	s_wait_alu 0xfffe
	s_add_nc_u64 s[42:43], s[10:11], s[48:49]
	s_clause 0x1
	s_load_b32 s39, s[44:45], 0x6c
	s_load_b32 s42, s[42:43], 0x8
	s_wait_kmcnt 0x0
	s_ashr_i32 s43, s42, 31
	s_wait_alu 0xfffe
	v_or_b32_e32 v3, s43, v20
	s_delay_alu instid0(VALU_DEP_1)
	v_cmpx_ne_u64_e32 0, v[2:3]
	s_xor_b32 s27, exec_lo, s2
	s_cbranch_execz .LBB32_48
; %bb.47:                               ;   in Loop: Header=BB32_22 Depth=2
	s_ashr_i32 s44, s43, 31
	v_ashrrev_i32_e32 v3, 31, v20
	s_wait_alu 0xfffe
	s_mov_b32 s45, s44
	s_wait_alu 0xfffe
	s_add_nc_u64 s[46:47], s[42:43], s[44:45]
	v_add_co_u32 v5, vcc_lo, v19, v3
	s_wait_alu 0xfffe
	s_xor_b64 s[46:47], s[46:47], s[44:45]
	s_wait_alu 0xfffd
	v_add_co_ci_u32_e64 v8, null, v20, v3, vcc_lo
	s_wait_alu 0xfffe
	s_cvt_f32_u32 s2, s46
	s_cvt_f32_u32 s18, s47
	s_sub_nc_u64 s[58:59], 0, s[46:47]
	v_xor_b32_e32 v5, v5, v3
	v_xor_b32_e32 v8, v8, v3
	s_wait_alu 0xfffe
	s_fmamk_f32 s2, s18, 0x4f800000, s2
	v_xor_b32_e32 v3, s44, v3
	s_wait_alu 0xfffe
	s_delay_alu instid0(SALU_CYCLE_1) | instskip(NEXT) | instid1(TRANS32_DEP_1)
	v_s_rcp_f32 s2, s2
	s_mul_f32 s2, s2, 0x5f7ffffc
	s_wait_alu 0xfffe
	s_delay_alu instid0(SALU_CYCLE_2) | instskip(SKIP_1) | instid1(SALU_CYCLE_2)
	s_mul_f32 s18, s2, 0x2f800000
	s_wait_alu 0xfffe
	s_trunc_f32 s18, s18
	s_wait_alu 0xfffe
	s_delay_alu instid0(SALU_CYCLE_2) | instskip(SKIP_2) | instid1(SALU_CYCLE_1)
	s_fmamk_f32 s2, s18, 0xcf800000, s2
	s_cvt_u32_f32 s51, s18
	s_wait_alu 0xfffe
	s_cvt_u32_f32 s50, s2
	s_wait_alu 0xfffe
	s_delay_alu instid0(SALU_CYCLE_2) | instskip(NEXT) | instid1(SALU_CYCLE_1)
	s_mul_u64 s[60:61], s[58:59], s[50:51]
	s_mul_hi_u32 s63, s50, s61
	s_mul_i32 s62, s50, s61
	s_mul_hi_u32 s18, s50, s60
	s_mul_i32 s41, s51, s60
	s_wait_alu 0xfffe
	s_add_nc_u64 s[62:63], s[18:19], s[62:63]
	s_mul_hi_u32 s2, s51, s60
	s_mul_hi_u32 s43, s51, s61
	s_add_co_u32 s18, s62, s41
	s_wait_alu 0xfffe
	s_add_co_ci_u32 s18, s63, s2
	s_mul_i32 s60, s51, s61
	s_add_co_ci_u32 s61, s43, 0
	s_wait_alu 0xfffe
	s_add_nc_u64 s[60:61], s[18:19], s[60:61]
	s_delay_alu instid0(SALU_CYCLE_1)
	s_add_co_u32 s50, s50, s60
	s_cselect_b32 s2, -1, 0
	s_wait_alu 0xfffe
	s_cmp_lg_u32 s2, 0
	s_add_co_ci_u32 s51, s51, s61
	s_wait_alu 0xfffe
	s_mul_u64 s[58:59], s[58:59], s[50:51]
	s_delay_alu instid0(SALU_CYCLE_1)
	s_mul_hi_u32 s61, s50, s59
	s_mul_i32 s60, s50, s59
	s_mul_hi_u32 s18, s50, s58
	s_mul_i32 s41, s51, s58
	s_wait_alu 0xfffe
	s_add_nc_u64 s[60:61], s[18:19], s[60:61]
	s_mul_hi_u32 s2, s51, s58
	s_mul_hi_u32 s43, s51, s59
	s_add_co_u32 s18, s60, s41
	s_wait_alu 0xfffe
	s_add_co_ci_u32 s18, s61, s2
	s_mul_i32 s58, s51, s59
	s_add_co_ci_u32 s59, s43, 0
	s_wait_alu 0xfffe
	s_add_nc_u64 s[58:59], s[18:19], s[58:59]
	s_delay_alu instid0(SALU_CYCLE_1)
	s_add_co_u32 s2, s50, s58
	s_cselect_b32 s18, -1, 0
	s_wait_alu 0xfffe
	v_mul_hi_u32 v10, v5, s2
	s_cmp_lg_u32 s18, 0
	v_mad_co_u64_u32 v[22:23], null, v8, s2, 0
	s_add_co_ci_u32 s18, s51, s59
	s_wait_alu 0xfffe
	v_mad_co_u64_u32 v[20:21], null, v5, s18, 0
	v_mad_co_u64_u32 v[29:30], null, v8, s18, 0
	s_delay_alu instid0(VALU_DEP_2) | instskip(SKIP_1) | instid1(VALU_DEP_3)
	v_add_co_u32 v10, vcc_lo, v10, v20
	s_wait_alu 0xfffd
	v_add_co_ci_u32_e64 v12, null, 0, v21, vcc_lo
	s_delay_alu instid0(VALU_DEP_2) | instskip(SKIP_1) | instid1(VALU_DEP_2)
	v_add_co_u32 v10, vcc_lo, v10, v22
	s_wait_alu 0xfffd
	v_add_co_ci_u32_e32 v10, vcc_lo, v12, v23, vcc_lo
	s_wait_alu 0xfffd
	v_add_co_ci_u32_e32 v12, vcc_lo, 0, v30, vcc_lo
	s_delay_alu instid0(VALU_DEP_2) | instskip(SKIP_1) | instid1(VALU_DEP_2)
	v_add_co_u32 v10, vcc_lo, v10, v29
	s_wait_alu 0xfffd
	v_add_co_ci_u32_e64 v12, null, 0, v12, vcc_lo
	s_delay_alu instid0(VALU_DEP_2) | instskip(SKIP_1) | instid1(VALU_DEP_3)
	v_mul_lo_u32 v14, s47, v10
	v_mad_co_u64_u32 v[20:21], null, s46, v10, 0
	v_mul_lo_u32 v16, s46, v12
	v_add_co_u32 v18, s2, v10, 2
	s_delay_alu instid0(VALU_DEP_3) | instskip(NEXT) | instid1(VALU_DEP_3)
	v_sub_co_u32 v5, vcc_lo, v5, v20
	v_add3_u32 v14, v21, v16, v14
	s_wait_alu 0xf1ff
	v_add_co_ci_u32_e64 v20, null, 0, v12, s2
	s_delay_alu instid0(VALU_DEP_3) | instskip(NEXT) | instid1(VALU_DEP_3)
	v_sub_co_u32 v21, s2, v5, s46
	v_sub_nc_u32_e32 v16, v8, v14
	s_wait_alu 0xfffd
	v_sub_co_ci_u32_e64 v8, null, v8, v14, vcc_lo
	s_delay_alu instid0(VALU_DEP_2) | instskip(SKIP_2) | instid1(VALU_DEP_2)
	v_subrev_co_ci_u32_e64 v16, null, s47, v16, vcc_lo
	v_cmp_le_u32_e32 vcc_lo, s46, v21
	s_wait_alu 0xf1ff
	v_subrev_co_ci_u32_e64 v16, null, 0, v16, s2
	s_wait_alu 0xfffd
	v_cndmask_b32_e64 v14, 0, -1, vcc_lo
	s_delay_alu instid0(VALU_DEP_2)
	v_cmp_le_u32_e32 vcc_lo, s47, v16
	s_wait_alu 0xfffd
	v_cndmask_b32_e64 v21, 0, -1, vcc_lo
	v_cmp_le_u32_e32 vcc_lo, s46, v5
	s_wait_alu 0xfffd
	v_cndmask_b32_e64 v5, 0, -1, vcc_lo
	;; [unrolled: 3-line block ×3, first 2 shown]
	v_cmp_eq_u32_e32 vcc_lo, s47, v16
	s_wait_alu 0xfffd
	v_cndmask_b32_e32 v14, v21, v14, vcc_lo
	v_add_co_u32 v16, vcc_lo, v10, 1
	s_wait_alu 0xfffd
	v_add_co_ci_u32_e64 v21, null, 0, v12, vcc_lo
	v_cmp_eq_u32_e32 vcc_lo, s47, v8
	s_wait_alu 0xfffd
	v_cndmask_b32_e32 v5, v22, v5, vcc_lo
	v_cmp_ne_u32_e32 vcc_lo, 0, v14
	s_delay_alu instid0(VALU_DEP_2) | instskip(SKIP_3) | instid1(VALU_DEP_1)
	v_cmp_ne_u32_e64 s2, 0, v5
	s_wait_alu 0xfffd
	v_dual_cndmask_b32 v8, v21, v20 :: v_dual_cndmask_b32 v5, v16, v18
	s_wait_alu 0xf1ff
	v_cndmask_b32_e64 v8, v12, v8, s2
	s_delay_alu instid0(VALU_DEP_2) | instskip(NEXT) | instid1(VALU_DEP_2)
	v_cndmask_b32_e64 v5, v10, v5, s2
	v_xor_b32_e32 v8, v8, v3
	s_delay_alu instid0(VALU_DEP_2) | instskip(NEXT) | instid1(VALU_DEP_1)
	v_xor_b32_e32 v5, v5, v3
	v_sub_co_u32 v21, vcc_lo, v5, v3
	s_wait_alu 0xfffd
	s_delay_alu instid0(VALU_DEP_3)
	v_sub_co_ci_u32_e64 v22, null, v8, v3, vcc_lo
.LBB32_48:                              ;   in Loop: Header=BB32_22 Depth=2
	s_wait_alu 0xfffe
	s_and_not1_saveexec_b32 s2, s27
	s_cbranch_execz .LBB32_50
; %bb.49:                               ;   in Loop: Header=BB32_22 Depth=2
	v_cvt_f32_u32_e32 v3, s42
	s_sub_co_i32 s18, 0, s42
	v_mov_b32_e32 v22, v2
	s_delay_alu instid0(VALU_DEP_2) | instskip(NEXT) | instid1(TRANS32_DEP_1)
	v_rcp_iflag_f32_e32 v3, v3
	v_mul_f32_e32 v3, 0x4f7ffffe, v3
	s_delay_alu instid0(VALU_DEP_1) | instskip(SKIP_1) | instid1(VALU_DEP_1)
	v_cvt_u32_f32_e32 v3, v3
	s_wait_alu 0xfffe
	v_mul_lo_u32 v5, s18, v3
	s_delay_alu instid0(VALU_DEP_1) | instskip(NEXT) | instid1(VALU_DEP_1)
	v_mul_hi_u32 v5, v3, v5
	v_add_nc_u32_e32 v3, v3, v5
	s_delay_alu instid0(VALU_DEP_1) | instskip(NEXT) | instid1(VALU_DEP_1)
	v_mul_hi_u32 v3, v19, v3
	v_mul_lo_u32 v5, v3, s42
	s_delay_alu instid0(VALU_DEP_1) | instskip(NEXT) | instid1(VALU_DEP_1)
	v_sub_nc_u32_e32 v5, v19, v5
	v_subrev_nc_u32_e32 v10, s42, v5
	v_cmp_le_u32_e32 vcc_lo, s42, v5
	s_wait_alu 0xfffd
	s_delay_alu instid0(VALU_DEP_2) | instskip(NEXT) | instid1(VALU_DEP_1)
	v_dual_cndmask_b32 v5, v5, v10 :: v_dual_add_nc_u32 v8, 1, v3
	v_cndmask_b32_e32 v3, v3, v8, vcc_lo
	s_delay_alu instid0(VALU_DEP_2) | instskip(NEXT) | instid1(VALU_DEP_2)
	v_cmp_le_u32_e32 vcc_lo, s42, v5
	v_add_nc_u32_e32 v8, 1, v3
	s_wait_alu 0xfffd
	s_delay_alu instid0(VALU_DEP_1)
	v_cndmask_b32_e32 v21, v3, v8, vcc_lo
.LBB32_50:                              ;   in Loop: Header=BB32_22 Depth=2
	s_wait_alu 0xfffe
	s_or_b32 exec_lo, exec_lo, s2
	s_mov_b32 s27, s19
	s_add_nc_u64 s[48:49], s[0:1], s[48:49]
	s_wait_alu 0xfffe
	s_lshl_b64 s[46:47], s[26:27], 2
                                        ; implicit-def: $vgpr23_vgpr24
	s_mov_b32 s2, exec_lo
	s_wait_alu 0xfffe
	s_add_nc_u64 s[44:45], s[10:11], s[46:47]
	s_clause 0x1
	s_load_b32 s27, s[48:49], 0x6c
	s_load_b32 s44, s[44:45], 0x8
	s_wait_kmcnt 0x0
	s_ashr_i32 s45, s44, 31
	s_wait_alu 0xfffe
	v_or_b32_e32 v3, s45, v22
	s_delay_alu instid0(VALU_DEP_1)
	v_cmpx_ne_u64_e32 0, v[2:3]
	s_xor_b32 s41, exec_lo, s2
	s_cbranch_execz .LBB32_52
; %bb.51:                               ;   in Loop: Header=BB32_22 Depth=2
	s_ashr_i32 s48, s45, 31
	v_ashrrev_i32_e32 v3, 31, v22
	s_wait_alu 0xfffe
	s_mov_b32 s49, s48
	s_wait_alu 0xfffe
	s_add_nc_u64 s[50:51], s[44:45], s[48:49]
	v_add_co_u32 v5, vcc_lo, v21, v3
	s_wait_alu 0xfffe
	s_xor_b64 s[50:51], s[50:51], s[48:49]
	s_wait_alu 0xfffd
	v_add_co_ci_u32_e64 v8, null, v22, v3, vcc_lo
	s_wait_alu 0xfffe
	s_cvt_f32_u32 s2, s50
	s_cvt_f32_u32 s18, s51
	s_sub_nc_u64 s[60:61], 0, s[50:51]
	v_xor_b32_e32 v5, v5, v3
	v_xor_b32_e32 v8, v8, v3
	s_wait_alu 0xfffe
	s_fmamk_f32 s2, s18, 0x4f800000, s2
	v_xor_b32_e32 v3, s48, v3
	s_wait_alu 0xfffe
	s_delay_alu instid0(SALU_CYCLE_1) | instskip(NEXT) | instid1(TRANS32_DEP_1)
	v_s_rcp_f32 s2, s2
	s_mul_f32 s2, s2, 0x5f7ffffc
	s_wait_alu 0xfffe
	s_delay_alu instid0(SALU_CYCLE_2) | instskip(SKIP_1) | instid1(SALU_CYCLE_2)
	s_mul_f32 s18, s2, 0x2f800000
	s_wait_alu 0xfffe
	s_trunc_f32 s18, s18
	s_wait_alu 0xfffe
	s_delay_alu instid0(SALU_CYCLE_2) | instskip(SKIP_2) | instid1(SALU_CYCLE_1)
	s_fmamk_f32 s2, s18, 0xcf800000, s2
	s_cvt_u32_f32 s59, s18
	s_wait_alu 0xfffe
	s_cvt_u32_f32 s58, s2
	s_delay_alu instid0(SALU_CYCLE_3) | instskip(NEXT) | instid1(SALU_CYCLE_1)
	s_mul_u64 s[62:63], s[60:61], s[58:59]
	s_mul_hi_u32 s65, s58, s63
	s_mul_i32 s64, s58, s63
	s_mul_hi_u32 s18, s58, s62
	s_mul_i32 s43, s59, s62
	s_wait_alu 0xfffe
	s_add_nc_u64 s[64:65], s[18:19], s[64:65]
	s_mul_hi_u32 s2, s59, s62
	s_mul_hi_u32 s45, s59, s63
	s_add_co_u32 s18, s64, s43
	s_wait_alu 0xfffe
	s_add_co_ci_u32 s18, s65, s2
	s_mul_i32 s62, s59, s63
	s_add_co_ci_u32 s63, s45, 0
	s_wait_alu 0xfffe
	s_add_nc_u64 s[62:63], s[18:19], s[62:63]
	s_delay_alu instid0(SALU_CYCLE_1) | instskip(SKIP_4) | instid1(SALU_CYCLE_1)
	s_add_co_u32 s58, s58, s62
	s_cselect_b32 s2, -1, 0
	s_wait_alu 0xfffe
	s_cmp_lg_u32 s2, 0
	s_add_co_ci_u32 s59, s59, s63
	s_mul_u64 s[60:61], s[60:61], s[58:59]
	s_delay_alu instid0(SALU_CYCLE_1)
	s_mul_hi_u32 s63, s58, s61
	s_mul_i32 s62, s58, s61
	s_mul_hi_u32 s18, s58, s60
	s_mul_i32 s43, s59, s60
	s_wait_alu 0xfffe
	s_add_nc_u64 s[62:63], s[18:19], s[62:63]
	s_mul_hi_u32 s2, s59, s60
	s_mul_hi_u32 s45, s59, s61
	s_add_co_u32 s18, s62, s43
	s_wait_alu 0xfffe
	s_add_co_ci_u32 s18, s63, s2
	s_mul_i32 s60, s59, s61
	s_add_co_ci_u32 s61, s45, 0
	s_wait_alu 0xfffe
	s_add_nc_u64 s[60:61], s[18:19], s[60:61]
	s_delay_alu instid0(SALU_CYCLE_1)
	s_add_co_u32 s2, s58, s60
	s_cselect_b32 s18, -1, 0
	s_wait_alu 0xfffe
	v_mul_hi_u32 v10, v5, s2
	s_cmp_lg_u32 s18, 0
	v_mad_co_u64_u32 v[29:30], null, v8, s2, 0
	s_add_co_ci_u32 s18, s59, s61
	s_wait_alu 0xfffe
	v_mad_co_u64_u32 v[22:23], null, v5, s18, 0
	v_mad_co_u64_u32 v[31:32], null, v8, s18, 0
	s_delay_alu instid0(VALU_DEP_2) | instskip(SKIP_1) | instid1(VALU_DEP_3)
	v_add_co_u32 v10, vcc_lo, v10, v22
	s_wait_alu 0xfffd
	v_add_co_ci_u32_e64 v12, null, 0, v23, vcc_lo
	s_delay_alu instid0(VALU_DEP_2) | instskip(SKIP_1) | instid1(VALU_DEP_2)
	v_add_co_u32 v10, vcc_lo, v10, v29
	s_wait_alu 0xfffd
	v_add_co_ci_u32_e32 v10, vcc_lo, v12, v30, vcc_lo
	s_wait_alu 0xfffd
	v_add_co_ci_u32_e32 v12, vcc_lo, 0, v32, vcc_lo
	s_delay_alu instid0(VALU_DEP_2) | instskip(SKIP_1) | instid1(VALU_DEP_2)
	v_add_co_u32 v10, vcc_lo, v10, v31
	s_wait_alu 0xfffd
	v_add_co_ci_u32_e64 v12, null, 0, v12, vcc_lo
	s_delay_alu instid0(VALU_DEP_2) | instskip(SKIP_1) | instid1(VALU_DEP_3)
	v_mul_lo_u32 v14, s51, v10
	v_mad_co_u64_u32 v[22:23], null, s50, v10, 0
	v_mul_lo_u32 v16, s50, v12
	v_add_co_u32 v18, s2, v10, 2
	s_wait_alu 0xf1ff
	v_add_co_ci_u32_e64 v20, null, 0, v12, s2
	s_delay_alu instid0(VALU_DEP_4) | instskip(NEXT) | instid1(VALU_DEP_4)
	v_sub_co_u32 v5, vcc_lo, v5, v22
	v_add3_u32 v14, v23, v16, v14
	s_delay_alu instid0(VALU_DEP_2) | instskip(NEXT) | instid1(VALU_DEP_2)
	v_sub_co_u32 v22, s2, v5, s50
	v_sub_nc_u32_e32 v16, v8, v14
	s_wait_alu 0xfffd
	v_sub_co_ci_u32_e64 v8, null, v8, v14, vcc_lo
	s_delay_alu instid0(VALU_DEP_2) | instskip(SKIP_2) | instid1(VALU_DEP_2)
	v_subrev_co_ci_u32_e64 v16, null, s51, v16, vcc_lo
	v_cmp_le_u32_e32 vcc_lo, s50, v22
	s_wait_alu 0xf1ff
	v_subrev_co_ci_u32_e64 v16, null, 0, v16, s2
	s_wait_alu 0xfffd
	v_cndmask_b32_e64 v14, 0, -1, vcc_lo
	s_delay_alu instid0(VALU_DEP_2)
	v_cmp_le_u32_e32 vcc_lo, s51, v16
	s_wait_alu 0xfffd
	v_cndmask_b32_e64 v22, 0, -1, vcc_lo
	v_cmp_le_u32_e32 vcc_lo, s50, v5
	s_wait_alu 0xfffd
	v_cndmask_b32_e64 v5, 0, -1, vcc_lo
	v_cmp_le_u32_e32 vcc_lo, s51, v8
	s_wait_alu 0xfffd
	v_cndmask_b32_e64 v23, 0, -1, vcc_lo
	v_cmp_eq_u32_e32 vcc_lo, s51, v16
	s_wait_alu 0xfffd
	v_cndmask_b32_e32 v14, v22, v14, vcc_lo
	v_add_co_u32 v16, vcc_lo, v10, 1
	s_wait_alu 0xfffd
	v_add_co_ci_u32_e64 v22, null, 0, v12, vcc_lo
	v_cmp_eq_u32_e32 vcc_lo, s51, v8
	s_wait_alu 0xfffd
	v_cndmask_b32_e32 v5, v23, v5, vcc_lo
	v_cmp_ne_u32_e32 vcc_lo, 0, v14
	s_delay_alu instid0(VALU_DEP_2) | instskip(SKIP_3) | instid1(VALU_DEP_1)
	v_cmp_ne_u32_e64 s2, 0, v5
	s_wait_alu 0xfffd
	v_dual_cndmask_b32 v8, v22, v20 :: v_dual_cndmask_b32 v5, v16, v18
	s_wait_alu 0xf1ff
	v_cndmask_b32_e64 v8, v12, v8, s2
	s_delay_alu instid0(VALU_DEP_2) | instskip(NEXT) | instid1(VALU_DEP_2)
	v_cndmask_b32_e64 v5, v10, v5, s2
	v_xor_b32_e32 v8, v8, v3
	s_delay_alu instid0(VALU_DEP_2) | instskip(NEXT) | instid1(VALU_DEP_1)
	v_xor_b32_e32 v5, v5, v3
	v_sub_co_u32 v23, vcc_lo, v5, v3
	s_wait_alu 0xfffd
	s_delay_alu instid0(VALU_DEP_3)
	v_sub_co_ci_u32_e64 v24, null, v8, v3, vcc_lo
.LBB32_52:                              ;   in Loop: Header=BB32_22 Depth=2
	s_wait_alu 0xfffe
	s_and_not1_saveexec_b32 s2, s41
	s_cbranch_execz .LBB32_54
; %bb.53:                               ;   in Loop: Header=BB32_22 Depth=2
	v_cvt_f32_u32_e32 v3, s44
	s_sub_co_i32 s18, 0, s44
	v_mov_b32_e32 v24, v2
	s_delay_alu instid0(VALU_DEP_2) | instskip(NEXT) | instid1(TRANS32_DEP_1)
	v_rcp_iflag_f32_e32 v3, v3
	v_mul_f32_e32 v3, 0x4f7ffffe, v3
	s_delay_alu instid0(VALU_DEP_1) | instskip(SKIP_1) | instid1(VALU_DEP_1)
	v_cvt_u32_f32_e32 v3, v3
	s_wait_alu 0xfffe
	v_mul_lo_u32 v5, s18, v3
	s_delay_alu instid0(VALU_DEP_1) | instskip(NEXT) | instid1(VALU_DEP_1)
	v_mul_hi_u32 v5, v3, v5
	v_add_nc_u32_e32 v3, v3, v5
	s_delay_alu instid0(VALU_DEP_1) | instskip(NEXT) | instid1(VALU_DEP_1)
	v_mul_hi_u32 v3, v21, v3
	v_mul_lo_u32 v5, v3, s44
	s_delay_alu instid0(VALU_DEP_1) | instskip(NEXT) | instid1(VALU_DEP_1)
	v_sub_nc_u32_e32 v5, v21, v5
	v_subrev_nc_u32_e32 v10, s44, v5
	v_cmp_le_u32_e32 vcc_lo, s44, v5
	s_wait_alu 0xfffd
	s_delay_alu instid0(VALU_DEP_2) | instskip(NEXT) | instid1(VALU_DEP_1)
	v_dual_cndmask_b32 v5, v5, v10 :: v_dual_add_nc_u32 v8, 1, v3
	v_cndmask_b32_e32 v3, v3, v8, vcc_lo
	s_delay_alu instid0(VALU_DEP_2) | instskip(NEXT) | instid1(VALU_DEP_2)
	v_cmp_le_u32_e32 vcc_lo, s44, v5
	v_add_nc_u32_e32 v8, 1, v3
	s_wait_alu 0xfffd
	s_delay_alu instid0(VALU_DEP_1)
	v_cndmask_b32_e32 v23, v3, v8, vcc_lo
.LBB32_54:                              ;   in Loop: Header=BB32_22 Depth=2
	s_wait_alu 0xfffe
	s_or_b32 exec_lo, exec_lo, s2
	v_mul_lo_u32 v3, v9, s28
	v_mul_lo_u32 v5, v11, s30
	v_mul_lo_u32 v8, v13, s34
	v_mul_lo_u32 v10, v15, s36
	v_mul_lo_u32 v14, v19, s40
	s_add_nc_u64 s[40:41], s[0:1], s[46:47]
	v_mul_lo_u32 v12, v17, s38
	s_load_b32 s2, s[40:41], 0x6c
	v_sub_nc_u32_e32 v3, v7, v3
	v_sub_nc_u32_e32 v5, v9, v5
	;; [unrolled: 1-line block ×4, first 2 shown]
	v_mul_lo_u32 v9, v21, s42
	v_mul_lo_u32 v3, s25, v3
	;; [unrolled: 1-line block ×4, first 2 shown]
	v_sub_nc_u32_e32 v11, v15, v12
	v_sub_nc_u32_e32 v12, v17, v14
	v_mul_lo_u32 v7, s31, v7
	v_mul_lo_u32 v8, s35, v8
	s_add_co_i32 s26, s26, -8
	v_mul_lo_u32 v11, s37, v11
	v_add3_u32 v3, v3, v4, v5
	v_sub_nc_u32_e32 v4, v19, v9
	v_sub_nc_u32_e32 v5, v21, v10
	v_mul_lo_u32 v9, s39, v12
	s_wait_alu 0xfffe
	s_cmp_eq_u32 s26, -8
	v_add3_u32 v3, v7, v3, v8
	v_mul_lo_u32 v4, s27, v4
	s_wait_kmcnt 0x0
	v_mul_lo_u32 v5, s2, v5
	s_delay_alu instid0(VALU_DEP_3) | instskip(NEXT) | instid1(VALU_DEP_1)
	v_add3_u32 v3, v11, v3, v9
	v_add3_u32 v4, v4, v3, v5
	s_cbranch_scc1 .LBB32_56
; %bb.55:                               ;   in Loop: Header=BB32_22 Depth=2
	v_dual_mov_b32 v7, v23 :: v_dual_mov_b32 v8, v24
	s_branch .LBB32_22
.LBB32_56:                              ;   in Loop: Header=BB32_3 Depth=1
	s_load_b32 s2, s[12:13], 0x4
	s_wait_kmcnt 0x0
	v_cmp_gt_i32_e32 vcc_lo, s2, v28
	s_and_b32 exec_lo, exec_lo, vcc_lo
	s_cbranch_execz .LBB32_2
; %bb.57:                               ;   in Loop: Header=BB32_3 Depth=1
	v_ashrrev_i32_e32 v7, 31, v6
	s_mov_b32 s18, exec_lo
	s_delay_alu instid0(VALU_DEP_1)
	v_cmpx_lt_i64_e64 s[4:5], v[6:7]
	s_cbranch_execz .LBB32_59
; %bb.58:                               ;   in Loop: Header=BB32_3 Depth=1
	v_ashrrev_i32_e32 v5, 31, v4
	v_mov_b32_e32 v3, v2
	s_delay_alu instid0(VALU_DEP_2) | instskip(NEXT) | instid1(VALU_DEP_1)
	v_lshlrev_b64_e32 v[5:6], 3, v[4:5]
	v_add_co_u32 v5, vcc_lo, s16, v5
	s_wait_alu 0xfffd
	s_delay_alu instid0(VALU_DEP_2)
	v_add_co_ci_u32_e64 v6, null, s17, v6, vcc_lo
	global_store_b64 v[5:6], v[2:3], off
.LBB32_59:                              ;   in Loop: Header=BB32_3 Depth=1
	s_wait_alu 0xfffe
	s_or_b32 exec_lo, exec_lo, s18
	v_add_nc_u32_e32 v3, 1, v28
	s_delay_alu instid0(VALU_DEP_1)
	v_cmp_gt_i32_e32 vcc_lo, s2, v3
	s_and_b32 exec_lo, exec_lo, vcc_lo
	s_cbranch_execz .LBB32_2
; %bb.60:                               ;   in Loop: Header=BB32_3 Depth=1
	v_sub_nc_u32_e32 v5, v3, v27
	s_delay_alu instid0(VALU_DEP_1) | instskip(NEXT) | instid1(VALU_DEP_1)
	v_ashrrev_i32_e32 v6, 31, v5
	v_cmp_lt_i64_e32 vcc_lo, s[4:5], v[5:6]
	s_and_b32 exec_lo, exec_lo, vcc_lo
	s_cbranch_execz .LBB32_2
; %bb.61:                               ;   in Loop: Header=BB32_3 Depth=1
	v_add_nc_u32_e32 v3, s3, v4
	s_delay_alu instid0(VALU_DEP_1) | instskip(NEXT) | instid1(VALU_DEP_1)
	v_ashrrev_i32_e32 v4, 31, v3
	v_lshlrev_b64_e32 v[3:4], 3, v[3:4]
	s_delay_alu instid0(VALU_DEP_1) | instskip(SKIP_1) | instid1(VALU_DEP_2)
	v_add_co_u32 v5, vcc_lo, s16, v3
	s_wait_alu 0xfffd
	v_add_co_ci_u32_e64 v6, null, s17, v4, vcc_lo
	v_mov_b32_e32 v3, v2
	global_store_b64 v[5:6], v[2:3], off
	s_branch .LBB32_2
.LBB32_62:
	s_endpgm
	.section	.rodata,"a",@progbits
	.p2align	6, 0x0
	.amdhsa_kernel _ZN2at6native16triu_tril_kernelIN3c107complexIfEEiLb0ELi2ELb1EEEvNS_4cuda6detail10TensorInfoIT_T0_EENS7_IKS8_S9_EEllS9_
		.amdhsa_group_segment_fixed_size 0
		.amdhsa_private_segment_fixed_size 0
		.amdhsa_kernarg_size 712
		.amdhsa_user_sgpr_count 2
		.amdhsa_user_sgpr_dispatch_ptr 0
		.amdhsa_user_sgpr_queue_ptr 0
		.amdhsa_user_sgpr_kernarg_segment_ptr 1
		.amdhsa_user_sgpr_dispatch_id 0
		.amdhsa_user_sgpr_private_segment_size 0
		.amdhsa_wavefront_size32 1
		.amdhsa_uses_dynamic_stack 0
		.amdhsa_enable_private_segment 0
		.amdhsa_system_sgpr_workgroup_id_x 1
		.amdhsa_system_sgpr_workgroup_id_y 0
		.amdhsa_system_sgpr_workgroup_id_z 0
		.amdhsa_system_sgpr_workgroup_info 0
		.amdhsa_system_vgpr_workitem_id 0
		.amdhsa_next_free_vgpr 33
		.amdhsa_next_free_sgpr 66
		.amdhsa_reserve_vcc 1
		.amdhsa_float_round_mode_32 0
		.amdhsa_float_round_mode_16_64 0
		.amdhsa_float_denorm_mode_32 3
		.amdhsa_float_denorm_mode_16_64 3
		.amdhsa_fp16_overflow 0
		.amdhsa_workgroup_processor_mode 1
		.amdhsa_memory_ordered 1
		.amdhsa_forward_progress 1
		.amdhsa_inst_pref_size 96
		.amdhsa_round_robin_scheduling 0
		.amdhsa_exception_fp_ieee_invalid_op 0
		.amdhsa_exception_fp_denorm_src 0
		.amdhsa_exception_fp_ieee_div_zero 0
		.amdhsa_exception_fp_ieee_overflow 0
		.amdhsa_exception_fp_ieee_underflow 0
		.amdhsa_exception_fp_ieee_inexact 0
		.amdhsa_exception_int_div_zero 0
	.end_amdhsa_kernel
	.section	.text._ZN2at6native16triu_tril_kernelIN3c107complexIfEEiLb0ELi2ELb1EEEvNS_4cuda6detail10TensorInfoIT_T0_EENS7_IKS8_S9_EEllS9_,"axG",@progbits,_ZN2at6native16triu_tril_kernelIN3c107complexIfEEiLb0ELi2ELb1EEEvNS_4cuda6detail10TensorInfoIT_T0_EENS7_IKS8_S9_EEllS9_,comdat
.Lfunc_end32:
	.size	_ZN2at6native16triu_tril_kernelIN3c107complexIfEEiLb0ELi2ELb1EEEvNS_4cuda6detail10TensorInfoIT_T0_EENS7_IKS8_S9_EEllS9_, .Lfunc_end32-_ZN2at6native16triu_tril_kernelIN3c107complexIfEEiLb0ELi2ELb1EEEvNS_4cuda6detail10TensorInfoIT_T0_EENS7_IKS8_S9_EEllS9_
                                        ; -- End function
	.set _ZN2at6native16triu_tril_kernelIN3c107complexIfEEiLb0ELi2ELb1EEEvNS_4cuda6detail10TensorInfoIT_T0_EENS7_IKS8_S9_EEllS9_.num_vgpr, 33
	.set _ZN2at6native16triu_tril_kernelIN3c107complexIfEEiLb0ELi2ELb1EEEvNS_4cuda6detail10TensorInfoIT_T0_EENS7_IKS8_S9_EEllS9_.num_agpr, 0
	.set _ZN2at6native16triu_tril_kernelIN3c107complexIfEEiLb0ELi2ELb1EEEvNS_4cuda6detail10TensorInfoIT_T0_EENS7_IKS8_S9_EEllS9_.numbered_sgpr, 66
	.set _ZN2at6native16triu_tril_kernelIN3c107complexIfEEiLb0ELi2ELb1EEEvNS_4cuda6detail10TensorInfoIT_T0_EENS7_IKS8_S9_EEllS9_.num_named_barrier, 0
	.set _ZN2at6native16triu_tril_kernelIN3c107complexIfEEiLb0ELi2ELb1EEEvNS_4cuda6detail10TensorInfoIT_T0_EENS7_IKS8_S9_EEllS9_.private_seg_size, 0
	.set _ZN2at6native16triu_tril_kernelIN3c107complexIfEEiLb0ELi2ELb1EEEvNS_4cuda6detail10TensorInfoIT_T0_EENS7_IKS8_S9_EEllS9_.uses_vcc, 1
	.set _ZN2at6native16triu_tril_kernelIN3c107complexIfEEiLb0ELi2ELb1EEEvNS_4cuda6detail10TensorInfoIT_T0_EENS7_IKS8_S9_EEllS9_.uses_flat_scratch, 0
	.set _ZN2at6native16triu_tril_kernelIN3c107complexIfEEiLb0ELi2ELb1EEEvNS_4cuda6detail10TensorInfoIT_T0_EENS7_IKS8_S9_EEllS9_.has_dyn_sized_stack, 0
	.set _ZN2at6native16triu_tril_kernelIN3c107complexIfEEiLb0ELi2ELb1EEEvNS_4cuda6detail10TensorInfoIT_T0_EENS7_IKS8_S9_EEllS9_.has_recursion, 0
	.set _ZN2at6native16triu_tril_kernelIN3c107complexIfEEiLb0ELi2ELb1EEEvNS_4cuda6detail10TensorInfoIT_T0_EENS7_IKS8_S9_EEllS9_.has_indirect_call, 0
	.section	.AMDGPU.csdata,"",@progbits
; Kernel info:
; codeLenInByte = 12236
; TotalNumSgprs: 68
; NumVgprs: 33
; ScratchSize: 0
; MemoryBound: 0
; FloatMode: 240
; IeeeMode: 1
; LDSByteSize: 0 bytes/workgroup (compile time only)
; SGPRBlocks: 0
; VGPRBlocks: 4
; NumSGPRsForWavesPerEU: 68
; NumVGPRsForWavesPerEU: 33
; Occupancy: 16
; WaveLimiterHint : 0
; COMPUTE_PGM_RSRC2:SCRATCH_EN: 0
; COMPUTE_PGM_RSRC2:USER_SGPR: 2
; COMPUTE_PGM_RSRC2:TRAP_HANDLER: 0
; COMPUTE_PGM_RSRC2:TGID_X_EN: 1
; COMPUTE_PGM_RSRC2:TGID_Y_EN: 0
; COMPUTE_PGM_RSRC2:TGID_Z_EN: 0
; COMPUTE_PGM_RSRC2:TIDIG_COMP_CNT: 0
	.section	.text._ZN2at6native16triu_tril_kernelIN3c107complexIfEEiLb0ELi2ELb0EEEvNS_4cuda6detail10TensorInfoIT_T0_EENS7_IKS8_S9_EEllS9_,"axG",@progbits,_ZN2at6native16triu_tril_kernelIN3c107complexIfEEiLb0ELi2ELb0EEEvNS_4cuda6detail10TensorInfoIT_T0_EENS7_IKS8_S9_EEllS9_,comdat
	.protected	_ZN2at6native16triu_tril_kernelIN3c107complexIfEEiLb0ELi2ELb0EEEvNS_4cuda6detail10TensorInfoIT_T0_EENS7_IKS8_S9_EEllS9_ ; -- Begin function _ZN2at6native16triu_tril_kernelIN3c107complexIfEEiLb0ELi2ELb0EEEvNS_4cuda6detail10TensorInfoIT_T0_EENS7_IKS8_S9_EEllS9_
	.globl	_ZN2at6native16triu_tril_kernelIN3c107complexIfEEiLb0ELi2ELb0EEEvNS_4cuda6detail10TensorInfoIT_T0_EENS7_IKS8_S9_EEllS9_
	.p2align	8
	.type	_ZN2at6native16triu_tril_kernelIN3c107complexIfEEiLb0ELi2ELb0EEEvNS_4cuda6detail10TensorInfoIT_T0_EENS7_IKS8_S9_EEllS9_,@function
_ZN2at6native16triu_tril_kernelIN3c107complexIfEEiLb0ELi2ELb0EEEvNS_4cuda6detail10TensorInfoIT_T0_EENS7_IKS8_S9_EEllS9_: ; @_ZN2at6native16triu_tril_kernelIN3c107complexIfEEiLb0ELi2ELb0EEEvNS_4cuda6detail10TensorInfoIT_T0_EENS7_IKS8_S9_EEllS9_
; %bb.0:
	s_clause 0x1
	s_load_b32 s2, s[0:1], 0x1d4
	s_load_b128 s[4:7], s[0:1], 0x1b0
	v_mov_b32_e32 v2, 0
	s_delay_alu instid0(VALU_DEP_1) | instskip(SKIP_3) | instid1(VALU_DEP_1)
	v_mov_b32_e32 v1, v2
	s_wait_kmcnt 0x0
	s_and_b32 s21, s2, 0xffff
	s_mov_b32 s2, exec_lo
	v_mad_co_u64_u32 v[0:1], null, s21, ttmp9, v[0:1]
	s_delay_alu instid0(VALU_DEP_1) | instskip(NEXT) | instid1(VALU_DEP_1)
	v_lshlrev_b64_e32 v[0:1], 1, v[0:1]
	v_cmpx_gt_i64_e64 s[6:7], v[0:1]
	s_cbranch_execz .LBB33_47
; %bb.1:
	s_clause 0x2
	s_load_b32 s24, s[0:1], 0x1a8
	s_load_b32 s8, s[0:1], 0x1c0
	s_load_b64 s[10:11], s[0:1], 0xd8
	s_add_nc_u64 s[12:13], s[0:1], 0xd8
	s_add_nc_u64 s[14:15], s[0:1], 0x1c8
	s_load_b32 s26, s[14:15], 0x0
	s_load_b64 s[14:15], s[0:1], 0x0
	s_wait_kmcnt 0x0
	s_ashr_i32 s25, s24, 31
	v_cvt_f32_u32_e32 v3, s8
	s_lshl_b64 s[16:17], s[24:25], 2
	s_and_b32 s48, s24, 3
	s_add_nc_u64 s[18:19], s[12:13], s[16:17]
	s_add_nc_u64 s[22:23], s[0:1], s[16:17]
	s_load_b64 s[2:3], s[18:19], 0x0
	v_rcp_iflag_f32_e32 v3, v3
	s_clause 0x1
	s_load_b64 s[16:17], s[18:19], 0x64
	s_load_b64 s[18:19], s[22:23], 0x64
	s_mul_i32 s26, s26, s21
	s_ashr_i32 s9, s8, 31
	s_add_co_i32 s33, s24, -3
	s_lshl_b32 s50, s26, 1
	v_cmp_gt_i64_e64 s49, s[24:25], 2
	s_mov_b32 s23, 0
	v_mul_f32_e32 v3, 0x4f7ffffe, v3
	s_delay_alu instid0(VALU_DEP_1)
	v_cvt_u32_f32_e32 v18, v3
	s_wait_kmcnt 0x0
	s_mov_b32 s20, s2
	s_ashr_i32 s21, s2, 31
	s_wait_alu 0xfffe
	v_cvt_f32_u32_e32 v4, s20
	s_cmp_lg_u32 s48, 2
	s_mov_b32 s24, s17
	s_cselect_b32 s51, -1, 0
	s_cmp_gt_u32 s33, 2
	v_rcp_iflag_f32_e32 v4, v4
	s_cselect_b32 s52, -1, 0
	s_ashr_i32 s25, s17, 31
	s_ashr_i32 s27, s19, 31
	s_mov_b32 s26, s19
	s_ashr_i32 s28, s9, 31
	s_mov_b32 s17, 0
	s_delay_alu instid0(TRANS32_DEP_1) | instskip(NEXT) | instid1(VALU_DEP_1)
	v_mul_f32_e32 v3, 0x4f7ffffe, v4
	v_cvt_u32_f32_e32 v19, v3
	s_branch .LBB33_3
.LBB33_2:                               ;   in Loop: Header=BB33_3 Depth=1
	s_wait_alu 0xfffe
	s_or_b32 exec_lo, exec_lo, s2
	v_add_co_u32 v0, vcc_lo, v0, s50
	s_wait_alu 0xfffd
	v_add_co_ci_u32_e64 v1, null, 0, v1, vcc_lo
	s_delay_alu instid0(VALU_DEP_1)
	v_cmp_le_i64_e32 vcc_lo, s[6:7], v[0:1]
	s_or_b32 s17, vcc_lo, s17
	s_wait_alu 0xfffe
	s_and_not1_b32 exec_lo, exec_lo, s17
	s_cbranch_execz .LBB33_47
.LBB33_3:                               ; =>This Loop Header: Depth=1
                                        ;     Child Loop BB33_15 Depth 2
                                        ;     Child Loop BB33_20 Depth 2
	v_or_b32_e32 v3, s9, v1
                                        ; implicit-def: $vgpr4_vgpr5
	s_mov_b32 s2, exec_lo
	s_delay_alu instid0(VALU_DEP_1)
	v_cmpx_ne_u64_e32 0, v[2:3]
	s_wait_alu 0xfffe
	s_xor_b32 s19, exec_lo, s2
	s_cbranch_execz .LBB33_5
; %bb.4:                                ;   in Loop: Header=BB33_3 Depth=1
	s_mov_b32 s29, s28
	v_ashrrev_i32_e32 v9, 31, v1
	s_wait_alu 0xfffe
	s_add_nc_u64 s[30:31], s[8:9], s[28:29]
	s_wait_alu 0xfffe
	s_xor_b64 s[30:31], s[30:31], s[28:29]
	v_add_co_u32 v3, vcc_lo, v0, v9
	s_wait_alu 0xfffe
	s_cvt_f32_u32 s2, s30
	s_cvt_f32_u32 s22, s31
	s_sub_nc_u64 s[36:37], 0, s[30:31]
	s_wait_alu 0xfffd
	v_add_co_ci_u32_e64 v4, null, v1, v9, vcc_lo
	s_wait_alu 0xfffe
	s_fmamk_f32 s2, s22, 0x4f800000, s2
	v_xor_b32_e32 v10, v3, v9
	s_delay_alu instid0(VALU_DEP_2) | instskip(SKIP_2) | instid1(TRANS32_DEP_1)
	v_xor_b32_e32 v11, v4, v9
	s_wait_alu 0xfffe
	v_s_rcp_f32 s2, s2
	s_mul_f32 s2, s2, 0x5f7ffffc
	s_wait_alu 0xfffe
	s_delay_alu instid0(SALU_CYCLE_2) | instskip(SKIP_1) | instid1(SALU_CYCLE_2)
	s_mul_f32 s22, s2, 0x2f800000
	s_wait_alu 0xfffe
	s_trunc_f32 s22, s22
	s_wait_alu 0xfffe
	s_delay_alu instid0(SALU_CYCLE_2) | instskip(SKIP_2) | instid1(SALU_CYCLE_1)
	s_fmamk_f32 s2, s22, 0xcf800000, s2
	s_cvt_u32_f32 s35, s22
	s_wait_alu 0xfffe
	s_cvt_u32_f32 s34, s2
	s_wait_alu 0xfffe
	s_delay_alu instid0(SALU_CYCLE_2)
	s_mul_u64 s[38:39], s[36:37], s[34:35]
	s_wait_alu 0xfffe
	s_mul_hi_u32 s41, s34, s39
	s_mul_i32 s40, s34, s39
	s_mul_hi_u32 s22, s34, s38
	s_mul_i32 s29, s35, s38
	s_wait_alu 0xfffe
	s_add_nc_u64 s[40:41], s[22:23], s[40:41]
	s_mul_hi_u32 s2, s35, s38
	s_mul_hi_u32 s42, s35, s39
	s_wait_alu 0xfffe
	s_add_co_u32 s22, s40, s29
	s_add_co_ci_u32 s22, s41, s2
	s_mul_i32 s38, s35, s39
	s_add_co_ci_u32 s39, s42, 0
	s_wait_alu 0xfffe
	s_add_nc_u64 s[38:39], s[22:23], s[38:39]
	s_wait_alu 0xfffe
	s_add_co_u32 s34, s34, s38
	s_cselect_b32 s2, -1, 0
	s_wait_alu 0xfffe
	s_cmp_lg_u32 s2, 0
	s_add_co_ci_u32 s35, s35, s39
	s_wait_alu 0xfffe
	s_mul_u64 s[36:37], s[36:37], s[34:35]
	s_wait_alu 0xfffe
	s_mul_hi_u32 s39, s34, s37
	s_mul_i32 s38, s34, s37
	s_mul_hi_u32 s22, s34, s36
	s_mul_i32 s29, s35, s36
	s_wait_alu 0xfffe
	s_add_nc_u64 s[38:39], s[22:23], s[38:39]
	s_mul_hi_u32 s2, s35, s36
	s_mul_hi_u32 s40, s35, s37
	s_wait_alu 0xfffe
	s_add_co_u32 s22, s38, s29
	s_add_co_ci_u32 s22, s39, s2
	s_mul_i32 s36, s35, s37
	s_add_co_ci_u32 s37, s40, 0
	s_wait_alu 0xfffe
	s_add_nc_u64 s[36:37], s[22:23], s[36:37]
	s_wait_alu 0xfffe
	s_add_co_u32 s2, s34, s36
	s_cselect_b32 s22, -1, 0
	s_wait_alu 0xfffe
	v_mul_hi_u32 v12, v10, s2
	s_cmp_lg_u32 s22, 0
	v_mad_co_u64_u32 v[5:6], null, v11, s2, 0
	s_add_co_ci_u32 s22, s35, s37
	s_wait_alu 0xfffe
	v_mad_co_u64_u32 v[3:4], null, v10, s22, 0
	v_mad_co_u64_u32 v[7:8], null, v11, s22, 0
	s_delay_alu instid0(VALU_DEP_2) | instskip(SKIP_1) | instid1(VALU_DEP_3)
	v_add_co_u32 v3, vcc_lo, v12, v3
	s_wait_alu 0xfffd
	v_add_co_ci_u32_e64 v4, null, 0, v4, vcc_lo
	s_delay_alu instid0(VALU_DEP_2) | instskip(SKIP_1) | instid1(VALU_DEP_2)
	v_add_co_u32 v3, vcc_lo, v3, v5
	s_wait_alu 0xfffd
	v_add_co_ci_u32_e32 v3, vcc_lo, v4, v6, vcc_lo
	s_wait_alu 0xfffd
	v_add_co_ci_u32_e32 v4, vcc_lo, 0, v8, vcc_lo
	s_delay_alu instid0(VALU_DEP_2) | instskip(SKIP_1) | instid1(VALU_DEP_2)
	v_add_co_u32 v5, vcc_lo, v3, v7
	s_wait_alu 0xfffd
	v_add_co_ci_u32_e64 v6, null, 0, v4, vcc_lo
	s_delay_alu instid0(VALU_DEP_2) | instskip(SKIP_1) | instid1(VALU_DEP_3)
	v_mul_lo_u32 v7, s31, v5
	v_mad_co_u64_u32 v[3:4], null, s30, v5, 0
	v_mul_lo_u32 v8, s30, v6
	s_delay_alu instid0(VALU_DEP_2) | instskip(NEXT) | instid1(VALU_DEP_2)
	v_sub_co_u32 v3, vcc_lo, v10, v3
	v_add3_u32 v4, v4, v8, v7
	v_add_co_u32 v8, s2, v5, 2
	s_wait_alu 0xf1ff
	v_add_co_ci_u32_e64 v10, null, 0, v6, s2
	s_delay_alu instid0(VALU_DEP_3) | instskip(SKIP_3) | instid1(VALU_DEP_3)
	v_sub_nc_u32_e32 v7, v11, v4
	v_sub_co_u32 v12, s2, v3, s30
	s_wait_alu 0xfffd
	v_sub_co_ci_u32_e64 v4, null, v11, v4, vcc_lo
	v_subrev_co_ci_u32_e64 v7, null, s31, v7, vcc_lo
	s_delay_alu instid0(VALU_DEP_3) | instskip(SKIP_1) | instid1(VALU_DEP_2)
	v_cmp_le_u32_e32 vcc_lo, s30, v12
	s_wait_alu 0xf1ff
	v_subrev_co_ci_u32_e64 v7, null, 0, v7, s2
	s_wait_alu 0xfffd
	v_cndmask_b32_e64 v11, 0, -1, vcc_lo
	s_delay_alu instid0(VALU_DEP_2)
	v_cmp_le_u32_e32 vcc_lo, s31, v7
	s_wait_alu 0xfffd
	v_cndmask_b32_e64 v12, 0, -1, vcc_lo
	v_cmp_le_u32_e32 vcc_lo, s30, v3
	s_wait_alu 0xfffd
	v_cndmask_b32_e64 v3, 0, -1, vcc_lo
	;; [unrolled: 3-line block ×3, first 2 shown]
	v_cmp_eq_u32_e32 vcc_lo, s31, v7
	s_wait_alu 0xfffd
	v_cndmask_b32_e32 v7, v12, v11, vcc_lo
	v_add_co_u32 v11, vcc_lo, v5, 1
	s_wait_alu 0xfffd
	v_add_co_ci_u32_e64 v12, null, 0, v6, vcc_lo
	v_cmp_eq_u32_e32 vcc_lo, s31, v4
	s_wait_alu 0xfffd
	v_cndmask_b32_e32 v3, v13, v3, vcc_lo
	v_cmp_ne_u32_e32 vcc_lo, 0, v7
	v_xor_b32_e32 v7, s28, v9
	s_wait_alu 0xfffd
	v_cndmask_b32_e32 v4, v12, v10, vcc_lo
	v_cmp_ne_u32_e64 s2, 0, v3
	v_cndmask_b32_e32 v3, v11, v8, vcc_lo
	s_wait_alu 0xf1ff
	s_delay_alu instid0(VALU_DEP_2) | instskip(NEXT) | instid1(VALU_DEP_2)
	v_cndmask_b32_e64 v4, v6, v4, s2
	v_cndmask_b32_e64 v3, v5, v3, s2
	s_delay_alu instid0(VALU_DEP_2) | instskip(NEXT) | instid1(VALU_DEP_2)
	v_xor_b32_e32 v5, v4, v7
	v_xor_b32_e32 v3, v3, v7
	s_delay_alu instid0(VALU_DEP_1) | instskip(SKIP_1) | instid1(VALU_DEP_3)
	v_sub_co_u32 v4, vcc_lo, v3, v7
	s_wait_alu 0xfffd
	v_sub_co_ci_u32_e64 v5, null, v5, v7, vcc_lo
.LBB33_5:                               ;   in Loop: Header=BB33_3 Depth=1
	s_wait_alu 0xfffe
	s_and_not1_saveexec_b32 s2, s19
	s_cbranch_execz .LBB33_7
; %bb.6:                                ;   in Loop: Header=BB33_3 Depth=1
	s_sub_co_i32 s19, 0, s8
	s_wait_alu 0xfffe
	v_mul_lo_u32 v3, s19, v18
	s_delay_alu instid0(VALU_DEP_1) | instskip(NEXT) | instid1(VALU_DEP_1)
	v_mul_hi_u32 v3, v18, v3
	v_add_nc_u32_e32 v3, v18, v3
	s_delay_alu instid0(VALU_DEP_1) | instskip(NEXT) | instid1(VALU_DEP_1)
	v_mul_hi_u32 v3, v0, v3
	v_mul_lo_u32 v4, v3, s8
	v_add_nc_u32_e32 v5, 1, v3
	s_delay_alu instid0(VALU_DEP_2) | instskip(NEXT) | instid1(VALU_DEP_1)
	v_sub_nc_u32_e32 v4, v0, v4
	v_subrev_nc_u32_e32 v6, s8, v4
	v_cmp_le_u32_e32 vcc_lo, s8, v4
	s_wait_alu 0xfffd
	s_delay_alu instid0(VALU_DEP_2) | instskip(NEXT) | instid1(VALU_DEP_1)
	v_dual_cndmask_b32 v4, v4, v6 :: v_dual_cndmask_b32 v3, v3, v5
	v_cmp_le_u32_e32 vcc_lo, s8, v4
	s_delay_alu instid0(VALU_DEP_2) | instskip(SKIP_1) | instid1(VALU_DEP_1)
	v_add_nc_u32_e32 v5, 1, v3
	s_wait_alu 0xfffd
	v_dual_cndmask_b32 v4, v3, v5 :: v_dual_mov_b32 v5, v2
.LBB33_7:                               ;   in Loop: Header=BB33_3 Depth=1
	s_wait_alu 0xfffe
	s_or_b32 exec_lo, exec_lo, s2
	s_delay_alu instid0(VALU_DEP_1) | instskip(SKIP_1) | instid1(VALU_DEP_1)
	v_or_b32_e32 v3, s21, v5
                                        ; implicit-def: $vgpr8_vgpr9
	s_mov_b32 s2, exec_lo
	v_cmpx_ne_u64_e32 0, v[2:3]
	s_wait_alu 0xfffe
	s_xor_b32 s19, exec_lo, s2
	s_cbranch_execz .LBB33_9
; %bb.8:                                ;   in Loop: Header=BB33_3 Depth=1
	s_ashr_i32 s30, s21, 31
	v_ashrrev_i32_e32 v3, 31, v5
	s_wait_alu 0xfffe
	s_mov_b32 s31, s30
	s_wait_alu 0xfffe
	s_add_nc_u64 s[34:35], s[20:21], s[30:31]
	v_add_co_u32 v6, vcc_lo, v4, v3
	s_wait_alu 0xfffe
	s_xor_b64 s[34:35], s[34:35], s[30:31]
	s_wait_alu 0xfffd
	v_add_co_ci_u32_e64 v5, null, v5, v3, vcc_lo
	s_wait_alu 0xfffe
	s_cvt_f32_u32 s2, s34
	s_cvt_f32_u32 s22, s35
	s_sub_nc_u64 s[38:39], 0, s[34:35]
	v_xor_b32_e32 v11, v6, v3
	v_xor_b32_e32 v12, v5, v3
	s_wait_alu 0xfffe
	s_fmamk_f32 s2, s22, 0x4f800000, s2
	v_xor_b32_e32 v3, s30, v3
	s_wait_alu 0xfffe
	s_delay_alu instid0(SALU_CYCLE_1) | instskip(NEXT) | instid1(TRANS32_DEP_1)
	v_s_rcp_f32 s2, s2
	s_mul_f32 s2, s2, 0x5f7ffffc
	s_wait_alu 0xfffe
	s_delay_alu instid0(SALU_CYCLE_2) | instskip(SKIP_1) | instid1(SALU_CYCLE_2)
	s_mul_f32 s22, s2, 0x2f800000
	s_wait_alu 0xfffe
	s_trunc_f32 s22, s22
	s_wait_alu 0xfffe
	s_delay_alu instid0(SALU_CYCLE_2) | instskip(SKIP_2) | instid1(SALU_CYCLE_1)
	s_fmamk_f32 s2, s22, 0xcf800000, s2
	s_cvt_u32_f32 s37, s22
	s_wait_alu 0xfffe
	s_cvt_u32_f32 s36, s2
	s_wait_alu 0xfffe
	s_delay_alu instid0(SALU_CYCLE_2)
	s_mul_u64 s[40:41], s[38:39], s[36:37]
	s_wait_alu 0xfffe
	s_mul_hi_u32 s43, s36, s41
	s_mul_i32 s42, s36, s41
	s_mul_hi_u32 s22, s36, s40
	s_mul_i32 s29, s37, s40
	s_wait_alu 0xfffe
	s_add_nc_u64 s[42:43], s[22:23], s[42:43]
	s_mul_hi_u32 s2, s37, s40
	s_mul_hi_u32 s31, s37, s41
	s_wait_alu 0xfffe
	s_add_co_u32 s22, s42, s29
	s_add_co_ci_u32 s22, s43, s2
	s_mul_i32 s40, s37, s41
	s_add_co_ci_u32 s41, s31, 0
	s_wait_alu 0xfffe
	s_add_nc_u64 s[40:41], s[22:23], s[40:41]
	s_wait_alu 0xfffe
	s_add_co_u32 s36, s36, s40
	s_cselect_b32 s2, -1, 0
	s_wait_alu 0xfffe
	s_cmp_lg_u32 s2, 0
	s_add_co_ci_u32 s37, s37, s41
	s_wait_alu 0xfffe
	s_mul_u64 s[38:39], s[38:39], s[36:37]
	s_wait_alu 0xfffe
	s_mul_hi_u32 s41, s36, s39
	s_mul_i32 s40, s36, s39
	s_mul_hi_u32 s22, s36, s38
	s_mul_i32 s29, s37, s38
	s_wait_alu 0xfffe
	s_add_nc_u64 s[40:41], s[22:23], s[40:41]
	s_mul_hi_u32 s2, s37, s38
	s_mul_hi_u32 s31, s37, s39
	s_wait_alu 0xfffe
	s_add_co_u32 s22, s40, s29
	s_add_co_ci_u32 s22, s41, s2
	s_mul_i32 s38, s37, s39
	s_add_co_ci_u32 s39, s31, 0
	s_wait_alu 0xfffe
	s_add_nc_u64 s[38:39], s[22:23], s[38:39]
	s_wait_alu 0xfffe
	s_add_co_u32 s2, s36, s38
	s_cselect_b32 s22, -1, 0
	s_wait_alu 0xfffe
	v_mul_hi_u32 v13, v11, s2
	s_cmp_lg_u32 s22, 0
	v_mad_co_u64_u32 v[7:8], null, v12, s2, 0
	s_add_co_ci_u32 s22, s37, s39
	s_wait_alu 0xfffe
	v_mad_co_u64_u32 v[5:6], null, v11, s22, 0
	v_mad_co_u64_u32 v[9:10], null, v12, s22, 0
	s_delay_alu instid0(VALU_DEP_2) | instskip(SKIP_1) | instid1(VALU_DEP_3)
	v_add_co_u32 v5, vcc_lo, v13, v5
	s_wait_alu 0xfffd
	v_add_co_ci_u32_e64 v6, null, 0, v6, vcc_lo
	s_delay_alu instid0(VALU_DEP_2) | instskip(SKIP_1) | instid1(VALU_DEP_2)
	v_add_co_u32 v5, vcc_lo, v5, v7
	s_wait_alu 0xfffd
	v_add_co_ci_u32_e32 v5, vcc_lo, v6, v8, vcc_lo
	s_wait_alu 0xfffd
	v_add_co_ci_u32_e32 v6, vcc_lo, 0, v10, vcc_lo
	s_delay_alu instid0(VALU_DEP_2) | instskip(SKIP_1) | instid1(VALU_DEP_2)
	v_add_co_u32 v7, vcc_lo, v5, v9
	s_wait_alu 0xfffd
	v_add_co_ci_u32_e64 v8, null, 0, v6, vcc_lo
	s_delay_alu instid0(VALU_DEP_2) | instskip(SKIP_1) | instid1(VALU_DEP_3)
	v_mul_lo_u32 v9, s35, v7
	v_mad_co_u64_u32 v[5:6], null, s34, v7, 0
	v_mul_lo_u32 v10, s34, v8
	s_delay_alu instid0(VALU_DEP_2) | instskip(NEXT) | instid1(VALU_DEP_2)
	v_sub_co_u32 v5, vcc_lo, v11, v5
	v_add3_u32 v6, v6, v10, v9
	v_add_co_u32 v10, s2, v7, 2
	s_wait_alu 0xf1ff
	v_add_co_ci_u32_e64 v11, null, 0, v8, s2
	s_delay_alu instid0(VALU_DEP_3) | instskip(SKIP_3) | instid1(VALU_DEP_3)
	v_sub_nc_u32_e32 v9, v12, v6
	v_sub_co_u32 v13, s2, v5, s34
	s_wait_alu 0xfffd
	v_sub_co_ci_u32_e64 v6, null, v12, v6, vcc_lo
	v_subrev_co_ci_u32_e64 v9, null, s35, v9, vcc_lo
	s_delay_alu instid0(VALU_DEP_3) | instskip(SKIP_1) | instid1(VALU_DEP_2)
	v_cmp_le_u32_e32 vcc_lo, s34, v13
	s_wait_alu 0xf1ff
	v_subrev_co_ci_u32_e64 v9, null, 0, v9, s2
	s_wait_alu 0xfffd
	v_cndmask_b32_e64 v12, 0, -1, vcc_lo
	s_delay_alu instid0(VALU_DEP_2)
	v_cmp_le_u32_e32 vcc_lo, s35, v9
	s_wait_alu 0xfffd
	v_cndmask_b32_e64 v13, 0, -1, vcc_lo
	v_cmp_le_u32_e32 vcc_lo, s34, v5
	s_wait_alu 0xfffd
	v_cndmask_b32_e64 v5, 0, -1, vcc_lo
	;; [unrolled: 3-line block ×3, first 2 shown]
	v_cmp_eq_u32_e32 vcc_lo, s35, v9
	s_wait_alu 0xfffd
	v_cndmask_b32_e32 v9, v13, v12, vcc_lo
	v_add_co_u32 v12, vcc_lo, v7, 1
	s_wait_alu 0xfffd
	v_add_co_ci_u32_e64 v13, null, 0, v8, vcc_lo
	v_cmp_eq_u32_e32 vcc_lo, s35, v6
	s_wait_alu 0xfffd
	v_cndmask_b32_e32 v5, v14, v5, vcc_lo
	v_cmp_ne_u32_e32 vcc_lo, 0, v9
	s_wait_alu 0xfffd
	v_cndmask_b32_e32 v6, v13, v11, vcc_lo
	s_delay_alu instid0(VALU_DEP_3) | instskip(SKIP_2) | instid1(VALU_DEP_2)
	v_cmp_ne_u32_e64 s2, 0, v5
	v_cndmask_b32_e32 v5, v12, v10, vcc_lo
	s_wait_alu 0xf1ff
	v_cndmask_b32_e64 v6, v8, v6, s2
	s_delay_alu instid0(VALU_DEP_2) | instskip(NEXT) | instid1(VALU_DEP_2)
	v_cndmask_b32_e64 v5, v7, v5, s2
	v_xor_b32_e32 v6, v6, v3
	s_delay_alu instid0(VALU_DEP_2) | instskip(NEXT) | instid1(VALU_DEP_1)
	v_xor_b32_e32 v5, v5, v3
	v_sub_co_u32 v8, vcc_lo, v5, v3
	s_wait_alu 0xfffd
	s_delay_alu instid0(VALU_DEP_3)
	v_sub_co_ci_u32_e64 v9, null, v6, v3, vcc_lo
.LBB33_9:                               ;   in Loop: Header=BB33_3 Depth=1
	s_wait_alu 0xfffe
	s_and_not1_saveexec_b32 s2, s19
	s_cbranch_execz .LBB33_11
; %bb.10:                               ;   in Loop: Header=BB33_3 Depth=1
	s_sub_co_i32 s19, 0, s20
	v_mov_b32_e32 v9, v2
	s_wait_alu 0xfffe
	v_mul_lo_u32 v3, s19, v19
	s_delay_alu instid0(VALU_DEP_1) | instskip(NEXT) | instid1(VALU_DEP_1)
	v_mul_hi_u32 v3, v19, v3
	v_add_nc_u32_e32 v3, v19, v3
	s_delay_alu instid0(VALU_DEP_1) | instskip(NEXT) | instid1(VALU_DEP_1)
	v_mul_hi_u32 v3, v4, v3
	v_mul_lo_u32 v5, v3, s20
	v_add_nc_u32_e32 v6, 1, v3
	s_delay_alu instid0(VALU_DEP_2) | instskip(NEXT) | instid1(VALU_DEP_1)
	v_sub_nc_u32_e32 v5, v4, v5
	v_cmp_le_u32_e32 vcc_lo, s20, v5
	v_subrev_nc_u32_e32 v7, s20, v5
	s_wait_alu 0xfffd
	v_cndmask_b32_e32 v3, v3, v6, vcc_lo
	s_delay_alu instid0(VALU_DEP_1) | instskip(NEXT) | instid1(VALU_DEP_3)
	v_add_nc_u32_e32 v6, 1, v3
	v_cndmask_b32_e32 v5, v5, v7, vcc_lo
	s_delay_alu instid0(VALU_DEP_1) | instskip(SKIP_1) | instid1(VALU_DEP_3)
	v_cmp_le_u32_e32 vcc_lo, s20, v5
	s_wait_alu 0xfffd
	v_cndmask_b32_e32 v8, v3, v6, vcc_lo
.LBB33_11:                              ;   in Loop: Header=BB33_3 Depth=1
	s_wait_alu 0xfffe
	s_or_b32 exec_lo, exec_lo, s2
	v_mad_co_u64_u32 v[5:6], null, v4, s8, 0
	s_delay_alu instid0(VALU_DEP_2) | instskip(SKIP_3) | instid1(VALU_DEP_2)
	v_mad_co_u64_u32 v[6:7], null, v8, s20, 0
	s_and_not1_b32 vcc_lo, exec_lo, s49
	v_sub_co_u32 v20, null, v0, v5
	v_sub_co_u32 v21, null, v4, v6
	v_mul_lo_u32 v3, s24, v20
	v_mul_lo_u32 v5, s26, v20
	s_delay_alu instid0(VALU_DEP_2) | instskip(NEXT) | instid1(VALU_DEP_1)
	v_mad_co_u64_u32 v[6:7], null, s16, v21, v[3:4]
	v_mad_co_u64_u32 v[4:5], null, s18, v21, v[5:6]
	s_wait_alu 0xfffe
	s_cbranch_vccnz .LBB33_38
; %bb.12:                               ;   in Loop: Header=BB33_3 Depth=1
	s_mov_b32 s19, 1
	s_and_not1_b32 vcc_lo, exec_lo, s51
	s_mov_b32 s22, s33
	s_mov_b32 s2, s33
	s_wait_alu 0xfffe
	s_cbranch_vccz .LBB33_15
; %bb.13:                               ;   in Loop: Header=BB33_3 Depth=1
	s_and_b32 vcc_lo, exec_lo, s52
	s_mov_b32 s22, s2
	s_wait_alu 0xfffe
	s_cbranch_vccnz .LBB33_20
	s_branch .LBB33_38
.LBB33_14:                              ;   in Loop: Header=BB33_15 Depth=2
	s_wait_alu 0xfffe
	s_or_b32 exec_lo, exec_lo, s2
	s_add_nc_u64 s[36:37], s[0:1], s[36:37]
	s_clause 0x1
	s_load_b32 s2, s[34:35], 0x6c
	s_load_b32 s29, s[36:37], 0x6c
	v_mul_lo_u32 v3, v10, s30
	s_add_co_i32 s22, s22, -1
	s_delay_alu instid0(VALU_DEP_1) | instskip(SKIP_2) | instid1(VALU_DEP_2)
	v_sub_nc_u32_e32 v3, v8, v3
	v_dual_mov_b32 v8, v10 :: v_dual_mov_b32 v9, v11
	s_wait_kmcnt 0x0
	v_mad_co_u64_u32 v[6:7], null, s2, v3, v[6:7]
	v_mad_co_u64_u32 v[4:5], null, s29, v3, v[4:5]
	s_xor_b32 s2, s48, s19
	s_add_co_i32 s19, s19, 1
	s_wait_alu 0xfffe
	s_cmp_lg_u32 s2, 2
	s_cbranch_scc0 .LBB33_19
.LBB33_15:                              ;   Parent Loop BB33_3 Depth=1
                                        ; =>  This Inner Loop Header: Depth=2
	s_lshl_b64 s[36:37], s[22:23], 2
                                        ; implicit-def: $vgpr10_vgpr11
	s_mov_b32 s2, exec_lo
	s_wait_alu 0xfffe
	s_add_nc_u64 s[34:35], s[12:13], s[36:37]
	s_load_b32 s30, s[34:35], 0x8
	s_wait_kmcnt 0x0
	s_ashr_i32 s31, s30, 31
	s_wait_alu 0xfffe
	v_or_b32_e32 v3, s31, v9
	s_delay_alu instid0(VALU_DEP_1)
	v_cmpx_ne_u64_e32 0, v[2:3]
	s_xor_b32 s29, exec_lo, s2
	s_cbranch_execz .LBB33_17
; %bb.16:                               ;   in Loop: Header=BB33_15 Depth=2
	s_ashr_i32 s38, s31, 31
	s_mov_b32 s47, s23
	s_wait_alu 0xfffe
	s_mov_b32 s39, s38
	s_mov_b32 s57, s23
	s_wait_alu 0xfffe
	s_add_nc_u64 s[40:41], s[30:31], s[38:39]
	v_ashrrev_i32_e32 v3, 31, v9
	s_wait_alu 0xfffe
	s_xor_b64 s[40:41], s[40:41], s[38:39]
	s_wait_alu 0xfffe
	s_cvt_f32_u32 s2, s40
	s_cvt_f32_u32 s31, s41
	s_sub_nc_u64 s[44:45], 0, s[40:41]
	v_add_co_u32 v5, vcc_lo, v8, v3
	s_wait_alu 0xfffe
	s_fmamk_f32 s2, s31, 0x4f800000, s2
	s_wait_alu 0xfffd
	v_add_co_ci_u32_e64 v7, null, v9, v3, vcc_lo
	v_xor_b32_e32 v5, v5, v3
	s_wait_alu 0xfffe
	v_s_rcp_f32 s2, s2
	s_delay_alu instid0(VALU_DEP_2) | instskip(SKIP_1) | instid1(TRANS32_DEP_1)
	v_xor_b32_e32 v7, v7, v3
	v_xor_b32_e32 v3, s38, v3
	s_mul_f32 s2, s2, 0x5f7ffffc
	s_wait_alu 0xfffe
	s_delay_alu instid0(SALU_CYCLE_2) | instskip(SKIP_1) | instid1(SALU_CYCLE_2)
	s_mul_f32 s31, s2, 0x2f800000
	s_wait_alu 0xfffe
	s_trunc_f32 s31, s31
	s_wait_alu 0xfffe
	s_delay_alu instid0(SALU_CYCLE_2) | instskip(SKIP_2) | instid1(SALU_CYCLE_1)
	s_fmamk_f32 s2, s31, 0xcf800000, s2
	s_cvt_u32_f32 s43, s31
	s_wait_alu 0xfffe
	s_cvt_u32_f32 s42, s2
	s_wait_alu 0xfffe
	s_delay_alu instid0(SALU_CYCLE_2) | instskip(NEXT) | instid1(SALU_CYCLE_1)
	s_mul_u64 s[54:55], s[44:45], s[42:43]
	s_mul_hi_u32 s59, s42, s55
	s_mul_i32 s58, s42, s55
	s_mul_hi_u32 s46, s42, s54
	s_mul_i32 s31, s43, s54
	s_wait_alu 0xfffe
	s_add_nc_u64 s[46:47], s[46:47], s[58:59]
	s_mul_hi_u32 s2, s43, s54
	s_mul_hi_u32 s39, s43, s55
	s_wait_alu 0xfffe
	s_add_co_u32 s31, s46, s31
	s_add_co_ci_u32 s56, s47, s2
	s_mul_i32 s54, s43, s55
	s_add_co_ci_u32 s55, s39, 0
	s_delay_alu instid0(SALU_CYCLE_1)
	s_add_nc_u64 s[46:47], s[56:57], s[54:55]
	s_mov_b32 s55, s23
	s_wait_alu 0xfffe
	s_add_co_u32 s42, s42, s46
	s_cselect_b32 s2, -1, 0
	s_wait_alu 0xfffe
	s_cmp_lg_u32 s2, 0
	s_add_co_ci_u32 s43, s43, s47
	s_mov_b32 s47, s23
	s_wait_alu 0xfffe
	s_mul_u64 s[44:45], s[44:45], s[42:43]
	s_wait_alu 0xfffe
	s_mul_hi_u32 s57, s42, s45
	s_mul_i32 s56, s42, s45
	s_mul_hi_u32 s54, s42, s44
	s_mul_i32 s31, s43, s44
	s_add_nc_u64 s[54:55], s[54:55], s[56:57]
	s_mul_hi_u32 s2, s43, s44
	s_mul_hi_u32 s39, s43, s45
	s_wait_alu 0xfffe
	s_add_co_u32 s31, s54, s31
	s_add_co_ci_u32 s46, s55, s2
	s_mul_i32 s44, s43, s45
	s_add_co_ci_u32 s45, s39, 0
	s_wait_alu 0xfffe
	s_add_nc_u64 s[44:45], s[46:47], s[44:45]
	s_wait_alu 0xfffe
	s_add_co_u32 s2, s42, s44
	s_cselect_b32 s31, -1, 0
	s_wait_alu 0xfffe
	v_mul_hi_u32 v15, v5, s2
	s_cmp_lg_u32 s31, 0
	v_mad_co_u64_u32 v[11:12], null, v7, s2, 0
	s_add_co_ci_u32 s31, s43, s45
	s_wait_alu 0xfffe
	v_mad_co_u64_u32 v[9:10], null, v5, s31, 0
	v_mad_co_u64_u32 v[13:14], null, v7, s31, 0
	s_delay_alu instid0(VALU_DEP_2) | instskip(SKIP_1) | instid1(VALU_DEP_3)
	v_add_co_u32 v9, vcc_lo, v15, v9
	s_wait_alu 0xfffd
	v_add_co_ci_u32_e64 v10, null, 0, v10, vcc_lo
	s_delay_alu instid0(VALU_DEP_2) | instskip(SKIP_1) | instid1(VALU_DEP_2)
	v_add_co_u32 v9, vcc_lo, v9, v11
	s_wait_alu 0xfffd
	v_add_co_ci_u32_e32 v9, vcc_lo, v10, v12, vcc_lo
	s_wait_alu 0xfffd
	v_add_co_ci_u32_e32 v10, vcc_lo, 0, v14, vcc_lo
	s_delay_alu instid0(VALU_DEP_2) | instskip(SKIP_1) | instid1(VALU_DEP_2)
	v_add_co_u32 v11, vcc_lo, v9, v13
	s_wait_alu 0xfffd
	v_add_co_ci_u32_e64 v12, null, 0, v10, vcc_lo
	s_delay_alu instid0(VALU_DEP_2) | instskip(SKIP_1) | instid1(VALU_DEP_3)
	v_mul_lo_u32 v13, s41, v11
	v_mad_co_u64_u32 v[9:10], null, s40, v11, 0
	v_mul_lo_u32 v14, s40, v12
	s_delay_alu instid0(VALU_DEP_2) | instskip(NEXT) | instid1(VALU_DEP_2)
	v_sub_co_u32 v5, vcc_lo, v5, v9
	v_add3_u32 v10, v10, v14, v13
	s_delay_alu instid0(VALU_DEP_1) | instskip(SKIP_2) | instid1(VALU_DEP_2)
	v_sub_nc_u32_e32 v13, v7, v10
	s_wait_alu 0xfffd
	v_sub_co_ci_u32_e64 v7, null, v7, v10, vcc_lo
	v_subrev_co_ci_u32_e64 v9, null, s41, v13, vcc_lo
	v_add_co_u32 v13, s2, v11, 2
	s_wait_alu 0xf1ff
	v_add_co_ci_u32_e64 v14, null, 0, v12, s2
	v_sub_co_u32 v15, s2, v5, s40
	s_wait_alu 0xf1ff
	v_subrev_co_ci_u32_e64 v9, null, 0, v9, s2
	s_delay_alu instid0(VALU_DEP_2) | instskip(SKIP_2) | instid1(VALU_DEP_3)
	v_cmp_le_u32_e32 vcc_lo, s40, v15
	s_wait_alu 0xfffd
	v_cndmask_b32_e64 v10, 0, -1, vcc_lo
	v_cmp_le_u32_e32 vcc_lo, s41, v9
	s_wait_alu 0xfffd
	v_cndmask_b32_e64 v15, 0, -1, vcc_lo
	;; [unrolled: 3-line block ×4, first 2 shown]
	v_cmp_eq_u32_e32 vcc_lo, s41, v9
	s_wait_alu 0xfffd
	v_cndmask_b32_e32 v9, v15, v10, vcc_lo
	v_add_co_u32 v10, vcc_lo, v11, 1
	s_wait_alu 0xfffd
	v_add_co_ci_u32_e64 v15, null, 0, v12, vcc_lo
	v_cmp_eq_u32_e32 vcc_lo, s41, v7
	s_wait_alu 0xfffd
	v_cndmask_b32_e32 v5, v16, v5, vcc_lo
	v_cmp_ne_u32_e32 vcc_lo, 0, v9
	s_delay_alu instid0(VALU_DEP_2) | instskip(SKIP_4) | instid1(VALU_DEP_2)
	v_cmp_ne_u32_e64 s2, 0, v5
	s_wait_alu 0xfffd
	v_cndmask_b32_e32 v5, v10, v13, vcc_lo
	v_cndmask_b32_e32 v7, v15, v14, vcc_lo
	s_wait_alu 0xf1ff
	v_cndmask_b32_e64 v5, v11, v5, s2
	s_delay_alu instid0(VALU_DEP_2) | instskip(NEXT) | instid1(VALU_DEP_2)
	v_cndmask_b32_e64 v7, v12, v7, s2
	v_xor_b32_e32 v5, v5, v3
	s_delay_alu instid0(VALU_DEP_2) | instskip(NEXT) | instid1(VALU_DEP_2)
	v_xor_b32_e32 v7, v7, v3
	v_sub_co_u32 v10, vcc_lo, v5, v3
	s_wait_alu 0xfffd
	s_delay_alu instid0(VALU_DEP_2)
	v_sub_co_ci_u32_e64 v11, null, v7, v3, vcc_lo
.LBB33_17:                              ;   in Loop: Header=BB33_15 Depth=2
	s_wait_alu 0xfffe
	s_and_not1_saveexec_b32 s2, s29
	s_cbranch_execz .LBB33_14
; %bb.18:                               ;   in Loop: Header=BB33_15 Depth=2
	v_cvt_f32_u32_e32 v3, s30
	s_sub_co_i32 s29, 0, s30
	v_mov_b32_e32 v11, v2
	s_delay_alu instid0(VALU_DEP_2) | instskip(NEXT) | instid1(TRANS32_DEP_1)
	v_rcp_iflag_f32_e32 v3, v3
	v_mul_f32_e32 v3, 0x4f7ffffe, v3
	s_delay_alu instid0(VALU_DEP_1) | instskip(SKIP_1) | instid1(VALU_DEP_1)
	v_cvt_u32_f32_e32 v3, v3
	s_wait_alu 0xfffe
	v_mul_lo_u32 v5, s29, v3
	s_delay_alu instid0(VALU_DEP_1) | instskip(NEXT) | instid1(VALU_DEP_1)
	v_mul_hi_u32 v5, v3, v5
	v_add_nc_u32_e32 v3, v3, v5
	s_delay_alu instid0(VALU_DEP_1) | instskip(NEXT) | instid1(VALU_DEP_1)
	v_mul_hi_u32 v3, v8, v3
	v_mul_lo_u32 v5, v3, s30
	v_add_nc_u32_e32 v7, 1, v3
	s_delay_alu instid0(VALU_DEP_2) | instskip(NEXT) | instid1(VALU_DEP_1)
	v_sub_nc_u32_e32 v5, v8, v5
	v_cmp_le_u32_e32 vcc_lo, s30, v5
	v_subrev_nc_u32_e32 v9, s30, v5
	s_wait_alu 0xfffd
	v_cndmask_b32_e32 v3, v3, v7, vcc_lo
	s_delay_alu instid0(VALU_DEP_1) | instskip(NEXT) | instid1(VALU_DEP_3)
	v_add_nc_u32_e32 v7, 1, v3
	v_cndmask_b32_e32 v5, v5, v9, vcc_lo
	s_delay_alu instid0(VALU_DEP_1) | instskip(SKIP_1) | instid1(VALU_DEP_3)
	v_cmp_le_u32_e32 vcc_lo, s30, v5
	s_wait_alu 0xfffd
	v_cndmask_b32_e32 v10, v3, v7, vcc_lo
	s_branch .LBB33_14
.LBB33_19:                              ;   in Loop: Header=BB33_3 Depth=1
	s_mov_b32 s2, s22
	s_and_b32 vcc_lo, exec_lo, s52
	s_wait_alu 0xfffe
	s_mov_b32 s22, s2
	s_cbranch_vccz .LBB33_38
.LBB33_20:                              ;   Parent Loop BB33_3 Depth=1
                                        ; =>  This Inner Loop Header: Depth=2
	s_wait_alu 0xfffe
	s_lshl_b64 s[42:43], s[22:23], 2
                                        ; implicit-def: $vgpr10_vgpr11
	s_mov_b32 s2, exec_lo
	s_wait_alu 0xfffe
	s_add_nc_u64 s[36:37], s[12:13], s[42:43]
	s_load_b32 s30, s[36:37], 0x8
	s_wait_kmcnt 0x0
	s_ashr_i32 s31, s30, 31
	s_wait_alu 0xfffe
	v_or_b32_e32 v3, s31, v9
	s_delay_alu instid0(VALU_DEP_1)
	v_cmpx_ne_u64_e32 0, v[2:3]
	s_xor_b32 s19, exec_lo, s2
	s_cbranch_execz .LBB33_22
; %bb.21:                               ;   in Loop: Header=BB33_20 Depth=2
	s_ashr_i32 s34, s31, 31
	s_mov_b32 s47, s23
	s_wait_alu 0xfffe
	s_mov_b32 s35, s34
	s_mov_b32 s57, s23
	s_wait_alu 0xfffe
	s_add_nc_u64 s[38:39], s[30:31], s[34:35]
	v_ashrrev_i32_e32 v3, 31, v9
	s_wait_alu 0xfffe
	s_xor_b64 s[38:39], s[38:39], s[34:35]
	s_wait_alu 0xfffe
	s_cvt_f32_u32 s2, s38
	s_cvt_f32_u32 s29, s39
	s_sub_nc_u64 s[44:45], 0, s[38:39]
	v_add_co_u32 v5, vcc_lo, v8, v3
	s_wait_alu 0xfffe
	s_fmamk_f32 s2, s29, 0x4f800000, s2
	s_wait_alu 0xfffd
	v_add_co_ci_u32_e64 v7, null, v9, v3, vcc_lo
	v_xor_b32_e32 v5, v5, v3
	s_wait_alu 0xfffe
	v_s_rcp_f32 s2, s2
	s_delay_alu instid0(VALU_DEP_2) | instskip(SKIP_1) | instid1(TRANS32_DEP_1)
	v_xor_b32_e32 v7, v7, v3
	v_xor_b32_e32 v3, s34, v3
	s_mul_f32 s2, s2, 0x5f7ffffc
	s_wait_alu 0xfffe
	s_delay_alu instid0(SALU_CYCLE_2) | instskip(SKIP_1) | instid1(SALU_CYCLE_2)
	s_mul_f32 s29, s2, 0x2f800000
	s_wait_alu 0xfffe
	s_trunc_f32 s29, s29
	s_wait_alu 0xfffe
	s_delay_alu instid0(SALU_CYCLE_2) | instskip(SKIP_2) | instid1(SALU_CYCLE_1)
	s_fmamk_f32 s2, s29, 0xcf800000, s2
	s_cvt_u32_f32 s41, s29
	s_wait_alu 0xfffe
	s_cvt_u32_f32 s40, s2
	s_wait_alu 0xfffe
	s_delay_alu instid0(SALU_CYCLE_2) | instskip(NEXT) | instid1(SALU_CYCLE_1)
	s_mul_u64 s[54:55], s[44:45], s[40:41]
	s_mul_hi_u32 s59, s40, s55
	s_mul_i32 s58, s40, s55
	s_mul_hi_u32 s46, s40, s54
	s_mul_i32 s29, s41, s54
	s_wait_alu 0xfffe
	s_add_nc_u64 s[46:47], s[46:47], s[58:59]
	s_mul_hi_u32 s2, s41, s54
	s_mul_hi_u32 s31, s41, s55
	s_wait_alu 0xfffe
	s_add_co_u32 s29, s46, s29
	s_add_co_ci_u32 s56, s47, s2
	s_mul_i32 s54, s41, s55
	s_add_co_ci_u32 s55, s31, 0
	s_delay_alu instid0(SALU_CYCLE_1)
	s_add_nc_u64 s[46:47], s[56:57], s[54:55]
	s_mov_b32 s55, s23
	s_wait_alu 0xfffe
	s_add_co_u32 s40, s40, s46
	s_cselect_b32 s2, -1, 0
	s_wait_alu 0xfffe
	s_cmp_lg_u32 s2, 0
	s_add_co_ci_u32 s41, s41, s47
	s_mov_b32 s47, s23
	s_wait_alu 0xfffe
	s_mul_u64 s[44:45], s[44:45], s[40:41]
	s_wait_alu 0xfffe
	s_mul_hi_u32 s57, s40, s45
	s_mul_i32 s56, s40, s45
	s_mul_hi_u32 s54, s40, s44
	s_mul_i32 s29, s41, s44
	s_add_nc_u64 s[54:55], s[54:55], s[56:57]
	s_mul_hi_u32 s2, s41, s44
	s_mul_hi_u32 s31, s41, s45
	s_wait_alu 0xfffe
	s_add_co_u32 s29, s54, s29
	s_add_co_ci_u32 s46, s55, s2
	s_mul_i32 s44, s41, s45
	s_add_co_ci_u32 s45, s31, 0
	s_wait_alu 0xfffe
	s_add_nc_u64 s[44:45], s[46:47], s[44:45]
	s_wait_alu 0xfffe
	s_add_co_u32 s2, s40, s44
	s_cselect_b32 s29, -1, 0
	s_wait_alu 0xfffe
	v_mul_hi_u32 v15, v5, s2
	s_cmp_lg_u32 s29, 0
	v_mad_co_u64_u32 v[11:12], null, v7, s2, 0
	s_add_co_ci_u32 s29, s41, s45
	s_wait_alu 0xfffe
	v_mad_co_u64_u32 v[9:10], null, v5, s29, 0
	v_mad_co_u64_u32 v[13:14], null, v7, s29, 0
	s_delay_alu instid0(VALU_DEP_2) | instskip(SKIP_1) | instid1(VALU_DEP_3)
	v_add_co_u32 v9, vcc_lo, v15, v9
	s_wait_alu 0xfffd
	v_add_co_ci_u32_e64 v10, null, 0, v10, vcc_lo
	s_delay_alu instid0(VALU_DEP_2) | instskip(SKIP_1) | instid1(VALU_DEP_2)
	v_add_co_u32 v9, vcc_lo, v9, v11
	s_wait_alu 0xfffd
	v_add_co_ci_u32_e32 v9, vcc_lo, v10, v12, vcc_lo
	s_wait_alu 0xfffd
	v_add_co_ci_u32_e32 v10, vcc_lo, 0, v14, vcc_lo
	s_delay_alu instid0(VALU_DEP_2) | instskip(SKIP_1) | instid1(VALU_DEP_2)
	v_add_co_u32 v11, vcc_lo, v9, v13
	s_wait_alu 0xfffd
	v_add_co_ci_u32_e64 v12, null, 0, v10, vcc_lo
	s_delay_alu instid0(VALU_DEP_2) | instskip(SKIP_1) | instid1(VALU_DEP_3)
	v_mul_lo_u32 v13, s39, v11
	v_mad_co_u64_u32 v[9:10], null, s38, v11, 0
	v_mul_lo_u32 v14, s38, v12
	s_delay_alu instid0(VALU_DEP_2) | instskip(NEXT) | instid1(VALU_DEP_2)
	v_sub_co_u32 v5, vcc_lo, v5, v9
	v_add3_u32 v10, v10, v14, v13
	s_delay_alu instid0(VALU_DEP_1) | instskip(SKIP_2) | instid1(VALU_DEP_2)
	v_sub_nc_u32_e32 v13, v7, v10
	s_wait_alu 0xfffd
	v_sub_co_ci_u32_e64 v7, null, v7, v10, vcc_lo
	v_subrev_co_ci_u32_e64 v9, null, s39, v13, vcc_lo
	v_add_co_u32 v13, s2, v11, 2
	s_wait_alu 0xf1ff
	v_add_co_ci_u32_e64 v14, null, 0, v12, s2
	v_sub_co_u32 v15, s2, v5, s38
	s_wait_alu 0xf1ff
	v_subrev_co_ci_u32_e64 v9, null, 0, v9, s2
	s_delay_alu instid0(VALU_DEP_2) | instskip(SKIP_2) | instid1(VALU_DEP_3)
	v_cmp_le_u32_e32 vcc_lo, s38, v15
	s_wait_alu 0xfffd
	v_cndmask_b32_e64 v10, 0, -1, vcc_lo
	v_cmp_le_u32_e32 vcc_lo, s39, v9
	s_wait_alu 0xfffd
	v_cndmask_b32_e64 v15, 0, -1, vcc_lo
	;; [unrolled: 3-line block ×4, first 2 shown]
	v_cmp_eq_u32_e32 vcc_lo, s39, v9
	s_wait_alu 0xfffd
	v_cndmask_b32_e32 v9, v15, v10, vcc_lo
	v_add_co_u32 v10, vcc_lo, v11, 1
	s_wait_alu 0xfffd
	v_add_co_ci_u32_e64 v15, null, 0, v12, vcc_lo
	v_cmp_eq_u32_e32 vcc_lo, s39, v7
	s_wait_alu 0xfffd
	v_cndmask_b32_e32 v5, v16, v5, vcc_lo
	v_cmp_ne_u32_e32 vcc_lo, 0, v9
	s_delay_alu instid0(VALU_DEP_2) | instskip(SKIP_4) | instid1(VALU_DEP_2)
	v_cmp_ne_u32_e64 s2, 0, v5
	s_wait_alu 0xfffd
	v_cndmask_b32_e32 v5, v10, v13, vcc_lo
	v_cndmask_b32_e32 v7, v15, v14, vcc_lo
	s_wait_alu 0xf1ff
	v_cndmask_b32_e64 v5, v11, v5, s2
	s_delay_alu instid0(VALU_DEP_2) | instskip(NEXT) | instid1(VALU_DEP_2)
	v_cndmask_b32_e64 v7, v12, v7, s2
	v_xor_b32_e32 v5, v5, v3
	s_delay_alu instid0(VALU_DEP_2) | instskip(NEXT) | instid1(VALU_DEP_2)
	v_xor_b32_e32 v7, v7, v3
	v_sub_co_u32 v10, vcc_lo, v5, v3
	s_wait_alu 0xfffd
	s_delay_alu instid0(VALU_DEP_2)
	v_sub_co_ci_u32_e64 v11, null, v7, v3, vcc_lo
.LBB33_22:                              ;   in Loop: Header=BB33_20 Depth=2
	s_wait_alu 0xfffe
	s_and_not1_saveexec_b32 s2, s19
	s_cbranch_execz .LBB33_24
; %bb.23:                               ;   in Loop: Header=BB33_20 Depth=2
	v_cvt_f32_u32_e32 v3, s30
	s_sub_co_i32 s19, 0, s30
	v_mov_b32_e32 v11, v2
	s_delay_alu instid0(VALU_DEP_2) | instskip(NEXT) | instid1(TRANS32_DEP_1)
	v_rcp_iflag_f32_e32 v3, v3
	v_mul_f32_e32 v3, 0x4f7ffffe, v3
	s_delay_alu instid0(VALU_DEP_1) | instskip(SKIP_1) | instid1(VALU_DEP_1)
	v_cvt_u32_f32_e32 v3, v3
	s_wait_alu 0xfffe
	v_mul_lo_u32 v5, s19, v3
	s_delay_alu instid0(VALU_DEP_1) | instskip(NEXT) | instid1(VALU_DEP_1)
	v_mul_hi_u32 v5, v3, v5
	v_add_nc_u32_e32 v3, v3, v5
	s_delay_alu instid0(VALU_DEP_1) | instskip(NEXT) | instid1(VALU_DEP_1)
	v_mul_hi_u32 v3, v8, v3
	v_mul_lo_u32 v5, v3, s30
	v_add_nc_u32_e32 v7, 1, v3
	s_delay_alu instid0(VALU_DEP_2) | instskip(NEXT) | instid1(VALU_DEP_1)
	v_sub_nc_u32_e32 v5, v8, v5
	v_cmp_le_u32_e32 vcc_lo, s30, v5
	v_subrev_nc_u32_e32 v9, s30, v5
	s_wait_alu 0xfffd
	v_cndmask_b32_e32 v3, v3, v7, vcc_lo
	s_delay_alu instid0(VALU_DEP_1) | instskip(NEXT) | instid1(VALU_DEP_3)
	v_add_nc_u32_e32 v7, 1, v3
	v_cndmask_b32_e32 v5, v5, v9, vcc_lo
	s_delay_alu instid0(VALU_DEP_1) | instskip(SKIP_1) | instid1(VALU_DEP_3)
	v_cmp_le_u32_e32 vcc_lo, s30, v5
	s_wait_alu 0xfffd
	v_cndmask_b32_e32 v10, v3, v7, vcc_lo
.LBB33_24:                              ;   in Loop: Header=BB33_20 Depth=2
	s_wait_alu 0xfffe
	s_or_b32 exec_lo, exec_lo, s2
	s_add_co_i32 s34, s22, -1
	s_mov_b32 s35, s23
	s_add_nc_u64 s[42:43], s[0:1], s[42:43]
	s_wait_alu 0xfffe
	s_lshl_b64 s[40:41], s[34:35], 2
                                        ; implicit-def: $vgpr12_vgpr13
	s_mov_b32 s2, exec_lo
	s_wait_alu 0xfffe
	s_add_nc_u64 s[38:39], s[12:13], s[40:41]
	s_clause 0x2
	s_load_b32 s34, s[38:39], 0x8
	s_load_b32 s19, s[36:37], 0x6c
	;; [unrolled: 1-line block ×3, first 2 shown]
	s_wait_kmcnt 0x0
	s_ashr_i32 s35, s34, 31
	s_wait_alu 0xfffe
	v_or_b32_e32 v3, s35, v11
	s_delay_alu instid0(VALU_DEP_1)
	v_cmpx_ne_u64_e32 0, v[2:3]
	s_xor_b32 s31, exec_lo, s2
	s_cbranch_execz .LBB33_26
; %bb.25:                               ;   in Loop: Header=BB33_20 Depth=2
	s_ashr_i32 s36, s35, 31
	s_mov_b32 s55, s23
	s_wait_alu 0xfffe
	s_mov_b32 s37, s36
	s_mov_b32 s59, s23
	s_wait_alu 0xfffe
	s_add_nc_u64 s[42:43], s[34:35], s[36:37]
	v_ashrrev_i32_e32 v3, 31, v11
	s_wait_alu 0xfffe
	s_xor_b64 s[42:43], s[42:43], s[36:37]
	s_wait_alu 0xfffe
	s_cvt_f32_u32 s2, s42
	s_cvt_f32_u32 s35, s43
	s_sub_nc_u64 s[46:47], 0, s[42:43]
	v_add_co_u32 v5, vcc_lo, v10, v3
	s_wait_alu 0xfffe
	s_fmamk_f32 s2, s35, 0x4f800000, s2
	s_wait_alu 0xfffd
	v_add_co_ci_u32_e64 v7, null, v11, v3, vcc_lo
	v_xor_b32_e32 v5, v5, v3
	s_wait_alu 0xfffe
	v_s_rcp_f32 s2, s2
	s_delay_alu instid0(VALU_DEP_2) | instskip(SKIP_1) | instid1(TRANS32_DEP_1)
	v_xor_b32_e32 v7, v7, v3
	v_xor_b32_e32 v3, s36, v3
	s_mul_f32 s2, s2, 0x5f7ffffc
	s_wait_alu 0xfffe
	s_delay_alu instid0(SALU_CYCLE_2) | instskip(SKIP_1) | instid1(SALU_CYCLE_2)
	s_mul_f32 s35, s2, 0x2f800000
	s_wait_alu 0xfffe
	s_trunc_f32 s35, s35
	s_wait_alu 0xfffe
	s_delay_alu instid0(SALU_CYCLE_2) | instskip(SKIP_2) | instid1(SALU_CYCLE_1)
	s_fmamk_f32 s2, s35, 0xcf800000, s2
	s_cvt_u32_f32 s45, s35
	s_wait_alu 0xfffe
	s_cvt_u32_f32 s44, s2
	s_wait_alu 0xfffe
	s_delay_alu instid0(SALU_CYCLE_2) | instskip(NEXT) | instid1(SALU_CYCLE_1)
	s_mul_u64 s[56:57], s[46:47], s[44:45]
	s_mul_hi_u32 s61, s44, s57
	s_mul_i32 s60, s44, s57
	s_mul_hi_u32 s54, s44, s56
	s_mul_i32 s35, s45, s56
	s_add_nc_u64 s[54:55], s[54:55], s[60:61]
	s_mul_hi_u32 s2, s45, s56
	s_mul_hi_u32 s37, s45, s57
	s_wait_alu 0xfffe
	s_add_co_u32 s35, s54, s35
	s_add_co_ci_u32 s58, s55, s2
	s_mul_i32 s56, s45, s57
	s_add_co_ci_u32 s57, s37, 0
	s_delay_alu instid0(SALU_CYCLE_1)
	s_add_nc_u64 s[54:55], s[58:59], s[56:57]
	s_mov_b32 s57, s23
	s_add_co_u32 s44, s44, s54
	s_cselect_b32 s2, -1, 0
	s_wait_alu 0xfffe
	s_cmp_lg_u32 s2, 0
	s_add_co_ci_u32 s45, s45, s55
	s_mov_b32 s55, s23
	s_wait_alu 0xfffe
	s_mul_u64 s[46:47], s[46:47], s[44:45]
	s_wait_alu 0xfffe
	s_mul_hi_u32 s59, s44, s47
	s_mul_i32 s58, s44, s47
	s_mul_hi_u32 s56, s44, s46
	s_mul_i32 s35, s45, s46
	s_add_nc_u64 s[56:57], s[56:57], s[58:59]
	s_mul_hi_u32 s2, s45, s46
	s_mul_hi_u32 s37, s45, s47
	s_wait_alu 0xfffe
	s_add_co_u32 s35, s56, s35
	s_add_co_ci_u32 s54, s57, s2
	s_mul_i32 s46, s45, s47
	s_add_co_ci_u32 s47, s37, 0
	s_wait_alu 0xfffe
	s_add_nc_u64 s[46:47], s[54:55], s[46:47]
	s_wait_alu 0xfffe
	s_add_co_u32 s2, s44, s46
	s_cselect_b32 s35, -1, 0
	s_wait_alu 0xfffe
	v_mul_hi_u32 v9, v5, s2
	s_cmp_lg_u32 s35, 0
	v_mad_co_u64_u32 v[13:14], null, v7, s2, 0
	s_add_co_ci_u32 s35, s45, s47
	s_wait_alu 0xfffe
	v_mad_co_u64_u32 v[11:12], null, v5, s35, 0
	v_mad_co_u64_u32 v[15:16], null, v7, s35, 0
	s_delay_alu instid0(VALU_DEP_2) | instskip(SKIP_1) | instid1(VALU_DEP_3)
	v_add_co_u32 v9, vcc_lo, v9, v11
	s_wait_alu 0xfffd
	v_add_co_ci_u32_e64 v11, null, 0, v12, vcc_lo
	s_delay_alu instid0(VALU_DEP_2) | instskip(SKIP_1) | instid1(VALU_DEP_2)
	v_add_co_u32 v9, vcc_lo, v9, v13
	s_wait_alu 0xfffd
	v_add_co_ci_u32_e32 v9, vcc_lo, v11, v14, vcc_lo
	s_wait_alu 0xfffd
	v_add_co_ci_u32_e32 v11, vcc_lo, 0, v16, vcc_lo
	s_delay_alu instid0(VALU_DEP_2) | instskip(SKIP_1) | instid1(VALU_DEP_2)
	v_add_co_u32 v9, vcc_lo, v9, v15
	s_wait_alu 0xfffd
	v_add_co_ci_u32_e64 v13, null, 0, v11, vcc_lo
	s_delay_alu instid0(VALU_DEP_2) | instskip(SKIP_1) | instid1(VALU_DEP_3)
	v_mul_lo_u32 v14, s43, v9
	v_mad_co_u64_u32 v[11:12], null, s42, v9, 0
	v_mul_lo_u32 v15, s42, v13
	s_delay_alu instid0(VALU_DEP_2) | instskip(NEXT) | instid1(VALU_DEP_2)
	v_sub_co_u32 v5, vcc_lo, v5, v11
	v_add3_u32 v12, v12, v15, v14
	s_delay_alu instid0(VALU_DEP_1) | instskip(SKIP_2) | instid1(VALU_DEP_2)
	v_sub_nc_u32_e32 v14, v7, v12
	s_wait_alu 0xfffd
	v_sub_co_ci_u32_e64 v7, null, v7, v12, vcc_lo
	v_subrev_co_ci_u32_e64 v11, null, s43, v14, vcc_lo
	v_add_co_u32 v14, s2, v9, 2
	s_wait_alu 0xf1ff
	v_add_co_ci_u32_e64 v15, null, 0, v13, s2
	v_sub_co_u32 v16, s2, v5, s42
	s_wait_alu 0xf1ff
	v_subrev_co_ci_u32_e64 v11, null, 0, v11, s2
	s_delay_alu instid0(VALU_DEP_2) | instskip(SKIP_2) | instid1(VALU_DEP_3)
	v_cmp_le_u32_e32 vcc_lo, s42, v16
	s_wait_alu 0xfffd
	v_cndmask_b32_e64 v12, 0, -1, vcc_lo
	v_cmp_le_u32_e32 vcc_lo, s43, v11
	s_wait_alu 0xfffd
	v_cndmask_b32_e64 v16, 0, -1, vcc_lo
	;; [unrolled: 3-line block ×4, first 2 shown]
	v_cmp_eq_u32_e32 vcc_lo, s43, v11
	s_wait_alu 0xfffd
	v_cndmask_b32_e32 v11, v16, v12, vcc_lo
	v_add_co_u32 v12, vcc_lo, v9, 1
	s_wait_alu 0xfffd
	v_add_co_ci_u32_e64 v16, null, 0, v13, vcc_lo
	v_cmp_eq_u32_e32 vcc_lo, s43, v7
	s_wait_alu 0xfffd
	v_cndmask_b32_e32 v5, v17, v5, vcc_lo
	v_cmp_ne_u32_e32 vcc_lo, 0, v11
	s_delay_alu instid0(VALU_DEP_2) | instskip(SKIP_4) | instid1(VALU_DEP_2)
	v_cmp_ne_u32_e64 s2, 0, v5
	s_wait_alu 0xfffd
	v_cndmask_b32_e32 v5, v12, v14, vcc_lo
	v_cndmask_b32_e32 v7, v16, v15, vcc_lo
	s_wait_alu 0xf1ff
	v_cndmask_b32_e64 v5, v9, v5, s2
	s_delay_alu instid0(VALU_DEP_2) | instskip(NEXT) | instid1(VALU_DEP_2)
	v_cndmask_b32_e64 v7, v13, v7, s2
	v_xor_b32_e32 v5, v5, v3
	s_delay_alu instid0(VALU_DEP_2) | instskip(NEXT) | instid1(VALU_DEP_2)
	v_xor_b32_e32 v7, v7, v3
	v_sub_co_u32 v12, vcc_lo, v5, v3
	s_wait_alu 0xfffd
	s_delay_alu instid0(VALU_DEP_2)
	v_sub_co_ci_u32_e64 v13, null, v7, v3, vcc_lo
.LBB33_26:                              ;   in Loop: Header=BB33_20 Depth=2
	s_wait_alu 0xfffe
	s_and_not1_saveexec_b32 s2, s31
	s_cbranch_execz .LBB33_28
; %bb.27:                               ;   in Loop: Header=BB33_20 Depth=2
	v_cvt_f32_u32_e32 v3, s34
	s_sub_co_i32 s31, 0, s34
	v_mov_b32_e32 v13, v2
	s_delay_alu instid0(VALU_DEP_2) | instskip(NEXT) | instid1(TRANS32_DEP_1)
	v_rcp_iflag_f32_e32 v3, v3
	v_mul_f32_e32 v3, 0x4f7ffffe, v3
	s_delay_alu instid0(VALU_DEP_1) | instskip(SKIP_1) | instid1(VALU_DEP_1)
	v_cvt_u32_f32_e32 v3, v3
	s_wait_alu 0xfffe
	v_mul_lo_u32 v5, s31, v3
	s_delay_alu instid0(VALU_DEP_1) | instskip(NEXT) | instid1(VALU_DEP_1)
	v_mul_hi_u32 v5, v3, v5
	v_add_nc_u32_e32 v3, v3, v5
	s_delay_alu instid0(VALU_DEP_1) | instskip(NEXT) | instid1(VALU_DEP_1)
	v_mul_hi_u32 v3, v10, v3
	v_mul_lo_u32 v5, v3, s34
	v_add_nc_u32_e32 v7, 1, v3
	s_delay_alu instid0(VALU_DEP_2) | instskip(NEXT) | instid1(VALU_DEP_1)
	v_sub_nc_u32_e32 v5, v10, v5
	v_cmp_le_u32_e32 vcc_lo, s34, v5
	v_subrev_nc_u32_e32 v9, s34, v5
	s_wait_alu 0xfffd
	v_cndmask_b32_e32 v3, v3, v7, vcc_lo
	s_delay_alu instid0(VALU_DEP_1) | instskip(NEXT) | instid1(VALU_DEP_3)
	v_add_nc_u32_e32 v7, 1, v3
	v_cndmask_b32_e32 v5, v5, v9, vcc_lo
	s_delay_alu instid0(VALU_DEP_1) | instskip(SKIP_1) | instid1(VALU_DEP_3)
	v_cmp_le_u32_e32 vcc_lo, s34, v5
	s_wait_alu 0xfffd
	v_cndmask_b32_e32 v12, v3, v7, vcc_lo
.LBB33_28:                              ;   in Loop: Header=BB33_20 Depth=2
	s_wait_alu 0xfffe
	s_or_b32 exec_lo, exec_lo, s2
	s_add_co_i32 s36, s22, -2
	s_mov_b32 s37, s23
	s_add_nc_u64 s[40:41], s[0:1], s[40:41]
	s_wait_alu 0xfffe
	s_lshl_b64 s[46:47], s[36:37], 2
                                        ; implicit-def: $vgpr14_vgpr15
	s_mov_b32 s2, exec_lo
	s_wait_alu 0xfffe
	s_add_nc_u64 s[44:45], s[12:13], s[46:47]
	s_clause 0x2
	s_load_b32 s36, s[44:45], 0x8
	s_load_b32 s31, s[38:39], 0x6c
	;; [unrolled: 1-line block ×3, first 2 shown]
	s_wait_kmcnt 0x0
	s_ashr_i32 s37, s36, 31
	s_wait_alu 0xfffe
	v_or_b32_e32 v3, s37, v13
	s_delay_alu instid0(VALU_DEP_1)
	v_cmpx_ne_u64_e32 0, v[2:3]
	s_xor_b32 s42, exec_lo, s2
	s_cbranch_execz .LBB33_30
; %bb.29:                               ;   in Loop: Header=BB33_20 Depth=2
	s_ashr_i32 s38, s37, 31
	s_mov_b32 s59, s23
	s_wait_alu 0xfffe
	s_mov_b32 s39, s38
	s_mov_b32 s63, s23
	s_wait_alu 0xfffe
	s_add_nc_u64 s[40:41], s[36:37], s[38:39]
	v_ashrrev_i32_e32 v3, 31, v13
	s_wait_alu 0xfffe
	s_xor_b64 s[40:41], s[40:41], s[38:39]
	s_wait_alu 0xfffe
	s_cvt_f32_u32 s2, s40
	s_cvt_f32_u32 s37, s41
	s_sub_nc_u64 s[56:57], 0, s[40:41]
	v_add_co_u32 v5, vcc_lo, v12, v3
	s_wait_alu 0xfffe
	s_fmamk_f32 s2, s37, 0x4f800000, s2
	s_wait_alu 0xfffd
	v_add_co_ci_u32_e64 v7, null, v13, v3, vcc_lo
	v_xor_b32_e32 v5, v5, v3
	s_wait_alu 0xfffe
	v_s_rcp_f32 s2, s2
	s_delay_alu instid0(VALU_DEP_2) | instskip(SKIP_1) | instid1(TRANS32_DEP_1)
	v_xor_b32_e32 v7, v7, v3
	v_xor_b32_e32 v3, s38, v3
	s_mul_f32 s2, s2, 0x5f7ffffc
	s_wait_alu 0xfffe
	s_delay_alu instid0(SALU_CYCLE_2) | instskip(SKIP_1) | instid1(SALU_CYCLE_2)
	s_mul_f32 s37, s2, 0x2f800000
	s_wait_alu 0xfffe
	s_trunc_f32 s37, s37
	s_wait_alu 0xfffe
	s_delay_alu instid0(SALU_CYCLE_2) | instskip(SKIP_2) | instid1(SALU_CYCLE_1)
	s_fmamk_f32 s2, s37, 0xcf800000, s2
	s_cvt_u32_f32 s55, s37
	s_wait_alu 0xfffe
	s_cvt_u32_f32 s54, s2
	s_delay_alu instid0(SALU_CYCLE_3) | instskip(NEXT) | instid1(SALU_CYCLE_1)
	s_mul_u64 s[60:61], s[56:57], s[54:55]
	s_mul_hi_u32 s65, s54, s61
	s_mul_i32 s64, s54, s61
	s_mul_hi_u32 s58, s54, s60
	s_mul_i32 s37, s55, s60
	s_add_nc_u64 s[58:59], s[58:59], s[64:65]
	s_mul_hi_u32 s2, s55, s60
	s_mul_hi_u32 s39, s55, s61
	s_wait_alu 0xfffe
	s_add_co_u32 s37, s58, s37
	s_add_co_ci_u32 s62, s59, s2
	s_mul_i32 s60, s55, s61
	s_add_co_ci_u32 s61, s39, 0
	s_delay_alu instid0(SALU_CYCLE_1)
	s_add_nc_u64 s[58:59], s[62:63], s[60:61]
	s_mov_b32 s61, s23
	s_add_co_u32 s54, s54, s58
	s_cselect_b32 s2, -1, 0
	s_wait_alu 0xfffe
	s_cmp_lg_u32 s2, 0
	s_add_co_ci_u32 s55, s55, s59
	s_mov_b32 s59, s23
	s_mul_u64 s[56:57], s[56:57], s[54:55]
	s_delay_alu instid0(SALU_CYCLE_1)
	s_mul_hi_u32 s63, s54, s57
	s_mul_i32 s62, s54, s57
	s_mul_hi_u32 s60, s54, s56
	s_mul_i32 s37, s55, s56
	s_add_nc_u64 s[60:61], s[60:61], s[62:63]
	s_mul_hi_u32 s2, s55, s56
	s_mul_hi_u32 s39, s55, s57
	s_wait_alu 0xfffe
	s_add_co_u32 s37, s60, s37
	s_add_co_ci_u32 s58, s61, s2
	s_mul_i32 s56, s55, s57
	s_add_co_ci_u32 s57, s39, 0
	s_delay_alu instid0(SALU_CYCLE_1) | instskip(NEXT) | instid1(SALU_CYCLE_1)
	s_add_nc_u64 s[56:57], s[58:59], s[56:57]
	s_add_co_u32 s2, s54, s56
	s_cselect_b32 s37, -1, 0
	s_wait_alu 0xfffe
	v_mul_hi_u32 v9, v5, s2
	s_cmp_lg_u32 s37, 0
	v_mad_co_u64_u32 v[15:16], null, v7, s2, 0
	s_add_co_ci_u32 s37, s55, s57
	s_wait_alu 0xfffe
	v_mad_co_u64_u32 v[13:14], null, v5, s37, 0
	v_mad_co_u64_u32 v[22:23], null, v7, s37, 0
	s_delay_alu instid0(VALU_DEP_2) | instskip(SKIP_1) | instid1(VALU_DEP_3)
	v_add_co_u32 v9, vcc_lo, v9, v13
	s_wait_alu 0xfffd
	v_add_co_ci_u32_e64 v11, null, 0, v14, vcc_lo
	s_delay_alu instid0(VALU_DEP_2) | instskip(SKIP_1) | instid1(VALU_DEP_2)
	v_add_co_u32 v9, vcc_lo, v9, v15
	s_wait_alu 0xfffd
	v_add_co_ci_u32_e32 v9, vcc_lo, v11, v16, vcc_lo
	s_wait_alu 0xfffd
	v_add_co_ci_u32_e32 v11, vcc_lo, 0, v23, vcc_lo
	s_delay_alu instid0(VALU_DEP_2) | instskip(SKIP_1) | instid1(VALU_DEP_2)
	v_add_co_u32 v9, vcc_lo, v9, v22
	s_wait_alu 0xfffd
	v_add_co_ci_u32_e64 v11, null, 0, v11, vcc_lo
	s_delay_alu instid0(VALU_DEP_2) | instskip(SKIP_1) | instid1(VALU_DEP_3)
	v_mul_lo_u32 v15, s41, v9
	v_mad_co_u64_u32 v[13:14], null, s40, v9, 0
	v_mul_lo_u32 v16, s40, v11
	s_delay_alu instid0(VALU_DEP_2) | instskip(NEXT) | instid1(VALU_DEP_2)
	v_sub_co_u32 v5, vcc_lo, v5, v13
	v_add3_u32 v14, v14, v16, v15
	s_delay_alu instid0(VALU_DEP_1) | instskip(SKIP_2) | instid1(VALU_DEP_2)
	v_sub_nc_u32_e32 v15, v7, v14
	s_wait_alu 0xfffd
	v_sub_co_ci_u32_e64 v7, null, v7, v14, vcc_lo
	v_subrev_co_ci_u32_e64 v13, null, s41, v15, vcc_lo
	v_add_co_u32 v15, s2, v9, 2
	s_wait_alu 0xf1ff
	v_add_co_ci_u32_e64 v16, null, 0, v11, s2
	v_sub_co_u32 v17, s2, v5, s40
	s_wait_alu 0xf1ff
	v_subrev_co_ci_u32_e64 v13, null, 0, v13, s2
	s_delay_alu instid0(VALU_DEP_2) | instskip(SKIP_2) | instid1(VALU_DEP_3)
	v_cmp_le_u32_e32 vcc_lo, s40, v17
	s_wait_alu 0xfffd
	v_cndmask_b32_e64 v14, 0, -1, vcc_lo
	v_cmp_le_u32_e32 vcc_lo, s41, v13
	s_wait_alu 0xfffd
	v_cndmask_b32_e64 v17, 0, -1, vcc_lo
	;; [unrolled: 3-line block ×4, first 2 shown]
	v_cmp_eq_u32_e32 vcc_lo, s41, v13
	s_wait_alu 0xfffd
	v_cndmask_b32_e32 v13, v17, v14, vcc_lo
	v_add_co_u32 v14, vcc_lo, v9, 1
	s_wait_alu 0xfffd
	v_add_co_ci_u32_e64 v17, null, 0, v11, vcc_lo
	v_cmp_eq_u32_e32 vcc_lo, s41, v7
	s_wait_alu 0xfffd
	v_cndmask_b32_e32 v5, v22, v5, vcc_lo
	v_cmp_ne_u32_e32 vcc_lo, 0, v13
	s_delay_alu instid0(VALU_DEP_2) | instskip(SKIP_4) | instid1(VALU_DEP_2)
	v_cmp_ne_u32_e64 s2, 0, v5
	s_wait_alu 0xfffd
	v_cndmask_b32_e32 v5, v14, v15, vcc_lo
	v_cndmask_b32_e32 v7, v17, v16, vcc_lo
	s_wait_alu 0xf1ff
	v_cndmask_b32_e64 v5, v9, v5, s2
	s_delay_alu instid0(VALU_DEP_2) | instskip(NEXT) | instid1(VALU_DEP_2)
	v_cndmask_b32_e64 v7, v11, v7, s2
	v_xor_b32_e32 v5, v5, v3
	s_delay_alu instid0(VALU_DEP_2) | instskip(NEXT) | instid1(VALU_DEP_2)
	v_xor_b32_e32 v7, v7, v3
	v_sub_co_u32 v14, vcc_lo, v5, v3
	s_wait_alu 0xfffd
	s_delay_alu instid0(VALU_DEP_2)
	v_sub_co_ci_u32_e64 v15, null, v7, v3, vcc_lo
.LBB33_30:                              ;   in Loop: Header=BB33_20 Depth=2
	s_wait_alu 0xfffe
	s_and_not1_saveexec_b32 s2, s42
	s_cbranch_execz .LBB33_32
; %bb.31:                               ;   in Loop: Header=BB33_20 Depth=2
	v_cvt_f32_u32_e32 v3, s36
	s_sub_co_i32 s37, 0, s36
	v_mov_b32_e32 v15, v2
	s_delay_alu instid0(VALU_DEP_2) | instskip(NEXT) | instid1(TRANS32_DEP_1)
	v_rcp_iflag_f32_e32 v3, v3
	v_mul_f32_e32 v3, 0x4f7ffffe, v3
	s_delay_alu instid0(VALU_DEP_1) | instskip(SKIP_1) | instid1(VALU_DEP_1)
	v_cvt_u32_f32_e32 v3, v3
	s_wait_alu 0xfffe
	v_mul_lo_u32 v5, s37, v3
	s_delay_alu instid0(VALU_DEP_1) | instskip(NEXT) | instid1(VALU_DEP_1)
	v_mul_hi_u32 v5, v3, v5
	v_add_nc_u32_e32 v3, v3, v5
	s_delay_alu instid0(VALU_DEP_1) | instskip(NEXT) | instid1(VALU_DEP_1)
	v_mul_hi_u32 v3, v12, v3
	v_mul_lo_u32 v5, v3, s36
	v_add_nc_u32_e32 v7, 1, v3
	s_delay_alu instid0(VALU_DEP_2) | instskip(NEXT) | instid1(VALU_DEP_1)
	v_sub_nc_u32_e32 v5, v12, v5
	v_cmp_le_u32_e32 vcc_lo, s36, v5
	v_subrev_nc_u32_e32 v9, s36, v5
	s_wait_alu 0xfffd
	v_cndmask_b32_e32 v3, v3, v7, vcc_lo
	s_delay_alu instid0(VALU_DEP_1) | instskip(NEXT) | instid1(VALU_DEP_3)
	v_add_nc_u32_e32 v7, 1, v3
	v_cndmask_b32_e32 v5, v5, v9, vcc_lo
	s_delay_alu instid0(VALU_DEP_1) | instskip(SKIP_1) | instid1(VALU_DEP_3)
	v_cmp_le_u32_e32 vcc_lo, s36, v5
	s_wait_alu 0xfffd
	v_cndmask_b32_e32 v14, v3, v7, vcc_lo
.LBB33_32:                              ;   in Loop: Header=BB33_20 Depth=2
	s_wait_alu 0xfffe
	s_or_b32 exec_lo, exec_lo, s2
	s_add_co_i32 s38, s22, -3
	s_mov_b32 s39, s23
	s_add_nc_u64 s[46:47], s[0:1], s[46:47]
	s_wait_alu 0xfffe
	s_lshl_b64 s[42:43], s[38:39], 2
                                        ; implicit-def: $vgpr16_vgpr17
	s_mov_b32 s2, exec_lo
	s_wait_alu 0xfffe
	s_add_nc_u64 s[40:41], s[12:13], s[42:43]
	s_clause 0x2
	s_load_b32 s38, s[40:41], 0x8
	s_load_b32 s37, s[44:45], 0x6c
	;; [unrolled: 1-line block ×3, first 2 shown]
	s_wait_kmcnt 0x0
	s_ashr_i32 s39, s38, 31
	s_wait_alu 0xfffe
	v_or_b32_e32 v3, s39, v15
	s_delay_alu instid0(VALU_DEP_1)
	v_cmpx_ne_u64_e32 0, v[2:3]
	s_xor_b32 s54, exec_lo, s2
	s_cbranch_execz .LBB33_34
; %bb.33:                               ;   in Loop: Header=BB33_20 Depth=2
	s_ashr_i32 s44, s39, 31
	s_mov_b32 s61, s23
	s_wait_alu 0xfffe
	s_mov_b32 s45, s44
	s_mov_b32 s65, s23
	s_wait_alu 0xfffe
	s_add_nc_u64 s[46:47], s[38:39], s[44:45]
	v_ashrrev_i32_e32 v3, 31, v15
	s_wait_alu 0xfffe
	s_xor_b64 s[46:47], s[46:47], s[44:45]
	s_wait_alu 0xfffe
	s_cvt_f32_u32 s2, s46
	s_cvt_f32_u32 s39, s47
	s_sub_nc_u64 s[58:59], 0, s[46:47]
	v_add_co_u32 v5, vcc_lo, v14, v3
	s_wait_alu 0xfffe
	s_fmamk_f32 s2, s39, 0x4f800000, s2
	s_wait_alu 0xfffd
	v_add_co_ci_u32_e64 v7, null, v15, v3, vcc_lo
	v_xor_b32_e32 v5, v5, v3
	s_wait_alu 0xfffe
	v_s_rcp_f32 s2, s2
	s_delay_alu instid0(VALU_DEP_2) | instskip(SKIP_1) | instid1(TRANS32_DEP_1)
	v_xor_b32_e32 v7, v7, v3
	v_xor_b32_e32 v3, s44, v3
	s_mul_f32 s2, s2, 0x5f7ffffc
	s_wait_alu 0xfffe
	s_delay_alu instid0(SALU_CYCLE_2) | instskip(SKIP_1) | instid1(SALU_CYCLE_2)
	s_mul_f32 s39, s2, 0x2f800000
	s_wait_alu 0xfffe
	s_trunc_f32 s39, s39
	s_wait_alu 0xfffe
	s_delay_alu instid0(SALU_CYCLE_2) | instskip(SKIP_2) | instid1(SALU_CYCLE_1)
	s_fmamk_f32 s2, s39, 0xcf800000, s2
	s_cvt_u32_f32 s57, s39
	s_wait_alu 0xfffe
	s_cvt_u32_f32 s56, s2
	s_delay_alu instid0(SALU_CYCLE_3) | instskip(NEXT) | instid1(SALU_CYCLE_1)
	s_mul_u64 s[62:63], s[58:59], s[56:57]
	s_mul_hi_u32 s67, s56, s63
	s_mul_i32 s66, s56, s63
	s_mul_hi_u32 s60, s56, s62
	s_mul_i32 s39, s57, s62
	s_add_nc_u64 s[60:61], s[60:61], s[66:67]
	s_mul_hi_u32 s2, s57, s62
	s_mul_hi_u32 s45, s57, s63
	s_wait_alu 0xfffe
	s_add_co_u32 s39, s60, s39
	s_add_co_ci_u32 s64, s61, s2
	s_mul_i32 s62, s57, s63
	s_add_co_ci_u32 s63, s45, 0
	s_delay_alu instid0(SALU_CYCLE_1)
	s_add_nc_u64 s[60:61], s[64:65], s[62:63]
	s_mov_b32 s63, s23
	s_add_co_u32 s56, s56, s60
	s_cselect_b32 s2, -1, 0
	s_wait_alu 0xfffe
	s_cmp_lg_u32 s2, 0
	s_add_co_ci_u32 s57, s57, s61
	s_mov_b32 s61, s23
	s_mul_u64 s[58:59], s[58:59], s[56:57]
	s_delay_alu instid0(SALU_CYCLE_1)
	s_mul_hi_u32 s65, s56, s59
	s_mul_i32 s64, s56, s59
	s_mul_hi_u32 s62, s56, s58
	s_mul_i32 s39, s57, s58
	s_add_nc_u64 s[62:63], s[62:63], s[64:65]
	s_mul_hi_u32 s2, s57, s58
	s_mul_hi_u32 s45, s57, s59
	s_wait_alu 0xfffe
	s_add_co_u32 s39, s62, s39
	s_add_co_ci_u32 s60, s63, s2
	s_mul_i32 s58, s57, s59
	s_add_co_ci_u32 s59, s45, 0
	s_delay_alu instid0(SALU_CYCLE_1) | instskip(NEXT) | instid1(SALU_CYCLE_1)
	s_add_nc_u64 s[58:59], s[60:61], s[58:59]
	s_add_co_u32 s2, s56, s58
	s_cselect_b32 s39, -1, 0
	s_wait_alu 0xfffe
	v_mul_hi_u32 v9, v5, s2
	s_cmp_lg_u32 s39, 0
	v_mad_co_u64_u32 v[22:23], null, v7, s2, 0
	s_add_co_ci_u32 s39, s57, s59
	s_wait_alu 0xfffe
	v_mad_co_u64_u32 v[15:16], null, v5, s39, 0
	v_mad_co_u64_u32 v[24:25], null, v7, s39, 0
	s_delay_alu instid0(VALU_DEP_2) | instskip(SKIP_1) | instid1(VALU_DEP_3)
	v_add_co_u32 v9, vcc_lo, v9, v15
	s_wait_alu 0xfffd
	v_add_co_ci_u32_e64 v11, null, 0, v16, vcc_lo
	s_delay_alu instid0(VALU_DEP_2) | instskip(SKIP_1) | instid1(VALU_DEP_2)
	v_add_co_u32 v9, vcc_lo, v9, v22
	s_wait_alu 0xfffd
	v_add_co_ci_u32_e32 v9, vcc_lo, v11, v23, vcc_lo
	s_wait_alu 0xfffd
	v_add_co_ci_u32_e32 v11, vcc_lo, 0, v25, vcc_lo
	s_delay_alu instid0(VALU_DEP_2) | instskip(SKIP_1) | instid1(VALU_DEP_2)
	v_add_co_u32 v9, vcc_lo, v9, v24
	s_wait_alu 0xfffd
	v_add_co_ci_u32_e64 v11, null, 0, v11, vcc_lo
	s_delay_alu instid0(VALU_DEP_2) | instskip(SKIP_1) | instid1(VALU_DEP_3)
	v_mul_lo_u32 v13, s47, v9
	v_mad_co_u64_u32 v[15:16], null, s46, v9, 0
	v_mul_lo_u32 v17, s46, v11
	s_delay_alu instid0(VALU_DEP_2) | instskip(NEXT) | instid1(VALU_DEP_2)
	v_sub_co_u32 v5, vcc_lo, v5, v15
	v_add3_u32 v13, v16, v17, v13
	s_delay_alu instid0(VALU_DEP_1) | instskip(SKIP_2) | instid1(VALU_DEP_2)
	v_sub_nc_u32_e32 v16, v7, v13
	s_wait_alu 0xfffd
	v_sub_co_ci_u32_e64 v7, null, v7, v13, vcc_lo
	v_subrev_co_ci_u32_e64 v15, null, s47, v16, vcc_lo
	v_add_co_u32 v16, s2, v9, 2
	s_wait_alu 0xf1ff
	v_add_co_ci_u32_e64 v17, null, 0, v11, s2
	v_sub_co_u32 v22, s2, v5, s46
	s_wait_alu 0xf1ff
	v_subrev_co_ci_u32_e64 v15, null, 0, v15, s2
	s_delay_alu instid0(VALU_DEP_2) | instskip(SKIP_2) | instid1(VALU_DEP_3)
	v_cmp_le_u32_e32 vcc_lo, s46, v22
	s_wait_alu 0xfffd
	v_cndmask_b32_e64 v13, 0, -1, vcc_lo
	v_cmp_le_u32_e32 vcc_lo, s47, v15
	s_wait_alu 0xfffd
	v_cndmask_b32_e64 v22, 0, -1, vcc_lo
	;; [unrolled: 3-line block ×4, first 2 shown]
	v_cmp_eq_u32_e32 vcc_lo, s47, v15
	s_wait_alu 0xfffd
	v_cndmask_b32_e32 v13, v22, v13, vcc_lo
	v_add_co_u32 v15, vcc_lo, v9, 1
	s_wait_alu 0xfffd
	v_add_co_ci_u32_e64 v22, null, 0, v11, vcc_lo
	v_cmp_eq_u32_e32 vcc_lo, s47, v7
	s_wait_alu 0xfffd
	v_cndmask_b32_e32 v5, v23, v5, vcc_lo
	v_cmp_ne_u32_e32 vcc_lo, 0, v13
	s_delay_alu instid0(VALU_DEP_2) | instskip(SKIP_4) | instid1(VALU_DEP_2)
	v_cmp_ne_u32_e64 s2, 0, v5
	s_wait_alu 0xfffd
	v_cndmask_b32_e32 v5, v15, v16, vcc_lo
	v_cndmask_b32_e32 v7, v22, v17, vcc_lo
	s_wait_alu 0xf1ff
	v_cndmask_b32_e64 v5, v9, v5, s2
	s_delay_alu instid0(VALU_DEP_2) | instskip(NEXT) | instid1(VALU_DEP_2)
	v_cndmask_b32_e64 v7, v11, v7, s2
	v_xor_b32_e32 v5, v5, v3
	s_delay_alu instid0(VALU_DEP_2) | instskip(NEXT) | instid1(VALU_DEP_2)
	v_xor_b32_e32 v7, v7, v3
	v_sub_co_u32 v16, vcc_lo, v5, v3
	s_wait_alu 0xfffd
	s_delay_alu instid0(VALU_DEP_2)
	v_sub_co_ci_u32_e64 v17, null, v7, v3, vcc_lo
.LBB33_34:                              ;   in Loop: Header=BB33_20 Depth=2
	s_and_not1_saveexec_b32 s2, s54
	s_cbranch_execz .LBB33_36
; %bb.35:                               ;   in Loop: Header=BB33_20 Depth=2
	v_cvt_f32_u32_e32 v3, s38
	s_sub_co_i32 s39, 0, s38
	v_mov_b32_e32 v17, v2
	s_delay_alu instid0(VALU_DEP_2) | instskip(NEXT) | instid1(TRANS32_DEP_1)
	v_rcp_iflag_f32_e32 v3, v3
	v_mul_f32_e32 v3, 0x4f7ffffe, v3
	s_delay_alu instid0(VALU_DEP_1) | instskip(SKIP_1) | instid1(VALU_DEP_1)
	v_cvt_u32_f32_e32 v3, v3
	s_wait_alu 0xfffe
	v_mul_lo_u32 v5, s39, v3
	s_delay_alu instid0(VALU_DEP_1) | instskip(NEXT) | instid1(VALU_DEP_1)
	v_mul_hi_u32 v5, v3, v5
	v_add_nc_u32_e32 v3, v3, v5
	s_delay_alu instid0(VALU_DEP_1) | instskip(NEXT) | instid1(VALU_DEP_1)
	v_mul_hi_u32 v3, v14, v3
	v_mul_lo_u32 v5, v3, s38
	v_add_nc_u32_e32 v7, 1, v3
	s_delay_alu instid0(VALU_DEP_2) | instskip(NEXT) | instid1(VALU_DEP_1)
	v_sub_nc_u32_e32 v5, v14, v5
	v_cmp_le_u32_e32 vcc_lo, s38, v5
	v_subrev_nc_u32_e32 v9, s38, v5
	s_wait_alu 0xfffd
	v_cndmask_b32_e32 v3, v3, v7, vcc_lo
	s_delay_alu instid0(VALU_DEP_1) | instskip(NEXT) | instid1(VALU_DEP_3)
	v_add_nc_u32_e32 v7, 1, v3
	v_cndmask_b32_e32 v5, v5, v9, vcc_lo
	s_delay_alu instid0(VALU_DEP_1) | instskip(SKIP_1) | instid1(VALU_DEP_3)
	v_cmp_le_u32_e32 vcc_lo, s38, v5
	s_wait_alu 0xfffd
	v_cndmask_b32_e32 v16, v3, v7, vcc_lo
.LBB33_36:                              ;   in Loop: Header=BB33_20 Depth=2
	s_wait_alu 0xfffe
	s_or_b32 exec_lo, exec_lo, s2
	s_add_nc_u64 s[42:43], s[0:1], s[42:43]
	v_mul_lo_u32 v3, v10, s30
	s_clause 0x1
	s_load_b32 s2, s[40:41], 0x6c
	s_load_b32 s30, s[42:43], 0x6c
	v_mul_lo_u32 v5, v12, s34
	v_mul_lo_u32 v7, v14, s36
	;; [unrolled: 1-line block ×3, first 2 shown]
	s_add_co_i32 s22, s22, -4
	s_wait_alu 0xfffe
	s_cmp_eq_u32 s22, -1
	v_sub_nc_u32_e32 v3, v8, v3
	s_delay_alu instid0(VALU_DEP_4) | instskip(NEXT) | instid1(VALU_DEP_4)
	v_sub_nc_u32_e32 v5, v10, v5
	v_sub_nc_u32_e32 v7, v12, v7
	s_delay_alu instid0(VALU_DEP_4) | instskip(NEXT) | instid1(VALU_DEP_4)
	v_sub_nc_u32_e32 v8, v14, v9
	v_mul_lo_u32 v9, s19, v3
	v_mul_lo_u32 v3, s29, v3
	;; [unrolled: 1-line block ×6, first 2 shown]
	s_wait_kmcnt 0x0
	v_mul_lo_u32 v12, s2, v8
	v_mul_lo_u32 v8, s30, v8
	v_add3_u32 v6, v9, v6, v10
	v_add3_u32 v3, v3, v4, v5
	s_delay_alu instid0(VALU_DEP_2) | instskip(NEXT) | instid1(VALU_DEP_2)
	v_add3_u32 v6, v11, v6, v12
	v_add3_u32 v4, v7, v3, v8
	s_cbranch_scc1 .LBB33_38
; %bb.37:                               ;   in Loop: Header=BB33_20 Depth=2
	v_dual_mov_b32 v8, v16 :: v_dual_mov_b32 v9, v17
	s_branch .LBB33_20
.LBB33_38:                              ;   in Loop: Header=BB33_3 Depth=1
	v_sub_nc_u32_e32 v8, v20, v21
	v_dual_mov_b32 v10, 0 :: v_dual_mov_b32 v11, 0
	v_dual_mov_b32 v14, 0 :: v_dual_mov_b32 v15, 0
	s_delay_alu instid0(VALU_DEP_3) | instskip(SKIP_1) | instid1(VALU_DEP_1)
	v_ashrrev_i32_e32 v9, 31, v8
	s_mov_b32 s19, exec_lo
	v_cmpx_ge_i64_e64 s[4:5], v[8:9]
	s_cbranch_execz .LBB33_44
; %bb.39:                               ;   in Loop: Header=BB33_3 Depth=1
	v_dual_mov_b32 v11, 0 :: v_dual_mov_b32 v10, 0
	v_dual_mov_b32 v13, 0 :: v_dual_mov_b32 v12, 0
	s_mov_b32 s2, exec_lo
	v_cmpx_gt_i32_e64 s3, v20
	s_cbranch_execz .LBB33_43
; %bb.40:                               ;   in Loop: Header=BB33_3 Depth=1
	v_ashrrev_i32_e32 v7, 31, v6
	v_dual_mov_b32 v12, 0 :: v_dual_add_nc_u32 v3, 1, v20
	v_mov_b32_e32 v13, 0
	s_mov_b32 s22, exec_lo
	s_delay_alu instid0(VALU_DEP_3) | instskip(NEXT) | instid1(VALU_DEP_1)
	v_lshlrev_b64_e32 v[5:6], 3, v[6:7]
	v_add_co_u32 v5, vcc_lo, s10, v5
	s_wait_alu 0xfffd
	s_delay_alu instid0(VALU_DEP_2)
	v_add_co_ci_u32_e64 v6, null, s11, v6, vcc_lo
	global_load_b64 v[10:11], v[5:6], off
	v_cmpx_gt_i32_e64 s3, v3
	s_wait_alu 0xfffe
	s_xor_b32 s22, exec_lo, s22
	s_cbranch_execz .LBB33_42
; %bb.41:                               ;   in Loop: Header=BB33_3 Depth=1
	s_lshl_b64 s[30:31], s[24:25], 3
	s_wait_alu 0xfffe
	v_add_co_u32 v5, vcc_lo, v5, s30
	s_wait_alu 0xfffd
	v_add_co_ci_u32_e64 v6, null, s31, v6, vcc_lo
	global_load_b64 v[12:13], v[5:6], off
.LBB33_42:                              ;   in Loop: Header=BB33_3 Depth=1
	s_wait_alu 0xfffe
	s_or_b32 exec_lo, exec_lo, s22
.LBB33_43:                              ;   in Loop: Header=BB33_3 Depth=1
	s_wait_alu 0xfffe
	s_or_b32 exec_lo, exec_lo, s2
	v_add_nc_u32_e32 v5, 1, v8
	v_cmp_lt_i64_e32 vcc_lo, s[4:5], v[8:9]
	s_delay_alu instid0(VALU_DEP_2)
	v_ashrrev_i32_e32 v6, 31, v5
	s_wait_loadcnt 0x0
	s_wait_alu 0xfffd
	v_cndmask_b32_e64 v14, v10, 0, vcc_lo
	v_cndmask_b32_e64 v15, v11, 0, vcc_lo
	v_cmp_lt_i64_e64 s2, s[4:5], v[5:6]
	s_wait_alu 0xf1ff
	s_delay_alu instid0(VALU_DEP_1)
	v_cndmask_b32_e64 v10, v12, 0, s2
	v_cndmask_b32_e64 v11, v13, 0, s2
.LBB33_44:                              ;   in Loop: Header=BB33_3 Depth=1
	s_wait_alu 0xfffe
	s_or_b32 exec_lo, exec_lo, s19
	s_delay_alu instid0(SALU_CYCLE_1)
	s_mov_b32 s2, exec_lo
	v_cmpx_gt_i32_e64 s3, v20
	s_cbranch_execz .LBB33_2
; %bb.45:                               ;   in Loop: Header=BB33_3 Depth=1
	v_ashrrev_i32_e32 v5, 31, v4
	s_mov_b32 s19, exec_lo
	s_delay_alu instid0(VALU_DEP_1) | instskip(SKIP_1) | instid1(VALU_DEP_2)
	v_lshlrev_b64_e32 v[3:4], 3, v[4:5]
	v_add_nc_u32_e32 v5, 1, v20
	v_add_co_u32 v3, vcc_lo, s14, v3
	s_wait_alu 0xfffd
	s_delay_alu instid0(VALU_DEP_3)
	v_add_co_ci_u32_e64 v4, null, s15, v4, vcc_lo
	global_store_b64 v[3:4], v[14:15], off
	v_cmpx_gt_i32_e64 s3, v5
	s_wait_alu 0xfffe
	s_xor_b32 s19, exec_lo, s19
	s_cbranch_execz .LBB33_2
; %bb.46:                               ;   in Loop: Header=BB33_3 Depth=1
	s_lshl_b64 s[30:31], s[26:27], 3
	s_wait_alu 0xfffe
	v_add_co_u32 v3, vcc_lo, v3, s30
	s_wait_alu 0xfffd
	v_add_co_ci_u32_e64 v4, null, s31, v4, vcc_lo
	global_store_b64 v[3:4], v[10:11], off
	s_branch .LBB33_2
.LBB33_47:
	s_endpgm
	.section	.rodata,"a",@progbits
	.p2align	6, 0x0
	.amdhsa_kernel _ZN2at6native16triu_tril_kernelIN3c107complexIfEEiLb0ELi2ELb0EEEvNS_4cuda6detail10TensorInfoIT_T0_EENS7_IKS8_S9_EEllS9_
		.amdhsa_group_segment_fixed_size 0
		.amdhsa_private_segment_fixed_size 0
		.amdhsa_kernarg_size 712
		.amdhsa_user_sgpr_count 2
		.amdhsa_user_sgpr_dispatch_ptr 0
		.amdhsa_user_sgpr_queue_ptr 0
		.amdhsa_user_sgpr_kernarg_segment_ptr 1
		.amdhsa_user_sgpr_dispatch_id 0
		.amdhsa_user_sgpr_private_segment_size 0
		.amdhsa_wavefront_size32 1
		.amdhsa_uses_dynamic_stack 0
		.amdhsa_enable_private_segment 0
		.amdhsa_system_sgpr_workgroup_id_x 1
		.amdhsa_system_sgpr_workgroup_id_y 0
		.amdhsa_system_sgpr_workgroup_id_z 0
		.amdhsa_system_sgpr_workgroup_info 0
		.amdhsa_system_vgpr_workitem_id 0
		.amdhsa_next_free_vgpr 26
		.amdhsa_next_free_sgpr 68
		.amdhsa_reserve_vcc 1
		.amdhsa_float_round_mode_32 0
		.amdhsa_float_round_mode_16_64 0
		.amdhsa_float_denorm_mode_32 3
		.amdhsa_float_denorm_mode_16_64 3
		.amdhsa_fp16_overflow 0
		.amdhsa_workgroup_processor_mode 1
		.amdhsa_memory_ordered 1
		.amdhsa_forward_progress 1
		.amdhsa_inst_pref_size 65
		.amdhsa_round_robin_scheduling 0
		.amdhsa_exception_fp_ieee_invalid_op 0
		.amdhsa_exception_fp_denorm_src 0
		.amdhsa_exception_fp_ieee_div_zero 0
		.amdhsa_exception_fp_ieee_overflow 0
		.amdhsa_exception_fp_ieee_underflow 0
		.amdhsa_exception_fp_ieee_inexact 0
		.amdhsa_exception_int_div_zero 0
	.end_amdhsa_kernel
	.section	.text._ZN2at6native16triu_tril_kernelIN3c107complexIfEEiLb0ELi2ELb0EEEvNS_4cuda6detail10TensorInfoIT_T0_EENS7_IKS8_S9_EEllS9_,"axG",@progbits,_ZN2at6native16triu_tril_kernelIN3c107complexIfEEiLb0ELi2ELb0EEEvNS_4cuda6detail10TensorInfoIT_T0_EENS7_IKS8_S9_EEllS9_,comdat
.Lfunc_end33:
	.size	_ZN2at6native16triu_tril_kernelIN3c107complexIfEEiLb0ELi2ELb0EEEvNS_4cuda6detail10TensorInfoIT_T0_EENS7_IKS8_S9_EEllS9_, .Lfunc_end33-_ZN2at6native16triu_tril_kernelIN3c107complexIfEEiLb0ELi2ELb0EEEvNS_4cuda6detail10TensorInfoIT_T0_EENS7_IKS8_S9_EEllS9_
                                        ; -- End function
	.set _ZN2at6native16triu_tril_kernelIN3c107complexIfEEiLb0ELi2ELb0EEEvNS_4cuda6detail10TensorInfoIT_T0_EENS7_IKS8_S9_EEllS9_.num_vgpr, 26
	.set _ZN2at6native16triu_tril_kernelIN3c107complexIfEEiLb0ELi2ELb0EEEvNS_4cuda6detail10TensorInfoIT_T0_EENS7_IKS8_S9_EEllS9_.num_agpr, 0
	.set _ZN2at6native16triu_tril_kernelIN3c107complexIfEEiLb0ELi2ELb0EEEvNS_4cuda6detail10TensorInfoIT_T0_EENS7_IKS8_S9_EEllS9_.numbered_sgpr, 68
	.set _ZN2at6native16triu_tril_kernelIN3c107complexIfEEiLb0ELi2ELb0EEEvNS_4cuda6detail10TensorInfoIT_T0_EENS7_IKS8_S9_EEllS9_.num_named_barrier, 0
	.set _ZN2at6native16triu_tril_kernelIN3c107complexIfEEiLb0ELi2ELb0EEEvNS_4cuda6detail10TensorInfoIT_T0_EENS7_IKS8_S9_EEllS9_.private_seg_size, 0
	.set _ZN2at6native16triu_tril_kernelIN3c107complexIfEEiLb0ELi2ELb0EEEvNS_4cuda6detail10TensorInfoIT_T0_EENS7_IKS8_S9_EEllS9_.uses_vcc, 1
	.set _ZN2at6native16triu_tril_kernelIN3c107complexIfEEiLb0ELi2ELb0EEEvNS_4cuda6detail10TensorInfoIT_T0_EENS7_IKS8_S9_EEllS9_.uses_flat_scratch, 0
	.set _ZN2at6native16triu_tril_kernelIN3c107complexIfEEiLb0ELi2ELb0EEEvNS_4cuda6detail10TensorInfoIT_T0_EENS7_IKS8_S9_EEllS9_.has_dyn_sized_stack, 0
	.set _ZN2at6native16triu_tril_kernelIN3c107complexIfEEiLb0ELi2ELb0EEEvNS_4cuda6detail10TensorInfoIT_T0_EENS7_IKS8_S9_EEllS9_.has_recursion, 0
	.set _ZN2at6native16triu_tril_kernelIN3c107complexIfEEiLb0ELi2ELb0EEEvNS_4cuda6detail10TensorInfoIT_T0_EENS7_IKS8_S9_EEllS9_.has_indirect_call, 0
	.section	.AMDGPU.csdata,"",@progbits
; Kernel info:
; codeLenInByte = 8312
; TotalNumSgprs: 70
; NumVgprs: 26
; ScratchSize: 0
; MemoryBound: 0
; FloatMode: 240
; IeeeMode: 1
; LDSByteSize: 0 bytes/workgroup (compile time only)
; SGPRBlocks: 0
; VGPRBlocks: 3
; NumSGPRsForWavesPerEU: 70
; NumVGPRsForWavesPerEU: 26
; Occupancy: 16
; WaveLimiterHint : 1
; COMPUTE_PGM_RSRC2:SCRATCH_EN: 0
; COMPUTE_PGM_RSRC2:USER_SGPR: 2
; COMPUTE_PGM_RSRC2:TRAP_HANDLER: 0
; COMPUTE_PGM_RSRC2:TGID_X_EN: 1
; COMPUTE_PGM_RSRC2:TGID_Y_EN: 0
; COMPUTE_PGM_RSRC2:TGID_Z_EN: 0
; COMPUTE_PGM_RSRC2:TIDIG_COMP_CNT: 0
	.section	.text._ZN2at6native16triu_tril_kernelIN3c107complexIfEElLb0ELi2ELb1EEEvNS_4cuda6detail10TensorInfoIT_T0_EENS7_IKS8_S9_EEllS9_,"axG",@progbits,_ZN2at6native16triu_tril_kernelIN3c107complexIfEElLb0ELi2ELb1EEEvNS_4cuda6detail10TensorInfoIT_T0_EENS7_IKS8_S9_EEllS9_,comdat
	.protected	_ZN2at6native16triu_tril_kernelIN3c107complexIfEElLb0ELi2ELb1EEEvNS_4cuda6detail10TensorInfoIT_T0_EENS7_IKS8_S9_EEllS9_ ; -- Begin function _ZN2at6native16triu_tril_kernelIN3c107complexIfEElLb0ELi2ELb1EEEvNS_4cuda6detail10TensorInfoIT_T0_EENS7_IKS8_S9_EEllS9_
	.globl	_ZN2at6native16triu_tril_kernelIN3c107complexIfEElLb0ELi2ELb1EEEvNS_4cuda6detail10TensorInfoIT_T0_EENS7_IKS8_S9_EEllS9_
	.p2align	8
	.type	_ZN2at6native16triu_tril_kernelIN3c107complexIfEElLb0ELi2ELb1EEEvNS_4cuda6detail10TensorInfoIT_T0_EENS7_IKS8_S9_EEllS9_,@function
_ZN2at6native16triu_tril_kernelIN3c107complexIfEElLb0ELi2ELb1EEEvNS_4cuda6detail10TensorInfoIT_T0_EENS7_IKS8_S9_EEllS9_: ; @_ZN2at6native16triu_tril_kernelIN3c107complexIfEElLb0ELi2ELb1EEEvNS_4cuda6detail10TensorInfoIT_T0_EENS7_IKS8_S9_EEllS9_
; %bb.0:
	s_clause 0x1
	s_load_b32 s2, s[0:1], 0x364
	s_load_b128 s[4:7], s[0:1], 0x340
	v_mov_b32_e32 v2, 0
	s_mov_b32 s3, exec_lo
	s_delay_alu instid0(VALU_DEP_1)
	v_mov_b32_e32 v1, v2
	s_wait_kmcnt 0x0
	s_and_b32 s2, s2, 0xffff
	s_delay_alu instid0(VALU_DEP_1) | instid1(SALU_CYCLE_1)
	v_mad_co_u64_u32 v[0:1], null, s2, ttmp9, v[0:1]
	s_delay_alu instid0(VALU_DEP_1) | instskip(NEXT) | instid1(VALU_DEP_1)
	v_lshlrev_b64_e32 v[0:1], 1, v[0:1]
	v_cmpx_gt_i64_e64 s[6:7], v[0:1]
	s_cbranch_execz .LBB34_43
; %bb.1:
	s_load_b32 s22, s[0:1], 0x338
	s_add_nc_u64 s[12:13], s[0:1], 0x358
	s_clause 0x1
	s_load_b64 s[8:9], s[0:1], 0x350
	s_load_b64 s[10:11], s[0:1], 0x0
	s_add_nc_u64 s[28:29], s[0:1], 0x1a0
	s_load_b32 s3, s[12:13], 0x0
	s_movk_i32 s18, 0xffe0
	s_add_nc_u64 s[16:17], s[0:1], 0xb8
	s_mov_b32 s19, -1
	s_add_nc_u64 s[34:35], s[0:1], 0x190
	s_mov_b32 s65, 0
	s_wait_kmcnt 0x0
	s_add_co_i32 s14, s22, -2
	v_cvt_f32_u32_e32 v3, s8
	s_ashr_i32 s15, s14, 31
	s_add_co_i32 s20, s22, -3
	s_lshl_b64 s[12:13], s[14:15], 3
	s_ashr_i32 s23, s22, 31
	s_add_nc_u64 s[12:13], s[28:29], s[12:13]
	v_rcp_iflag_f32_e32 v3, v3
	s_load_b64 s[12:13], s[12:13], 0x8
	s_mul_i32 s24, s3, s2
	s_and_b32 s25, s20, 3
	s_lshl_b64 s[2:3], s[22:23], 3
	s_ashr_i32 s21, s20, 31
	s_and_b32 s14, s14, 3
	s_lshl_b32 s62, s24, 1
	s_cmp_lg_u32 s25, 3
	v_cmp_gt_i64_e64 s33, s[22:23], 2
	s_cselect_b32 s63, -1, 0
	s_cmp_gt_u32 s20, 2
	s_wait_alu 0xfffe
	s_add_nc_u64 s[22:23], s[0:1], s[2:3]
	s_add_nc_u64 s[24:25], s[28:29], s[2:3]
	s_cselect_b32 s64, -1, 0
	s_lshl_b64 s[2:3], s[20:21], 3
	s_mov_b32 s15, 0
	s_wait_alu 0xfffe
	s_add_nc_u64 s[30:31], s[0:1], s[2:3]
	s_add_nc_u64 s[2:3], s[28:29], s[2:3]
	s_mov_b64 s[26:27], s[14:15]
	s_add_nc_u64 s[28:29], s[30:31], 0xd0
	s_wait_kmcnt 0x0
	v_cvt_f32_u32_e32 v4, s12
	s_wait_alu 0xfffe
	s_add_nc_u64 s[30:31], s[2:3], 8
	s_ashr_i32 s36, s9, 31
	s_delay_alu instid0(VALU_DEP_1) | instskip(NEXT) | instid1(TRANS32_DEP_1)
	v_rcp_iflag_f32_e32 v4, v4
	v_dual_mul_f32 v3, 0x4f7ffffe, v3 :: v_dual_mul_f32 v4, 0x4f7ffffe, v4
	s_delay_alu instid0(VALU_DEP_1) | instskip(NEXT) | instid1(VALU_DEP_2)
	v_cvt_u32_f32_e32 v20, v3
	v_cvt_u32_f32_e32 v21, v4
	s_branch .LBB34_3
.LBB34_2:                               ;   in Loop: Header=BB34_3 Depth=1
	s_wait_alu 0xfffe
	s_or_b32 exec_lo, exec_lo, s37
	v_add_co_u32 v0, vcc_lo, v0, s62
	s_wait_alu 0xfffd
	v_add_co_ci_u32_e64 v1, null, 0, v1, vcc_lo
	s_delay_alu instid0(VALU_DEP_1) | instskip(SKIP_1) | instid1(SALU_CYCLE_1)
	v_cmp_le_i64_e32 vcc_lo, s[6:7], v[0:1]
	s_or_b32 s65, vcc_lo, s65
	s_and_not1_b32 exec_lo, exec_lo, s65
	s_cbranch_execz .LBB34_43
.LBB34_3:                               ; =>This Loop Header: Depth=1
                                        ;     Child Loop BB34_17 Depth 2
                                        ;     Child Loop BB34_22 Depth 2
	v_or_b32_e32 v3, s9, v1
                                        ; implicit-def: $vgpr6_vgpr7
	s_mov_b32 s0, exec_lo
	s_delay_alu instid0(VALU_DEP_1)
	v_cmpx_ne_u64_e32 0, v[2:3]
	s_wait_alu 0xfffe
	s_xor_b32 s1, exec_lo, s0
	s_cbranch_execz .LBB34_5
; %bb.4:                                ;   in Loop: Header=BB34_3 Depth=1
	s_mov_b32 s37, s36
	v_ashrrev_i32_e32 v9, 31, v1
	s_wait_alu 0xfffe
	s_add_nc_u64 s[2:3], s[8:9], s[36:37]
	s_wait_alu 0xfffe
	s_xor_b64 s[2:3], s[2:3], s[36:37]
	v_add_co_u32 v3, vcc_lo, v0, v9
	s_wait_alu 0xfffe
	s_cvt_f32_u32 s0, s2
	s_cvt_f32_u32 s14, s3
	s_sub_nc_u64 s[40:41], 0, s[2:3]
	s_wait_alu 0xfffd
	v_add_co_ci_u32_e64 v4, null, v1, v9, vcc_lo
	s_wait_alu 0xfffe
	s_fmamk_f32 s0, s14, 0x4f800000, s0
	v_xor_b32_e32 v10, v3, v9
	s_delay_alu instid0(VALU_DEP_2) | instskip(SKIP_2) | instid1(TRANS32_DEP_1)
	v_xor_b32_e32 v11, v4, v9
	s_wait_alu 0xfffe
	v_s_rcp_f32 s0, s0
	s_mul_f32 s0, s0, 0x5f7ffffc
	s_wait_alu 0xfffe
	s_delay_alu instid0(SALU_CYCLE_2) | instskip(SKIP_1) | instid1(SALU_CYCLE_2)
	s_mul_f32 s14, s0, 0x2f800000
	s_wait_alu 0xfffe
	s_trunc_f32 s14, s14
	s_wait_alu 0xfffe
	s_delay_alu instid0(SALU_CYCLE_2) | instskip(SKIP_2) | instid1(SALU_CYCLE_1)
	s_fmamk_f32 s0, s14, 0xcf800000, s0
	s_cvt_u32_f32 s39, s14
	s_wait_alu 0xfffe
	s_cvt_u32_f32 s38, s0
	s_wait_alu 0xfffe
	s_delay_alu instid0(SALU_CYCLE_2) | instskip(NEXT) | instid1(SALU_CYCLE_1)
	s_mul_u64 s[42:43], s[40:41], s[38:39]
	s_mul_hi_u32 s45, s38, s43
	s_mul_i32 s44, s38, s43
	s_mul_hi_u32 s14, s38, s42
	s_mul_i32 s37, s39, s42
	s_wait_alu 0xfffe
	s_add_nc_u64 s[44:45], s[14:15], s[44:45]
	s_mul_hi_u32 s0, s39, s42
	s_mul_hi_u32 s46, s39, s43
	s_wait_alu 0xfffe
	s_add_co_u32 s14, s44, s37
	s_add_co_ci_u32 s14, s45, s0
	s_mul_i32 s42, s39, s43
	s_add_co_ci_u32 s43, s46, 0
	s_wait_alu 0xfffe
	s_add_nc_u64 s[42:43], s[14:15], s[42:43]
	s_delay_alu instid0(SALU_CYCLE_1)
	s_add_co_u32 s38, s38, s42
	s_cselect_b32 s0, -1, 0
	s_wait_alu 0xfffe
	s_cmp_lg_u32 s0, 0
	s_add_co_ci_u32 s39, s39, s43
	s_wait_alu 0xfffe
	s_mul_u64 s[40:41], s[40:41], s[38:39]
	s_delay_alu instid0(SALU_CYCLE_1)
	s_mul_hi_u32 s43, s38, s41
	s_mul_i32 s42, s38, s41
	s_mul_hi_u32 s14, s38, s40
	s_mul_i32 s37, s39, s40
	s_wait_alu 0xfffe
	s_add_nc_u64 s[42:43], s[14:15], s[42:43]
	s_mul_hi_u32 s0, s39, s40
	s_mul_hi_u32 s44, s39, s41
	s_add_co_u32 s14, s42, s37
	s_wait_alu 0xfffe
	s_add_co_ci_u32 s14, s43, s0
	s_mul_i32 s40, s39, s41
	s_add_co_ci_u32 s41, s44, 0
	s_wait_alu 0xfffe
	s_add_nc_u64 s[40:41], s[14:15], s[40:41]
	s_delay_alu instid0(SALU_CYCLE_1)
	s_add_co_u32 s0, s38, s40
	s_cselect_b32 s14, -1, 0
	s_wait_alu 0xfffe
	v_mul_hi_u32 v12, v10, s0
	s_cmp_lg_u32 s14, 0
	v_mad_co_u64_u32 v[5:6], null, v11, s0, 0
	s_add_co_ci_u32 s14, s39, s41
	s_wait_alu 0xfffe
	v_mad_co_u64_u32 v[3:4], null, v10, s14, 0
	v_mad_co_u64_u32 v[7:8], null, v11, s14, 0
	s_delay_alu instid0(VALU_DEP_2) | instskip(SKIP_1) | instid1(VALU_DEP_3)
	v_add_co_u32 v3, vcc_lo, v12, v3
	s_wait_alu 0xfffd
	v_add_co_ci_u32_e64 v4, null, 0, v4, vcc_lo
	s_delay_alu instid0(VALU_DEP_2) | instskip(SKIP_1) | instid1(VALU_DEP_2)
	v_add_co_u32 v3, vcc_lo, v3, v5
	s_wait_alu 0xfffd
	v_add_co_ci_u32_e32 v3, vcc_lo, v4, v6, vcc_lo
	s_wait_alu 0xfffd
	v_add_co_ci_u32_e32 v4, vcc_lo, 0, v8, vcc_lo
	s_delay_alu instid0(VALU_DEP_2) | instskip(SKIP_1) | instid1(VALU_DEP_2)
	v_add_co_u32 v5, vcc_lo, v3, v7
	s_wait_alu 0xfffd
	v_add_co_ci_u32_e64 v6, null, 0, v4, vcc_lo
	s_delay_alu instid0(VALU_DEP_2) | instskip(SKIP_1) | instid1(VALU_DEP_3)
	v_mul_lo_u32 v7, s3, v5
	v_mad_co_u64_u32 v[3:4], null, s2, v5, 0
	v_mul_lo_u32 v8, s2, v6
	s_delay_alu instid0(VALU_DEP_2) | instskip(NEXT) | instid1(VALU_DEP_2)
	v_sub_co_u32 v3, vcc_lo, v10, v3
	v_add3_u32 v4, v4, v8, v7
	v_add_co_u32 v8, s0, v5, 2
	s_wait_alu 0xf1ff
	v_add_co_ci_u32_e64 v10, null, 0, v6, s0
	s_delay_alu instid0(VALU_DEP_3) | instskip(SKIP_3) | instid1(VALU_DEP_3)
	v_sub_nc_u32_e32 v7, v11, v4
	v_sub_co_u32 v12, s0, v3, s2
	s_wait_alu 0xfffd
	v_sub_co_ci_u32_e64 v4, null, v11, v4, vcc_lo
	v_subrev_co_ci_u32_e64 v7, null, s3, v7, vcc_lo
	s_delay_alu instid0(VALU_DEP_3) | instskip(SKIP_1) | instid1(VALU_DEP_2)
	v_cmp_le_u32_e32 vcc_lo, s2, v12
	s_wait_alu 0xf1ff
	v_subrev_co_ci_u32_e64 v7, null, 0, v7, s0
	s_wait_alu 0xfffd
	v_cndmask_b32_e64 v11, 0, -1, vcc_lo
	s_delay_alu instid0(VALU_DEP_2)
	v_cmp_le_u32_e32 vcc_lo, s3, v7
	s_wait_alu 0xfffd
	v_cndmask_b32_e64 v12, 0, -1, vcc_lo
	v_cmp_le_u32_e32 vcc_lo, s2, v3
	s_wait_alu 0xfffd
	v_cndmask_b32_e64 v3, 0, -1, vcc_lo
	;; [unrolled: 3-line block ×3, first 2 shown]
	v_cmp_eq_u32_e32 vcc_lo, s3, v7
	s_wait_alu 0xfffd
	v_cndmask_b32_e32 v7, v12, v11, vcc_lo
	v_add_co_u32 v11, vcc_lo, v5, 1
	s_wait_alu 0xfffd
	v_add_co_ci_u32_e64 v12, null, 0, v6, vcc_lo
	v_cmp_eq_u32_e32 vcc_lo, s3, v4
	s_wait_alu 0xfffd
	v_cndmask_b32_e32 v3, v13, v3, vcc_lo
	v_cmp_ne_u32_e32 vcc_lo, 0, v7
	v_xor_b32_e32 v7, s36, v9
	s_wait_alu 0xfffd
	v_cndmask_b32_e32 v4, v12, v10, vcc_lo
	v_cmp_ne_u32_e64 s0, 0, v3
	v_cndmask_b32_e32 v3, v11, v8, vcc_lo
	s_wait_alu 0xf1ff
	s_delay_alu instid0(VALU_DEP_2) | instskip(NEXT) | instid1(VALU_DEP_2)
	v_cndmask_b32_e64 v4, v6, v4, s0
	v_cndmask_b32_e64 v3, v5, v3, s0
	s_delay_alu instid0(VALU_DEP_2) | instskip(NEXT) | instid1(VALU_DEP_2)
	v_xor_b32_e32 v4, v4, v7
	v_xor_b32_e32 v3, v3, v7
	s_delay_alu instid0(VALU_DEP_1) | instskip(SKIP_1) | instid1(VALU_DEP_3)
	v_sub_co_u32 v6, vcc_lo, v3, v7
	s_wait_alu 0xfffd
	v_sub_co_ci_u32_e64 v7, null, v4, v7, vcc_lo
.LBB34_5:                               ;   in Loop: Header=BB34_3 Depth=1
	s_wait_alu 0xfffe
	s_and_not1_saveexec_b32 s0, s1
	s_cbranch_execz .LBB34_7
; %bb.6:                                ;   in Loop: Header=BB34_3 Depth=1
	s_sub_co_i32 s1, 0, s8
	v_mov_b32_e32 v7, v2
	s_wait_alu 0xfffe
	v_mul_lo_u32 v3, s1, v20
	s_delay_alu instid0(VALU_DEP_1) | instskip(NEXT) | instid1(VALU_DEP_1)
	v_mul_hi_u32 v3, v20, v3
	v_add_nc_u32_e32 v3, v20, v3
	s_delay_alu instid0(VALU_DEP_1) | instskip(NEXT) | instid1(VALU_DEP_1)
	v_mul_hi_u32 v3, v0, v3
	v_mul_lo_u32 v4, v3, s8
	s_delay_alu instid0(VALU_DEP_1) | instskip(NEXT) | instid1(VALU_DEP_1)
	v_sub_nc_u32_e32 v4, v0, v4
	v_subrev_nc_u32_e32 v6, s8, v4
	v_cmp_le_u32_e32 vcc_lo, s8, v4
	s_wait_alu 0xfffd
	s_delay_alu instid0(VALU_DEP_2) | instskip(NEXT) | instid1(VALU_DEP_1)
	v_dual_cndmask_b32 v4, v4, v6 :: v_dual_add_nc_u32 v5, 1, v3
	v_cndmask_b32_e32 v3, v3, v5, vcc_lo
	s_delay_alu instid0(VALU_DEP_2) | instskip(NEXT) | instid1(VALU_DEP_2)
	v_cmp_le_u32_e32 vcc_lo, s8, v4
	v_add_nc_u32_e32 v5, 1, v3
	s_wait_alu 0xfffd
	s_delay_alu instid0(VALU_DEP_1)
	v_cndmask_b32_e32 v6, v3, v5, vcc_lo
.LBB34_7:                               ;   in Loop: Header=BB34_3 Depth=1
	s_wait_alu 0xfffe
	s_or_b32 exec_lo, exec_lo, s0
	v_or_b32_e32 v3, s13, v7
                                        ; implicit-def: $vgpr8_vgpr9
	s_mov_b32 s0, exec_lo
	s_delay_alu instid0(VALU_DEP_1)
	v_cmpx_ne_u64_e32 0, v[2:3]
	s_wait_alu 0xfffe
	s_xor_b32 s1, exec_lo, s0
	s_cbranch_execz .LBB34_9
; %bb.8:                                ;   in Loop: Header=BB34_3 Depth=1
	s_ashr_i32 s2, s13, 31
	v_ashrrev_i32_e32 v5, 31, v7
	s_wait_alu 0xfffe
	s_mov_b32 s3, s2
	s_wait_alu 0xfffe
	s_add_nc_u64 s[38:39], s[12:13], s[2:3]
	v_add_co_u32 v3, vcc_lo, v6, v5
	s_wait_alu 0xfffe
	s_xor_b64 s[38:39], s[38:39], s[2:3]
	s_wait_alu 0xfffd
	v_add_co_ci_u32_e64 v4, null, v7, v5, vcc_lo
	s_wait_alu 0xfffe
	s_cvt_f32_u32 s0, s38
	s_cvt_f32_u32 s3, s39
	s_sub_nc_u64 s[42:43], 0, s[38:39]
	v_xor_b32_e32 v12, v3, v5
	v_xor_b32_e32 v13, v4, v5
	s_wait_alu 0xfffe
	s_fmamk_f32 s0, s3, 0x4f800000, s0
	v_xor_b32_e32 v5, s2, v5
	s_wait_alu 0xfffe
	s_delay_alu instid0(SALU_CYCLE_1) | instskip(NEXT) | instid1(TRANS32_DEP_1)
	v_s_rcp_f32 s0, s0
	s_mul_f32 s0, s0, 0x5f7ffffc
	s_wait_alu 0xfffe
	s_delay_alu instid0(SALU_CYCLE_2) | instskip(SKIP_1) | instid1(SALU_CYCLE_2)
	s_mul_f32 s3, s0, 0x2f800000
	s_wait_alu 0xfffe
	s_trunc_f32 s3, s3
	s_wait_alu 0xfffe
	s_delay_alu instid0(SALU_CYCLE_2) | instskip(SKIP_2) | instid1(SALU_CYCLE_1)
	s_fmamk_f32 s0, s3, 0xcf800000, s0
	s_cvt_u32_f32 s41, s3
	s_wait_alu 0xfffe
	s_cvt_u32_f32 s40, s0
	s_delay_alu instid0(SALU_CYCLE_3)
	s_mul_u64 s[44:45], s[42:43], s[40:41]
	s_wait_alu 0xfffe
	s_mul_hi_u32 s47, s40, s45
	s_mul_i32 s46, s40, s45
	s_mul_hi_u32 s14, s40, s44
	s_mul_i32 s3, s41, s44
	s_wait_alu 0xfffe
	s_add_nc_u64 s[46:47], s[14:15], s[46:47]
	s_mul_hi_u32 s0, s41, s44
	s_mul_hi_u32 s37, s41, s45
	s_wait_alu 0xfffe
	s_add_co_u32 s3, s46, s3
	s_add_co_ci_u32 s14, s47, s0
	s_mul_i32 s44, s41, s45
	s_add_co_ci_u32 s45, s37, 0
	s_wait_alu 0xfffe
	s_add_nc_u64 s[44:45], s[14:15], s[44:45]
	s_wait_alu 0xfffe
	s_add_co_u32 s40, s40, s44
	s_cselect_b32 s0, -1, 0
	s_wait_alu 0xfffe
	s_cmp_lg_u32 s0, 0
	s_add_co_ci_u32 s41, s41, s45
	s_delay_alu instid0(SALU_CYCLE_1) | instskip(NEXT) | instid1(SALU_CYCLE_1)
	s_mul_u64 s[42:43], s[42:43], s[40:41]
	s_mul_hi_u32 s45, s40, s43
	s_mul_i32 s44, s40, s43
	s_mul_hi_u32 s14, s40, s42
	s_mul_i32 s3, s41, s42
	s_wait_alu 0xfffe
	s_add_nc_u64 s[44:45], s[14:15], s[44:45]
	s_mul_hi_u32 s0, s41, s42
	s_mul_hi_u32 s37, s41, s43
	s_wait_alu 0xfffe
	s_add_co_u32 s3, s44, s3
	s_add_co_ci_u32 s14, s45, s0
	s_mul_i32 s42, s41, s43
	s_add_co_ci_u32 s43, s37, 0
	s_wait_alu 0xfffe
	s_add_nc_u64 s[42:43], s[14:15], s[42:43]
	s_delay_alu instid0(SALU_CYCLE_1)
	s_add_co_u32 s0, s40, s42
	s_cselect_b32 s3, -1, 0
	s_wait_alu 0xfffe
	v_mul_hi_u32 v14, v12, s0
	s_cmp_lg_u32 s3, 0
	v_mad_co_u64_u32 v[8:9], null, v13, s0, 0
	s_add_co_ci_u32 s3, s41, s43
	s_wait_alu 0xfffe
	v_mad_co_u64_u32 v[3:4], null, v12, s3, 0
	v_mad_co_u64_u32 v[10:11], null, v13, s3, 0
	s_delay_alu instid0(VALU_DEP_2) | instskip(SKIP_1) | instid1(VALU_DEP_3)
	v_add_co_u32 v3, vcc_lo, v14, v3
	s_wait_alu 0xfffd
	v_add_co_ci_u32_e64 v4, null, 0, v4, vcc_lo
	s_delay_alu instid0(VALU_DEP_2) | instskip(SKIP_1) | instid1(VALU_DEP_2)
	v_add_co_u32 v3, vcc_lo, v3, v8
	s_wait_alu 0xfffd
	v_add_co_ci_u32_e32 v3, vcc_lo, v4, v9, vcc_lo
	s_wait_alu 0xfffd
	v_add_co_ci_u32_e32 v4, vcc_lo, 0, v11, vcc_lo
	s_delay_alu instid0(VALU_DEP_2) | instskip(SKIP_1) | instid1(VALU_DEP_2)
	v_add_co_u32 v8, vcc_lo, v3, v10
	s_wait_alu 0xfffd
	v_add_co_ci_u32_e64 v9, null, 0, v4, vcc_lo
	s_delay_alu instid0(VALU_DEP_2) | instskip(SKIP_1) | instid1(VALU_DEP_3)
	v_mul_lo_u32 v10, s39, v8
	v_mad_co_u64_u32 v[3:4], null, s38, v8, 0
	v_mul_lo_u32 v11, s38, v9
	s_delay_alu instid0(VALU_DEP_2) | instskip(NEXT) | instid1(VALU_DEP_2)
	v_sub_co_u32 v3, vcc_lo, v12, v3
	v_add3_u32 v4, v4, v11, v10
	v_add_co_u32 v11, s0, v8, 2
	s_wait_alu 0xf1ff
	v_add_co_ci_u32_e64 v12, null, 0, v9, s0
	s_delay_alu instid0(VALU_DEP_3) | instskip(SKIP_3) | instid1(VALU_DEP_3)
	v_sub_nc_u32_e32 v10, v13, v4
	v_sub_co_u32 v14, s0, v3, s38
	s_wait_alu 0xfffd
	v_sub_co_ci_u32_e64 v4, null, v13, v4, vcc_lo
	v_subrev_co_ci_u32_e64 v10, null, s39, v10, vcc_lo
	s_delay_alu instid0(VALU_DEP_3) | instskip(SKIP_1) | instid1(VALU_DEP_2)
	v_cmp_le_u32_e32 vcc_lo, s38, v14
	s_wait_alu 0xf1ff
	v_subrev_co_ci_u32_e64 v10, null, 0, v10, s0
	s_wait_alu 0xfffd
	v_cndmask_b32_e64 v13, 0, -1, vcc_lo
	s_delay_alu instid0(VALU_DEP_2)
	v_cmp_le_u32_e32 vcc_lo, s39, v10
	s_wait_alu 0xfffd
	v_cndmask_b32_e64 v14, 0, -1, vcc_lo
	v_cmp_le_u32_e32 vcc_lo, s38, v3
	s_wait_alu 0xfffd
	v_cndmask_b32_e64 v3, 0, -1, vcc_lo
	;; [unrolled: 3-line block ×3, first 2 shown]
	v_cmp_eq_u32_e32 vcc_lo, s39, v10
	s_wait_alu 0xfffd
	v_cndmask_b32_e32 v10, v14, v13, vcc_lo
	v_add_co_u32 v13, vcc_lo, v8, 1
	s_wait_alu 0xfffd
	v_add_co_ci_u32_e64 v14, null, 0, v9, vcc_lo
	v_cmp_eq_u32_e32 vcc_lo, s39, v4
	s_wait_alu 0xfffd
	v_cndmask_b32_e32 v3, v15, v3, vcc_lo
	v_cmp_ne_u32_e32 vcc_lo, 0, v10
	s_delay_alu instid0(VALU_DEP_2) | instskip(SKIP_3) | instid1(VALU_DEP_1)
	v_cmp_ne_u32_e64 s0, 0, v3
	s_wait_alu 0xfffd
	v_dual_cndmask_b32 v4, v14, v12 :: v_dual_cndmask_b32 v3, v13, v11
	s_wait_alu 0xf1ff
	v_cndmask_b32_e64 v4, v9, v4, s0
	s_delay_alu instid0(VALU_DEP_2) | instskip(NEXT) | instid1(VALU_DEP_2)
	v_cndmask_b32_e64 v3, v8, v3, s0
	v_xor_b32_e32 v4, v4, v5
	s_delay_alu instid0(VALU_DEP_2) | instskip(NEXT) | instid1(VALU_DEP_1)
	v_xor_b32_e32 v3, v3, v5
	v_sub_co_u32 v8, vcc_lo, v3, v5
	s_wait_alu 0xfffd
	s_delay_alu instid0(VALU_DEP_3)
	v_sub_co_ci_u32_e64 v9, null, v4, v5, vcc_lo
.LBB34_9:                               ;   in Loop: Header=BB34_3 Depth=1
	s_wait_alu 0xfffe
	s_and_not1_saveexec_b32 s0, s1
	s_cbranch_execz .LBB34_11
; %bb.10:                               ;   in Loop: Header=BB34_3 Depth=1
	s_sub_co_i32 s1, 0, s12
	v_mov_b32_e32 v9, v2
	s_wait_alu 0xfffe
	v_mul_lo_u32 v3, s1, v21
	s_delay_alu instid0(VALU_DEP_1) | instskip(NEXT) | instid1(VALU_DEP_1)
	v_mul_hi_u32 v3, v21, v3
	v_add_nc_u32_e32 v3, v21, v3
	s_delay_alu instid0(VALU_DEP_1) | instskip(NEXT) | instid1(VALU_DEP_1)
	v_mul_hi_u32 v3, v6, v3
	v_mul_lo_u32 v4, v3, s12
	v_add_nc_u32_e32 v5, 1, v3
	s_delay_alu instid0(VALU_DEP_2) | instskip(NEXT) | instid1(VALU_DEP_1)
	v_sub_nc_u32_e32 v4, v6, v4
	v_subrev_nc_u32_e32 v8, s12, v4
	v_cmp_le_u32_e32 vcc_lo, s12, v4
	s_wait_alu 0xfffd
	s_delay_alu instid0(VALU_DEP_2) | instskip(NEXT) | instid1(VALU_DEP_1)
	v_dual_cndmask_b32 v4, v4, v8 :: v_dual_cndmask_b32 v3, v3, v5
	v_cmp_le_u32_e32 vcc_lo, s12, v4
	s_delay_alu instid0(VALU_DEP_2) | instskip(SKIP_1) | instid1(VALU_DEP_1)
	v_add_nc_u32_e32 v5, 1, v3
	s_wait_alu 0xfffd
	v_cndmask_b32_e32 v8, v3, v5, vcc_lo
.LBB34_11:                              ;   in Loop: Header=BB34_3 Depth=1
	s_wait_alu 0xfffe
	s_or_b32 exec_lo, exec_lo, s0
	v_mul_lo_u32 v5, v7, s8
	v_mul_lo_u32 v12, v6, s9
	v_mad_co_u64_u32 v[3:4], null, v6, s8, 0
	v_mul_lo_u32 v13, v9, s12
	v_mul_lo_u32 v14, v8, s13
	v_mad_co_u64_u32 v[10:11], null, v8, s12, 0
	s_mov_b32 s37, exec_lo
	v_add3_u32 v5, v4, v12, v5
	v_sub_co_u32 v4, vcc_lo, v0, v3
	v_add3_u32 v11, v11, v14, v13
	s_wait_alu 0xfffd
	s_delay_alu instid0(VALU_DEP_3) | instskip(SKIP_3) | instid1(VALU_DEP_2)
	v_sub_co_ci_u32_e64 v5, null, v1, v5, vcc_lo
	v_sub_co_u32 v22, vcc_lo, v6, v10
	s_wait_alu 0xfffd
	v_sub_co_ci_u32_e64 v23, null, v7, v11, vcc_lo
	v_sub_co_u32 v6, vcc_lo, v4, v22
	s_wait_alu 0xfffd
	s_delay_alu instid0(VALU_DEP_2) | instskip(NEXT) | instid1(VALU_DEP_2)
	v_sub_co_ci_u32_e64 v7, null, v5, v23, vcc_lo
	v_add_co_u32 v10, vcc_lo, v6, 2
	s_wait_alu 0xfffd
	s_delay_alu instid0(VALU_DEP_2) | instskip(NEXT) | instid1(VALU_DEP_1)
	v_add_co_ci_u32_e64 v11, null, 0, v7, vcc_lo
	v_cmpx_lt_i64_e64 s[4:5], v[10:11]
	s_cbranch_execz .LBB34_2
; %bb.12:                               ;   in Loop: Header=BB34_3 Depth=1
	s_load_b128 s[0:3], s[22:23], 0xc0
	s_and_not1_b32 vcc_lo, exec_lo, s33
	s_wait_kmcnt 0x0
	v_mul_lo_u32 v3, s3, v4
	v_mul_lo_u32 v12, s2, v5
	v_mad_co_u64_u32 v[10:11], null, s2, v4, 0
	s_delay_alu instid0(VALU_DEP_1) | instskip(SKIP_2) | instid1(VALU_DEP_3)
	v_add3_u32 v11, v11, v12, v3
	v_mul_lo_u32 v3, s0, v23
	v_mul_lo_u32 v12, s1, v22
	v_mad_co_u64_u32 v[10:11], null, s0, v22, v[10:11]
	s_delay_alu instid0(VALU_DEP_1)
	v_add3_u32 v11, v12, v11, v3
	s_wait_alu 0xfffe
	s_cbranch_vccnz .LBB34_38
; %bb.13:                               ;   in Loop: Header=BB34_3 Depth=1
	s_mov_b64 s[38:39], s[26:27]
	s_mov_b64 s[40:41], s[30:31]
	s_and_not1_b32 vcc_lo, exec_lo, s63
	s_mov_b64 s[44:45], s[28:29]
	s_mov_b64 s[42:43], s[20:21]
	s_wait_alu 0xfffe
	s_cbranch_vccz .LBB34_17
.LBB34_14:                              ;   in Loop: Header=BB34_3 Depth=1
	s_and_not1_b32 vcc_lo, exec_lo, s64
	s_wait_alu 0xfffe
	s_cbranch_vccnz .LBB34_38
; %bb.15:                               ;   in Loop: Header=BB34_3 Depth=1
	s_lshl_b64 s[0:1], s[42:43], 3
	s_add_nc_u64 s[42:43], s[42:43], 1
	s_wait_alu 0xfffe
	s_add_nc_u64 s[38:39], s[16:17], s[0:1]
	s_add_nc_u64 s[40:41], s[34:35], s[0:1]
	s_branch .LBB34_22
.LBB34_16:                              ;   in Loop: Header=BB34_17 Depth=2
	s_wait_alu 0xfffe
	s_or_b32 exec_lo, exec_lo, s0
	s_load_b64 s[0:1], s[44:45], 0x0
	v_mul_lo_u32 v3, v13, s46
	v_mul_lo_u32 v16, v12, s47
	v_mad_co_u64_u32 v[14:15], null, v12, s46, 0
	s_add_nc_u64 s[38:39], s[38:39], -1
	s_add_nc_u64 s[42:43], s[42:43], -1
	;; [unrolled: 1-line block ×3, first 2 shown]
	s_wait_alu 0xfffe
	s_cmp_lg_u64 s[38:39], 0
	s_add_nc_u64 s[40:41], s[40:41], -8
	v_add3_u32 v3, v15, v16, v3
	v_sub_co_u32 v8, vcc_lo, v8, v14
	s_wait_alu 0xfffd
	s_delay_alu instid0(VALU_DEP_2) | instskip(SKIP_1) | instid1(VALU_DEP_2)
	v_sub_co_ci_u32_e64 v3, null, v9, v3, vcc_lo
	s_wait_kmcnt 0x0
	v_mul_lo_u32 v9, s1, v8
	s_delay_alu instid0(VALU_DEP_2) | instskip(SKIP_1) | instid1(VALU_DEP_1)
	v_mul_lo_u32 v3, s0, v3
	v_mad_co_u64_u32 v[10:11], null, s0, v8, v[10:11]
	v_add3_u32 v11, v9, v11, v3
	v_dual_mov_b32 v8, v12 :: v_dual_mov_b32 v9, v13
	s_cbranch_scc0 .LBB34_14
.LBB34_17:                              ;   Parent Loop BB34_3 Depth=1
                                        ; =>  This Inner Loop Header: Depth=2
	s_load_b64 s[46:47], s[40:41], 0x0
                                        ; implicit-def: $vgpr12_vgpr13
	s_mov_b32 s0, exec_lo
	s_wait_kmcnt 0x0
	v_or_b32_e32 v3, s47, v9
	s_delay_alu instid0(VALU_DEP_1)
	v_cmpx_ne_u64_e32 0, v[2:3]
	s_wait_alu 0xfffe
	s_xor_b32 s1, exec_lo, s0
	s_cbranch_execz .LBB34_19
; %bb.18:                               ;   in Loop: Header=BB34_17 Depth=2
	s_ashr_i32 s48, s47, 31
	v_ashrrev_i32_e32 v3, 31, v9
	s_wait_alu 0xfffe
	s_mov_b32 s49, s48
	s_wait_alu 0xfffe
	s_add_nc_u64 s[50:51], s[46:47], s[48:49]
	v_add_co_u32 v12, vcc_lo, v8, v3
	s_wait_alu 0xfffe
	s_xor_b64 s[50:51], s[50:51], s[48:49]
	s_wait_alu 0xfffd
	v_add_co_ci_u32_e64 v13, null, v9, v3, vcc_lo
	s_wait_alu 0xfffe
	s_cvt_f32_u32 s0, s50
	s_cvt_f32_u32 s14, s51
	s_sub_nc_u64 s[54:55], 0, s[50:51]
	v_xor_b32_e32 v18, v12, v3
	v_xor_b32_e32 v19, v13, v3
	s_wait_alu 0xfffe
	s_fmamk_f32 s0, s14, 0x4f800000, s0
	v_xor_b32_e32 v3, s48, v3
	s_wait_alu 0xfffe
	s_delay_alu instid0(SALU_CYCLE_1) | instskip(NEXT) | instid1(TRANS32_DEP_1)
	v_s_rcp_f32 s0, s0
	s_mul_f32 s0, s0, 0x5f7ffffc
	s_wait_alu 0xfffe
	s_delay_alu instid0(SALU_CYCLE_2) | instskip(SKIP_1) | instid1(SALU_CYCLE_2)
	s_mul_f32 s14, s0, 0x2f800000
	s_wait_alu 0xfffe
	s_trunc_f32 s14, s14
	s_wait_alu 0xfffe
	s_delay_alu instid0(SALU_CYCLE_2) | instskip(SKIP_2) | instid1(SALU_CYCLE_1)
	s_fmamk_f32 s0, s14, 0xcf800000, s0
	s_cvt_u32_f32 s53, s14
	s_wait_alu 0xfffe
	s_cvt_u32_f32 s52, s0
	s_wait_alu 0xfffe
	s_delay_alu instid0(SALU_CYCLE_2)
	s_mul_u64 s[56:57], s[54:55], s[52:53]
	s_wait_alu 0xfffe
	s_mul_hi_u32 s59, s52, s57
	s_mul_i32 s58, s52, s57
	s_mul_hi_u32 s14, s52, s56
	s_mul_i32 s49, s53, s56
	s_wait_alu 0xfffe
	s_add_nc_u64 s[58:59], s[14:15], s[58:59]
	s_mul_hi_u32 s0, s53, s56
	s_mul_hi_u32 s60, s53, s57
	s_wait_alu 0xfffe
	s_add_co_u32 s14, s58, s49
	s_add_co_ci_u32 s14, s59, s0
	s_mul_i32 s56, s53, s57
	s_add_co_ci_u32 s57, s60, 0
	s_wait_alu 0xfffe
	s_add_nc_u64 s[56:57], s[14:15], s[56:57]
	s_wait_alu 0xfffe
	s_add_co_u32 s52, s52, s56
	s_cselect_b32 s0, -1, 0
	s_wait_alu 0xfffe
	s_cmp_lg_u32 s0, 0
	s_add_co_ci_u32 s53, s53, s57
	s_wait_alu 0xfffe
	s_mul_u64 s[54:55], s[54:55], s[52:53]
	s_wait_alu 0xfffe
	s_mul_hi_u32 s57, s52, s55
	s_mul_i32 s56, s52, s55
	s_mul_hi_u32 s14, s52, s54
	s_mul_i32 s49, s53, s54
	s_wait_alu 0xfffe
	s_add_nc_u64 s[56:57], s[14:15], s[56:57]
	s_mul_hi_u32 s0, s53, s54
	s_mul_hi_u32 s58, s53, s55
	s_wait_alu 0xfffe
	s_add_co_u32 s14, s56, s49
	s_add_co_ci_u32 s14, s57, s0
	s_mul_i32 s54, s53, s55
	s_add_co_ci_u32 s55, s58, 0
	s_wait_alu 0xfffe
	s_add_nc_u64 s[54:55], s[14:15], s[54:55]
	s_wait_alu 0xfffe
	s_add_co_u32 s0, s52, s54
	s_cselect_b32 s14, -1, 0
	s_wait_alu 0xfffe
	v_mul_hi_u32 v24, v18, s0
	s_cmp_lg_u32 s14, 0
	v_mad_co_u64_u32 v[14:15], null, v19, s0, 0
	s_add_co_ci_u32 s14, s53, s55
	s_wait_alu 0xfffe
	v_mad_co_u64_u32 v[12:13], null, v18, s14, 0
	v_mad_co_u64_u32 v[16:17], null, v19, s14, 0
	s_delay_alu instid0(VALU_DEP_2) | instskip(SKIP_1) | instid1(VALU_DEP_3)
	v_add_co_u32 v12, vcc_lo, v24, v12
	s_wait_alu 0xfffd
	v_add_co_ci_u32_e64 v13, null, 0, v13, vcc_lo
	s_delay_alu instid0(VALU_DEP_2) | instskip(SKIP_1) | instid1(VALU_DEP_2)
	v_add_co_u32 v12, vcc_lo, v12, v14
	s_wait_alu 0xfffd
	v_add_co_ci_u32_e32 v12, vcc_lo, v13, v15, vcc_lo
	s_wait_alu 0xfffd
	v_add_co_ci_u32_e32 v13, vcc_lo, 0, v17, vcc_lo
	s_delay_alu instid0(VALU_DEP_2) | instskip(SKIP_1) | instid1(VALU_DEP_2)
	v_add_co_u32 v14, vcc_lo, v12, v16
	s_wait_alu 0xfffd
	v_add_co_ci_u32_e64 v15, null, 0, v13, vcc_lo
	s_delay_alu instid0(VALU_DEP_2) | instskip(SKIP_1) | instid1(VALU_DEP_3)
	v_mul_lo_u32 v16, s51, v14
	v_mad_co_u64_u32 v[12:13], null, s50, v14, 0
	v_mul_lo_u32 v17, s50, v15
	s_delay_alu instid0(VALU_DEP_2) | instskip(NEXT) | instid1(VALU_DEP_2)
	v_sub_co_u32 v12, vcc_lo, v18, v12
	v_add3_u32 v13, v13, v17, v16
	v_add_co_u32 v17, s0, v14, 2
	s_wait_alu 0xf1ff
	v_add_co_ci_u32_e64 v18, null, 0, v15, s0
	s_delay_alu instid0(VALU_DEP_3) | instskip(SKIP_3) | instid1(VALU_DEP_3)
	v_sub_nc_u32_e32 v16, v19, v13
	v_sub_co_u32 v24, s0, v12, s50
	s_wait_alu 0xfffd
	v_sub_co_ci_u32_e64 v13, null, v19, v13, vcc_lo
	v_subrev_co_ci_u32_e64 v16, null, s51, v16, vcc_lo
	s_delay_alu instid0(VALU_DEP_3) | instskip(SKIP_1) | instid1(VALU_DEP_2)
	v_cmp_le_u32_e32 vcc_lo, s50, v24
	s_wait_alu 0xf1ff
	v_subrev_co_ci_u32_e64 v16, null, 0, v16, s0
	s_wait_alu 0xfffd
	v_cndmask_b32_e64 v19, 0, -1, vcc_lo
	s_delay_alu instid0(VALU_DEP_2)
	v_cmp_le_u32_e32 vcc_lo, s51, v16
	s_wait_alu 0xfffd
	v_cndmask_b32_e64 v24, 0, -1, vcc_lo
	v_cmp_le_u32_e32 vcc_lo, s50, v12
	s_wait_alu 0xfffd
	v_cndmask_b32_e64 v12, 0, -1, vcc_lo
	;; [unrolled: 3-line block ×3, first 2 shown]
	v_cmp_eq_u32_e32 vcc_lo, s51, v16
	s_wait_alu 0xfffd
	v_cndmask_b32_e32 v16, v24, v19, vcc_lo
	v_add_co_u32 v19, vcc_lo, v14, 1
	s_wait_alu 0xfffd
	v_add_co_ci_u32_e64 v24, null, 0, v15, vcc_lo
	v_cmp_eq_u32_e32 vcc_lo, s51, v13
	s_wait_alu 0xfffd
	v_cndmask_b32_e32 v12, v25, v12, vcc_lo
	v_cmp_ne_u32_e32 vcc_lo, 0, v16
	s_wait_alu 0xfffd
	v_cndmask_b32_e32 v13, v24, v18, vcc_lo
	s_delay_alu instid0(VALU_DEP_3) | instskip(SKIP_2) | instid1(VALU_DEP_2)
	v_cmp_ne_u32_e64 s0, 0, v12
	v_cndmask_b32_e32 v12, v19, v17, vcc_lo
	s_wait_alu 0xf1ff
	v_cndmask_b32_e64 v13, v15, v13, s0
	s_delay_alu instid0(VALU_DEP_2) | instskip(NEXT) | instid1(VALU_DEP_2)
	v_cndmask_b32_e64 v12, v14, v12, s0
	v_xor_b32_e32 v13, v13, v3
	s_delay_alu instid0(VALU_DEP_2) | instskip(NEXT) | instid1(VALU_DEP_1)
	v_xor_b32_e32 v12, v12, v3
	v_sub_co_u32 v12, vcc_lo, v12, v3
	s_wait_alu 0xfffd
	s_delay_alu instid0(VALU_DEP_3)
	v_sub_co_ci_u32_e64 v13, null, v13, v3, vcc_lo
.LBB34_19:                              ;   in Loop: Header=BB34_17 Depth=2
	s_wait_alu 0xfffe
	s_and_not1_saveexec_b32 s0, s1
	s_cbranch_execz .LBB34_16
; %bb.20:                               ;   in Loop: Header=BB34_17 Depth=2
	v_cvt_f32_u32_e32 v3, s46
	s_sub_co_i32 s1, 0, s46
	s_delay_alu instid0(VALU_DEP_1) | instskip(NEXT) | instid1(TRANS32_DEP_1)
	v_rcp_iflag_f32_e32 v3, v3
	v_mul_f32_e32 v3, 0x4f7ffffe, v3
	s_delay_alu instid0(VALU_DEP_1) | instskip(SKIP_1) | instid1(VALU_DEP_1)
	v_cvt_u32_f32_e32 v3, v3
	s_wait_alu 0xfffe
	v_mul_lo_u32 v12, s1, v3
	s_delay_alu instid0(VALU_DEP_1) | instskip(NEXT) | instid1(VALU_DEP_1)
	v_mul_hi_u32 v12, v3, v12
	v_add_nc_u32_e32 v3, v3, v12
	s_delay_alu instid0(VALU_DEP_1) | instskip(NEXT) | instid1(VALU_DEP_1)
	v_mul_hi_u32 v3, v8, v3
	v_mul_lo_u32 v12, v3, s46
	v_add_nc_u32_e32 v13, 1, v3
	s_delay_alu instid0(VALU_DEP_2) | instskip(NEXT) | instid1(VALU_DEP_1)
	v_sub_nc_u32_e32 v12, v8, v12
	v_subrev_nc_u32_e32 v14, s46, v12
	v_cmp_le_u32_e32 vcc_lo, s46, v12
	s_wait_alu 0xfffd
	s_delay_alu instid0(VALU_DEP_2) | instskip(NEXT) | instid1(VALU_DEP_1)
	v_dual_cndmask_b32 v12, v12, v14 :: v_dual_cndmask_b32 v3, v3, v13
	v_cmp_le_u32_e32 vcc_lo, s46, v12
	s_delay_alu instid0(VALU_DEP_2) | instskip(SKIP_1) | instid1(VALU_DEP_1)
	v_add_nc_u32_e32 v13, 1, v3
	s_wait_alu 0xfffd
	v_dual_cndmask_b32 v12, v3, v13 :: v_dual_mov_b32 v13, v2
	s_branch .LBB34_16
.LBB34_21:                              ;   in Loop: Header=BB34_22 Depth=2
	s_wait_alu 0xfffe
	s_or_b32 exec_lo, exec_lo, s0
	v_mul_lo_u32 v3, v13, s44
	v_mul_lo_u32 v28, v12, s45
	v_mad_co_u64_u32 v[24:25], null, v12, s44, 0
	v_mul_lo_u32 v29, v15, s48
	v_mul_lo_u32 v30, v14, s49
	v_mad_co_u64_u32 v[26:27], null, v14, s48, 0
	s_load_b64 s[0:1], s[38:39], 0x0
	s_add_nc_u64 s[42:43], s[42:43], -4
	v_add3_u32 v3, v25, v28, v3
	v_sub_co_u32 v8, vcc_lo, v8, v24
	v_mul_lo_u32 v24, v17, s52
	v_add3_u32 v25, v27, v30, v29
	s_wait_alu 0xfffd
	v_sub_co_ci_u32_e64 v3, null, v9, v3, vcc_lo
	v_mul_lo_u32 v27, s47, v8
	v_mad_co_u64_u32 v[8:9], null, s46, v8, v[10:11]
	s_delay_alu instid0(VALU_DEP_3)
	v_mul_lo_u32 v3, s46, v3
	v_mul_lo_u32 v28, v16, s53
	v_mad_co_u64_u32 v[10:11], null, v16, s52, 0
	v_sub_co_u32 v12, vcc_lo, v12, v26
	s_wait_alu 0xfffd
	v_sub_co_ci_u32_e64 v13, null, v13, v25, vcc_lo
	v_add3_u32 v9, v27, v9, v3
	s_add_nc_u64 s[38:39], s[38:39], s[18:19]
	s_delay_alu instid0(VALU_DEP_4)
	v_add3_u32 v3, v11, v28, v24
	v_mul_lo_u32 v24, s51, v12
	v_mul_lo_u32 v13, s50, v13
	v_mad_co_u64_u32 v[8:9], null, s50, v12, v[8:9]
	v_sub_co_u32 v12, vcc_lo, v14, v10
	s_wait_alu 0xfffd
	v_sub_co_ci_u32_e64 v3, null, v15, v3, vcc_lo
	v_mul_lo_u32 v14, v19, s56
	v_mul_lo_u32 v15, v18, s57
	v_mad_co_u64_u32 v[10:11], null, v18, s56, 0
	v_add3_u32 v9, v24, v9, v13
	v_mul_lo_u32 v3, s54, v3
	s_cmp_eq_u64 s[42:43], 0
	s_add_nc_u64 s[40:41], s[40:41], s[18:19]
	s_delay_alu instid0(VALU_DEP_2) | instskip(SKIP_4) | instid1(VALU_DEP_2)
	v_mad_co_u64_u32 v[8:9], null, s54, v12, v[8:9]
	v_mul_lo_u32 v12, s55, v12
	v_add3_u32 v11, v11, v15, v14
	v_sub_co_u32 v10, vcc_lo, v16, v10
	s_wait_alu 0xfffd
	v_sub_co_ci_u32_e64 v11, null, v17, v11, vcc_lo
	s_delay_alu instid0(VALU_DEP_4) | instskip(SKIP_2) | instid1(VALU_DEP_3)
	v_add3_u32 v9, v12, v9, v3
	s_wait_kmcnt 0x0
	v_mul_lo_u32 v12, s1, v10
	v_mul_lo_u32 v3, s0, v11
	s_delay_alu instid0(VALU_DEP_3) | instskip(SKIP_1) | instid1(VALU_DEP_2)
	v_mad_co_u64_u32 v[10:11], null, s0, v10, v[8:9]
	v_dual_mov_b32 v8, v18 :: v_dual_mov_b32 v9, v19
	v_add3_u32 v11, v12, v11, v3
	s_cbranch_scc1 .LBB34_38
.LBB34_22:                              ;   Parent Loop BB34_3 Depth=1
                                        ; =>  This Inner Loop Header: Depth=2
	s_load_b64 s[44:45], s[40:41], 0x18
                                        ; implicit-def: $vgpr12_vgpr13
	s_mov_b32 s0, exec_lo
	s_wait_kmcnt 0x0
	v_or_b32_e32 v3, s45, v9
	s_delay_alu instid0(VALU_DEP_1)
	v_cmpx_ne_u64_e32 0, v[2:3]
	s_wait_alu 0xfffe
	s_xor_b32 s1, exec_lo, s0
	s_cbranch_execz .LBB34_24
; %bb.23:                               ;   in Loop: Header=BB34_22 Depth=2
	s_ashr_i32 s46, s45, 31
	v_ashrrev_i32_e32 v3, 31, v9
	s_wait_alu 0xfffe
	s_mov_b32 s47, s46
	s_wait_alu 0xfffe
	s_add_nc_u64 s[48:49], s[44:45], s[46:47]
	v_add_co_u32 v12, vcc_lo, v8, v3
	s_wait_alu 0xfffe
	s_xor_b64 s[48:49], s[48:49], s[46:47]
	s_wait_alu 0xfffd
	v_add_co_ci_u32_e64 v13, null, v9, v3, vcc_lo
	s_wait_alu 0xfffe
	s_cvt_f32_u32 s0, s48
	s_cvt_f32_u32 s14, s49
	s_sub_nc_u64 s[52:53], 0, s[48:49]
	v_xor_b32_e32 v18, v12, v3
	v_xor_b32_e32 v19, v13, v3
	s_wait_alu 0xfffe
	s_fmamk_f32 s0, s14, 0x4f800000, s0
	v_xor_b32_e32 v3, s46, v3
	s_wait_alu 0xfffe
	s_delay_alu instid0(SALU_CYCLE_1) | instskip(NEXT) | instid1(TRANS32_DEP_1)
	v_s_rcp_f32 s0, s0
	s_mul_f32 s0, s0, 0x5f7ffffc
	s_wait_alu 0xfffe
	s_delay_alu instid0(SALU_CYCLE_2) | instskip(SKIP_1) | instid1(SALU_CYCLE_2)
	s_mul_f32 s14, s0, 0x2f800000
	s_wait_alu 0xfffe
	s_trunc_f32 s14, s14
	s_wait_alu 0xfffe
	s_delay_alu instid0(SALU_CYCLE_2) | instskip(SKIP_2) | instid1(SALU_CYCLE_1)
	s_fmamk_f32 s0, s14, 0xcf800000, s0
	s_cvt_u32_f32 s51, s14
	s_wait_alu 0xfffe
	s_cvt_u32_f32 s50, s0
	s_wait_alu 0xfffe
	s_delay_alu instid0(SALU_CYCLE_2)
	s_mul_u64 s[54:55], s[52:53], s[50:51]
	s_wait_alu 0xfffe
	s_mul_hi_u32 s57, s50, s55
	s_mul_i32 s56, s50, s55
	s_mul_hi_u32 s14, s50, s54
	s_mul_i32 s47, s51, s54
	s_wait_alu 0xfffe
	s_add_nc_u64 s[56:57], s[14:15], s[56:57]
	s_mul_hi_u32 s0, s51, s54
	s_mul_hi_u32 s58, s51, s55
	s_wait_alu 0xfffe
	s_add_co_u32 s14, s56, s47
	s_add_co_ci_u32 s14, s57, s0
	s_mul_i32 s54, s51, s55
	s_add_co_ci_u32 s55, s58, 0
	s_wait_alu 0xfffe
	s_add_nc_u64 s[54:55], s[14:15], s[54:55]
	s_wait_alu 0xfffe
	s_add_co_u32 s50, s50, s54
	s_cselect_b32 s0, -1, 0
	s_wait_alu 0xfffe
	s_cmp_lg_u32 s0, 0
	s_add_co_ci_u32 s51, s51, s55
	s_wait_alu 0xfffe
	s_mul_u64 s[52:53], s[52:53], s[50:51]
	s_wait_alu 0xfffe
	s_mul_hi_u32 s55, s50, s53
	s_mul_i32 s54, s50, s53
	s_mul_hi_u32 s14, s50, s52
	s_mul_i32 s47, s51, s52
	s_wait_alu 0xfffe
	s_add_nc_u64 s[54:55], s[14:15], s[54:55]
	s_mul_hi_u32 s0, s51, s52
	s_mul_hi_u32 s56, s51, s53
	s_wait_alu 0xfffe
	s_add_co_u32 s14, s54, s47
	s_add_co_ci_u32 s14, s55, s0
	s_mul_i32 s52, s51, s53
	s_add_co_ci_u32 s53, s56, 0
	s_wait_alu 0xfffe
	s_add_nc_u64 s[52:53], s[14:15], s[52:53]
	s_wait_alu 0xfffe
	s_add_co_u32 s0, s50, s52
	s_cselect_b32 s14, -1, 0
	s_wait_alu 0xfffe
	v_mul_hi_u32 v24, v18, s0
	s_cmp_lg_u32 s14, 0
	v_mad_co_u64_u32 v[14:15], null, v19, s0, 0
	s_add_co_ci_u32 s14, s51, s53
	s_wait_alu 0xfffe
	v_mad_co_u64_u32 v[12:13], null, v18, s14, 0
	v_mad_co_u64_u32 v[16:17], null, v19, s14, 0
	s_delay_alu instid0(VALU_DEP_2) | instskip(SKIP_1) | instid1(VALU_DEP_3)
	v_add_co_u32 v12, vcc_lo, v24, v12
	s_wait_alu 0xfffd
	v_add_co_ci_u32_e64 v13, null, 0, v13, vcc_lo
	s_delay_alu instid0(VALU_DEP_2) | instskip(SKIP_1) | instid1(VALU_DEP_2)
	v_add_co_u32 v12, vcc_lo, v12, v14
	s_wait_alu 0xfffd
	v_add_co_ci_u32_e32 v12, vcc_lo, v13, v15, vcc_lo
	s_wait_alu 0xfffd
	v_add_co_ci_u32_e32 v13, vcc_lo, 0, v17, vcc_lo
	s_delay_alu instid0(VALU_DEP_2) | instskip(SKIP_1) | instid1(VALU_DEP_2)
	v_add_co_u32 v14, vcc_lo, v12, v16
	s_wait_alu 0xfffd
	v_add_co_ci_u32_e64 v15, null, 0, v13, vcc_lo
	s_delay_alu instid0(VALU_DEP_2) | instskip(SKIP_1) | instid1(VALU_DEP_3)
	v_mul_lo_u32 v16, s49, v14
	v_mad_co_u64_u32 v[12:13], null, s48, v14, 0
	v_mul_lo_u32 v17, s48, v15
	s_delay_alu instid0(VALU_DEP_2) | instskip(NEXT) | instid1(VALU_DEP_2)
	v_sub_co_u32 v12, vcc_lo, v18, v12
	v_add3_u32 v13, v13, v17, v16
	v_add_co_u32 v17, s0, v14, 2
	s_wait_alu 0xf1ff
	v_add_co_ci_u32_e64 v18, null, 0, v15, s0
	s_delay_alu instid0(VALU_DEP_3) | instskip(SKIP_3) | instid1(VALU_DEP_3)
	v_sub_nc_u32_e32 v16, v19, v13
	v_sub_co_u32 v24, s0, v12, s48
	s_wait_alu 0xfffd
	v_sub_co_ci_u32_e64 v13, null, v19, v13, vcc_lo
	v_subrev_co_ci_u32_e64 v16, null, s49, v16, vcc_lo
	s_delay_alu instid0(VALU_DEP_3) | instskip(SKIP_1) | instid1(VALU_DEP_2)
	v_cmp_le_u32_e32 vcc_lo, s48, v24
	s_wait_alu 0xf1ff
	v_subrev_co_ci_u32_e64 v16, null, 0, v16, s0
	s_wait_alu 0xfffd
	v_cndmask_b32_e64 v19, 0, -1, vcc_lo
	s_delay_alu instid0(VALU_DEP_2)
	v_cmp_le_u32_e32 vcc_lo, s49, v16
	s_wait_alu 0xfffd
	v_cndmask_b32_e64 v24, 0, -1, vcc_lo
	v_cmp_le_u32_e32 vcc_lo, s48, v12
	s_wait_alu 0xfffd
	v_cndmask_b32_e64 v12, 0, -1, vcc_lo
	;; [unrolled: 3-line block ×3, first 2 shown]
	v_cmp_eq_u32_e32 vcc_lo, s49, v16
	s_wait_alu 0xfffd
	v_cndmask_b32_e32 v16, v24, v19, vcc_lo
	v_add_co_u32 v19, vcc_lo, v14, 1
	s_wait_alu 0xfffd
	v_add_co_ci_u32_e64 v24, null, 0, v15, vcc_lo
	v_cmp_eq_u32_e32 vcc_lo, s49, v13
	s_wait_alu 0xfffd
	v_cndmask_b32_e32 v12, v25, v12, vcc_lo
	v_cmp_ne_u32_e32 vcc_lo, 0, v16
	s_wait_alu 0xfffd
	v_cndmask_b32_e32 v13, v24, v18, vcc_lo
	s_delay_alu instid0(VALU_DEP_3) | instskip(SKIP_2) | instid1(VALU_DEP_2)
	v_cmp_ne_u32_e64 s0, 0, v12
	v_cndmask_b32_e32 v12, v19, v17, vcc_lo
	s_wait_alu 0xf1ff
	v_cndmask_b32_e64 v13, v15, v13, s0
	s_delay_alu instid0(VALU_DEP_2) | instskip(NEXT) | instid1(VALU_DEP_2)
	v_cndmask_b32_e64 v12, v14, v12, s0
	v_xor_b32_e32 v13, v13, v3
	s_delay_alu instid0(VALU_DEP_2) | instskip(NEXT) | instid1(VALU_DEP_1)
	v_xor_b32_e32 v12, v12, v3
	v_sub_co_u32 v12, vcc_lo, v12, v3
	s_wait_alu 0xfffd
	s_delay_alu instid0(VALU_DEP_3)
	v_sub_co_ci_u32_e64 v13, null, v13, v3, vcc_lo
.LBB34_24:                              ;   in Loop: Header=BB34_22 Depth=2
	s_wait_alu 0xfffe
	s_and_not1_saveexec_b32 s0, s1
	s_cbranch_execz .LBB34_26
; %bb.25:                               ;   in Loop: Header=BB34_22 Depth=2
	v_cvt_f32_u32_e32 v3, s44
	s_sub_co_i32 s1, 0, s44
	s_delay_alu instid0(VALU_DEP_1) | instskip(NEXT) | instid1(TRANS32_DEP_1)
	v_rcp_iflag_f32_e32 v3, v3
	v_mul_f32_e32 v3, 0x4f7ffffe, v3
	s_delay_alu instid0(VALU_DEP_1) | instskip(SKIP_1) | instid1(VALU_DEP_1)
	v_cvt_u32_f32_e32 v3, v3
	s_wait_alu 0xfffe
	v_mul_lo_u32 v12, s1, v3
	s_delay_alu instid0(VALU_DEP_1) | instskip(NEXT) | instid1(VALU_DEP_1)
	v_mul_hi_u32 v12, v3, v12
	v_add_nc_u32_e32 v3, v3, v12
	s_delay_alu instid0(VALU_DEP_1) | instskip(NEXT) | instid1(VALU_DEP_1)
	v_mul_hi_u32 v3, v8, v3
	v_mul_lo_u32 v12, v3, s44
	v_add_nc_u32_e32 v13, 1, v3
	s_delay_alu instid0(VALU_DEP_2) | instskip(NEXT) | instid1(VALU_DEP_1)
	v_sub_nc_u32_e32 v12, v8, v12
	v_subrev_nc_u32_e32 v14, s44, v12
	v_cmp_le_u32_e32 vcc_lo, s44, v12
	s_wait_alu 0xfffd
	s_delay_alu instid0(VALU_DEP_2) | instskip(NEXT) | instid1(VALU_DEP_1)
	v_dual_cndmask_b32 v12, v12, v14 :: v_dual_cndmask_b32 v3, v3, v13
	v_cmp_le_u32_e32 vcc_lo, s44, v12
	s_delay_alu instid0(VALU_DEP_2) | instskip(SKIP_1) | instid1(VALU_DEP_1)
	v_add_nc_u32_e32 v13, 1, v3
	s_wait_alu 0xfffd
	v_dual_cndmask_b32 v12, v3, v13 :: v_dual_mov_b32 v13, v2
.LBB34_26:                              ;   in Loop: Header=BB34_22 Depth=2
	s_wait_alu 0xfffe
	s_or_b32 exec_lo, exec_lo, s0
	s_load_b64 s[48:49], s[40:41], 0x10
	s_load_b64 s[46:47], s[38:39], 0x18
                                        ; implicit-def: $vgpr14_vgpr15
	s_mov_b32 s0, exec_lo
	s_wait_kmcnt 0x0
	v_or_b32_e32 v3, s49, v13
	s_delay_alu instid0(VALU_DEP_1)
	v_cmpx_ne_u64_e32 0, v[2:3]
	s_wait_alu 0xfffe
	s_xor_b32 s1, exec_lo, s0
	s_cbranch_execz .LBB34_28
; %bb.27:                               ;   in Loop: Header=BB34_22 Depth=2
	s_ashr_i32 s50, s49, 31
	v_ashrrev_i32_e32 v3, 31, v13
	s_wait_alu 0xfffe
	s_mov_b32 s51, s50
	s_wait_alu 0xfffe
	s_add_nc_u64 s[52:53], s[48:49], s[50:51]
	v_add_co_u32 v14, vcc_lo, v12, v3
	s_wait_alu 0xfffe
	s_xor_b64 s[52:53], s[52:53], s[50:51]
	s_wait_alu 0xfffd
	v_add_co_ci_u32_e64 v15, null, v13, v3, vcc_lo
	s_wait_alu 0xfffe
	s_cvt_f32_u32 s0, s52
	s_cvt_f32_u32 s14, s53
	s_sub_nc_u64 s[56:57], 0, s[52:53]
	v_xor_b32_e32 v24, v14, v3
	v_xor_b32_e32 v25, v15, v3
	s_wait_alu 0xfffe
	s_fmamk_f32 s0, s14, 0x4f800000, s0
	v_xor_b32_e32 v3, s50, v3
	s_wait_alu 0xfffe
	s_delay_alu instid0(SALU_CYCLE_1) | instskip(NEXT) | instid1(TRANS32_DEP_1)
	v_s_rcp_f32 s0, s0
	s_mul_f32 s0, s0, 0x5f7ffffc
	s_wait_alu 0xfffe
	s_delay_alu instid0(SALU_CYCLE_2) | instskip(SKIP_1) | instid1(SALU_CYCLE_2)
	s_mul_f32 s14, s0, 0x2f800000
	s_wait_alu 0xfffe
	s_trunc_f32 s14, s14
	s_wait_alu 0xfffe
	s_delay_alu instid0(SALU_CYCLE_2) | instskip(SKIP_2) | instid1(SALU_CYCLE_1)
	s_fmamk_f32 s0, s14, 0xcf800000, s0
	s_cvt_u32_f32 s55, s14
	s_wait_alu 0xfffe
	s_cvt_u32_f32 s54, s0
	s_wait_alu 0xfffe
	s_delay_alu instid0(SALU_CYCLE_2)
	s_mul_u64 s[58:59], s[56:57], s[54:55]
	s_wait_alu 0xfffe
	s_mul_hi_u32 s61, s54, s59
	s_mul_i32 s60, s54, s59
	s_mul_hi_u32 s14, s54, s58
	s_mul_i32 s51, s55, s58
	s_wait_alu 0xfffe
	s_add_nc_u64 s[60:61], s[14:15], s[60:61]
	s_mul_hi_u32 s0, s55, s58
	s_mul_hi_u32 s66, s55, s59
	s_wait_alu 0xfffe
	s_add_co_u32 s14, s60, s51
	s_add_co_ci_u32 s14, s61, s0
	s_mul_i32 s58, s55, s59
	s_add_co_ci_u32 s59, s66, 0
	s_wait_alu 0xfffe
	s_add_nc_u64 s[58:59], s[14:15], s[58:59]
	s_wait_alu 0xfffe
	s_add_co_u32 s54, s54, s58
	s_cselect_b32 s0, -1, 0
	s_wait_alu 0xfffe
	s_cmp_lg_u32 s0, 0
	s_add_co_ci_u32 s55, s55, s59
	s_wait_alu 0xfffe
	s_mul_u64 s[56:57], s[56:57], s[54:55]
	s_wait_alu 0xfffe
	s_mul_hi_u32 s59, s54, s57
	s_mul_i32 s58, s54, s57
	s_mul_hi_u32 s14, s54, s56
	s_mul_i32 s51, s55, s56
	s_wait_alu 0xfffe
	s_add_nc_u64 s[58:59], s[14:15], s[58:59]
	s_mul_hi_u32 s0, s55, s56
	s_mul_hi_u32 s60, s55, s57
	s_wait_alu 0xfffe
	s_add_co_u32 s14, s58, s51
	s_add_co_ci_u32 s14, s59, s0
	s_mul_i32 s56, s55, s57
	s_add_co_ci_u32 s57, s60, 0
	s_wait_alu 0xfffe
	s_add_nc_u64 s[56:57], s[14:15], s[56:57]
	s_wait_alu 0xfffe
	s_add_co_u32 s0, s54, s56
	s_cselect_b32 s14, -1, 0
	s_wait_alu 0xfffe
	v_mul_hi_u32 v26, v24, s0
	s_cmp_lg_u32 s14, 0
	v_mad_co_u64_u32 v[16:17], null, v25, s0, 0
	s_add_co_ci_u32 s14, s55, s57
	s_wait_alu 0xfffe
	v_mad_co_u64_u32 v[14:15], null, v24, s14, 0
	v_mad_co_u64_u32 v[18:19], null, v25, s14, 0
	s_delay_alu instid0(VALU_DEP_2) | instskip(SKIP_1) | instid1(VALU_DEP_3)
	v_add_co_u32 v14, vcc_lo, v26, v14
	s_wait_alu 0xfffd
	v_add_co_ci_u32_e64 v15, null, 0, v15, vcc_lo
	s_delay_alu instid0(VALU_DEP_2) | instskip(SKIP_1) | instid1(VALU_DEP_2)
	v_add_co_u32 v14, vcc_lo, v14, v16
	s_wait_alu 0xfffd
	v_add_co_ci_u32_e32 v14, vcc_lo, v15, v17, vcc_lo
	s_wait_alu 0xfffd
	v_add_co_ci_u32_e32 v15, vcc_lo, 0, v19, vcc_lo
	s_delay_alu instid0(VALU_DEP_2) | instskip(SKIP_1) | instid1(VALU_DEP_2)
	v_add_co_u32 v16, vcc_lo, v14, v18
	s_wait_alu 0xfffd
	v_add_co_ci_u32_e64 v17, null, 0, v15, vcc_lo
	s_delay_alu instid0(VALU_DEP_2) | instskip(SKIP_1) | instid1(VALU_DEP_3)
	v_mul_lo_u32 v18, s53, v16
	v_mad_co_u64_u32 v[14:15], null, s52, v16, 0
	v_mul_lo_u32 v19, s52, v17
	s_delay_alu instid0(VALU_DEP_2) | instskip(NEXT) | instid1(VALU_DEP_2)
	v_sub_co_u32 v14, vcc_lo, v24, v14
	v_add3_u32 v15, v15, v19, v18
	v_add_co_u32 v19, s0, v16, 2
	s_wait_alu 0xf1ff
	v_add_co_ci_u32_e64 v24, null, 0, v17, s0
	s_delay_alu instid0(VALU_DEP_3) | instskip(SKIP_3) | instid1(VALU_DEP_3)
	v_sub_nc_u32_e32 v18, v25, v15
	v_sub_co_u32 v26, s0, v14, s52
	s_wait_alu 0xfffd
	v_sub_co_ci_u32_e64 v15, null, v25, v15, vcc_lo
	v_subrev_co_ci_u32_e64 v18, null, s53, v18, vcc_lo
	s_delay_alu instid0(VALU_DEP_3) | instskip(SKIP_1) | instid1(VALU_DEP_2)
	v_cmp_le_u32_e32 vcc_lo, s52, v26
	s_wait_alu 0xf1ff
	v_subrev_co_ci_u32_e64 v18, null, 0, v18, s0
	s_wait_alu 0xfffd
	v_cndmask_b32_e64 v25, 0, -1, vcc_lo
	s_delay_alu instid0(VALU_DEP_2)
	v_cmp_le_u32_e32 vcc_lo, s53, v18
	s_wait_alu 0xfffd
	v_cndmask_b32_e64 v26, 0, -1, vcc_lo
	v_cmp_le_u32_e32 vcc_lo, s52, v14
	s_wait_alu 0xfffd
	v_cndmask_b32_e64 v14, 0, -1, vcc_lo
	;; [unrolled: 3-line block ×3, first 2 shown]
	v_cmp_eq_u32_e32 vcc_lo, s53, v18
	s_wait_alu 0xfffd
	v_cndmask_b32_e32 v18, v26, v25, vcc_lo
	v_add_co_u32 v25, vcc_lo, v16, 1
	s_wait_alu 0xfffd
	v_add_co_ci_u32_e64 v26, null, 0, v17, vcc_lo
	v_cmp_eq_u32_e32 vcc_lo, s53, v15
	s_wait_alu 0xfffd
	v_cndmask_b32_e32 v14, v27, v14, vcc_lo
	v_cmp_ne_u32_e32 vcc_lo, 0, v18
	s_wait_alu 0xfffd
	v_cndmask_b32_e32 v15, v26, v24, vcc_lo
	s_delay_alu instid0(VALU_DEP_3) | instskip(SKIP_2) | instid1(VALU_DEP_2)
	v_cmp_ne_u32_e64 s0, 0, v14
	v_cndmask_b32_e32 v14, v25, v19, vcc_lo
	s_wait_alu 0xf1ff
	v_cndmask_b32_e64 v15, v17, v15, s0
	s_delay_alu instid0(VALU_DEP_2) | instskip(NEXT) | instid1(VALU_DEP_2)
	v_cndmask_b32_e64 v14, v16, v14, s0
	v_xor_b32_e32 v15, v15, v3
	s_delay_alu instid0(VALU_DEP_2) | instskip(NEXT) | instid1(VALU_DEP_1)
	v_xor_b32_e32 v14, v14, v3
	v_sub_co_u32 v14, vcc_lo, v14, v3
	s_wait_alu 0xfffd
	s_delay_alu instid0(VALU_DEP_3)
	v_sub_co_ci_u32_e64 v15, null, v15, v3, vcc_lo
.LBB34_28:                              ;   in Loop: Header=BB34_22 Depth=2
	s_wait_alu 0xfffe
	s_and_not1_saveexec_b32 s0, s1
	s_cbranch_execz .LBB34_30
; %bb.29:                               ;   in Loop: Header=BB34_22 Depth=2
	v_cvt_f32_u32_e32 v3, s48
	s_sub_co_i32 s1, 0, s48
	s_delay_alu instid0(VALU_DEP_1) | instskip(NEXT) | instid1(TRANS32_DEP_1)
	v_rcp_iflag_f32_e32 v3, v3
	v_mul_f32_e32 v3, 0x4f7ffffe, v3
	s_delay_alu instid0(VALU_DEP_1) | instskip(SKIP_1) | instid1(VALU_DEP_1)
	v_cvt_u32_f32_e32 v3, v3
	s_wait_alu 0xfffe
	v_mul_lo_u32 v14, s1, v3
	s_delay_alu instid0(VALU_DEP_1) | instskip(NEXT) | instid1(VALU_DEP_1)
	v_mul_hi_u32 v14, v3, v14
	v_add_nc_u32_e32 v3, v3, v14
	s_delay_alu instid0(VALU_DEP_1) | instskip(NEXT) | instid1(VALU_DEP_1)
	v_mul_hi_u32 v3, v12, v3
	v_mul_lo_u32 v14, v3, s48
	v_add_nc_u32_e32 v15, 1, v3
	s_delay_alu instid0(VALU_DEP_2) | instskip(NEXT) | instid1(VALU_DEP_1)
	v_sub_nc_u32_e32 v14, v12, v14
	v_subrev_nc_u32_e32 v16, s48, v14
	v_cmp_le_u32_e32 vcc_lo, s48, v14
	s_wait_alu 0xfffd
	s_delay_alu instid0(VALU_DEP_2) | instskip(NEXT) | instid1(VALU_DEP_1)
	v_dual_cndmask_b32 v14, v14, v16 :: v_dual_cndmask_b32 v3, v3, v15
	v_cmp_le_u32_e32 vcc_lo, s48, v14
	s_delay_alu instid0(VALU_DEP_2) | instskip(SKIP_1) | instid1(VALU_DEP_1)
	v_add_nc_u32_e32 v15, 1, v3
	s_wait_alu 0xfffd
	v_dual_cndmask_b32 v14, v3, v15 :: v_dual_mov_b32 v15, v2
.LBB34_30:                              ;   in Loop: Header=BB34_22 Depth=2
	s_wait_alu 0xfffe
	s_or_b32 exec_lo, exec_lo, s0
	s_load_b64 s[52:53], s[40:41], 0x8
	s_load_b64 s[50:51], s[38:39], 0x10
                                        ; implicit-def: $vgpr16_vgpr17
	s_mov_b32 s0, exec_lo
	s_wait_kmcnt 0x0
	v_or_b32_e32 v3, s53, v15
	s_delay_alu instid0(VALU_DEP_1)
	v_cmpx_ne_u64_e32 0, v[2:3]
	s_wait_alu 0xfffe
	s_xor_b32 s1, exec_lo, s0
	s_cbranch_execz .LBB34_32
; %bb.31:                               ;   in Loop: Header=BB34_22 Depth=2
	s_ashr_i32 s54, s53, 31
	v_ashrrev_i32_e32 v3, 31, v15
	s_wait_alu 0xfffe
	s_mov_b32 s55, s54
	s_wait_alu 0xfffe
	s_add_nc_u64 s[56:57], s[52:53], s[54:55]
	v_add_co_u32 v16, vcc_lo, v14, v3
	s_wait_alu 0xfffe
	s_xor_b64 s[56:57], s[56:57], s[54:55]
	s_wait_alu 0xfffd
	v_add_co_ci_u32_e64 v17, null, v15, v3, vcc_lo
	s_wait_alu 0xfffe
	s_cvt_f32_u32 s0, s56
	s_cvt_f32_u32 s14, s57
	s_sub_nc_u64 s[60:61], 0, s[56:57]
	v_xor_b32_e32 v26, v16, v3
	v_xor_b32_e32 v27, v17, v3
	s_wait_alu 0xfffe
	s_fmamk_f32 s0, s14, 0x4f800000, s0
	v_xor_b32_e32 v3, s54, v3
	s_wait_alu 0xfffe
	s_delay_alu instid0(SALU_CYCLE_1) | instskip(NEXT) | instid1(TRANS32_DEP_1)
	v_s_rcp_f32 s0, s0
	s_mul_f32 s0, s0, 0x5f7ffffc
	s_wait_alu 0xfffe
	s_delay_alu instid0(SALU_CYCLE_2) | instskip(SKIP_1) | instid1(SALU_CYCLE_2)
	s_mul_f32 s14, s0, 0x2f800000
	s_wait_alu 0xfffe
	s_trunc_f32 s14, s14
	s_wait_alu 0xfffe
	s_delay_alu instid0(SALU_CYCLE_2) | instskip(SKIP_2) | instid1(SALU_CYCLE_1)
	s_fmamk_f32 s0, s14, 0xcf800000, s0
	s_cvt_u32_f32 s59, s14
	s_wait_alu 0xfffe
	s_cvt_u32_f32 s58, s0
	s_wait_alu 0xfffe
	s_delay_alu instid0(SALU_CYCLE_2) | instskip(NEXT) | instid1(SALU_CYCLE_1)
	s_mul_u64 s[66:67], s[60:61], s[58:59]
	s_mul_hi_u32 s69, s58, s67
	s_mul_i32 s68, s58, s67
	s_mul_hi_u32 s14, s58, s66
	s_mul_i32 s55, s59, s66
	s_wait_alu 0xfffe
	s_add_nc_u64 s[68:69], s[14:15], s[68:69]
	s_mul_hi_u32 s0, s59, s66
	s_mul_hi_u32 s70, s59, s67
	s_add_co_u32 s14, s68, s55
	s_wait_alu 0xfffe
	s_add_co_ci_u32 s14, s69, s0
	s_mul_i32 s66, s59, s67
	s_add_co_ci_u32 s67, s70, 0
	s_wait_alu 0xfffe
	s_add_nc_u64 s[66:67], s[14:15], s[66:67]
	s_delay_alu instid0(SALU_CYCLE_1)
	s_add_co_u32 s58, s58, s66
	s_cselect_b32 s0, -1, 0
	s_wait_alu 0xfffe
	s_cmp_lg_u32 s0, 0
	s_add_co_ci_u32 s59, s59, s67
	s_wait_alu 0xfffe
	s_mul_u64 s[60:61], s[60:61], s[58:59]
	s_wait_alu 0xfffe
	s_mul_hi_u32 s67, s58, s61
	s_mul_i32 s66, s58, s61
	s_mul_hi_u32 s14, s58, s60
	s_mul_i32 s55, s59, s60
	s_wait_alu 0xfffe
	s_add_nc_u64 s[66:67], s[14:15], s[66:67]
	s_mul_hi_u32 s0, s59, s60
	s_mul_hi_u32 s68, s59, s61
	s_add_co_u32 s14, s66, s55
	s_wait_alu 0xfffe
	s_add_co_ci_u32 s14, s67, s0
	s_mul_i32 s60, s59, s61
	s_add_co_ci_u32 s61, s68, 0
	s_wait_alu 0xfffe
	s_add_nc_u64 s[60:61], s[14:15], s[60:61]
	s_wait_alu 0xfffe
	s_add_co_u32 s0, s58, s60
	s_cselect_b32 s14, -1, 0
	s_wait_alu 0xfffe
	v_mul_hi_u32 v28, v26, s0
	s_cmp_lg_u32 s14, 0
	v_mad_co_u64_u32 v[18:19], null, v27, s0, 0
	s_add_co_ci_u32 s14, s59, s61
	s_wait_alu 0xfffe
	v_mad_co_u64_u32 v[16:17], null, v26, s14, 0
	v_mad_co_u64_u32 v[24:25], null, v27, s14, 0
	s_delay_alu instid0(VALU_DEP_2) | instskip(SKIP_1) | instid1(VALU_DEP_3)
	v_add_co_u32 v16, vcc_lo, v28, v16
	s_wait_alu 0xfffd
	v_add_co_ci_u32_e64 v17, null, 0, v17, vcc_lo
	s_delay_alu instid0(VALU_DEP_2) | instskip(SKIP_1) | instid1(VALU_DEP_2)
	v_add_co_u32 v16, vcc_lo, v16, v18
	s_wait_alu 0xfffd
	v_add_co_ci_u32_e32 v16, vcc_lo, v17, v19, vcc_lo
	s_wait_alu 0xfffd
	v_add_co_ci_u32_e32 v17, vcc_lo, 0, v25, vcc_lo
	s_delay_alu instid0(VALU_DEP_2) | instskip(SKIP_1) | instid1(VALU_DEP_2)
	v_add_co_u32 v18, vcc_lo, v16, v24
	s_wait_alu 0xfffd
	v_add_co_ci_u32_e64 v19, null, 0, v17, vcc_lo
	s_delay_alu instid0(VALU_DEP_2) | instskip(SKIP_1) | instid1(VALU_DEP_3)
	v_mul_lo_u32 v24, s57, v18
	v_mad_co_u64_u32 v[16:17], null, s56, v18, 0
	v_mul_lo_u32 v25, s56, v19
	s_delay_alu instid0(VALU_DEP_2) | instskip(NEXT) | instid1(VALU_DEP_2)
	v_sub_co_u32 v16, vcc_lo, v26, v16
	v_add3_u32 v17, v17, v25, v24
	v_add_co_u32 v25, s0, v18, 2
	s_wait_alu 0xf1ff
	v_add_co_ci_u32_e64 v26, null, 0, v19, s0
	s_delay_alu instid0(VALU_DEP_3) | instskip(SKIP_3) | instid1(VALU_DEP_3)
	v_sub_nc_u32_e32 v24, v27, v17
	v_sub_co_u32 v28, s0, v16, s56
	s_wait_alu 0xfffd
	v_sub_co_ci_u32_e64 v17, null, v27, v17, vcc_lo
	v_subrev_co_ci_u32_e64 v24, null, s57, v24, vcc_lo
	s_delay_alu instid0(VALU_DEP_3) | instskip(SKIP_1) | instid1(VALU_DEP_2)
	v_cmp_le_u32_e32 vcc_lo, s56, v28
	s_wait_alu 0xf1ff
	v_subrev_co_ci_u32_e64 v24, null, 0, v24, s0
	s_wait_alu 0xfffd
	v_cndmask_b32_e64 v27, 0, -1, vcc_lo
	s_delay_alu instid0(VALU_DEP_2)
	v_cmp_le_u32_e32 vcc_lo, s57, v24
	s_wait_alu 0xfffd
	v_cndmask_b32_e64 v28, 0, -1, vcc_lo
	v_cmp_le_u32_e32 vcc_lo, s56, v16
	s_wait_alu 0xfffd
	v_cndmask_b32_e64 v16, 0, -1, vcc_lo
	;; [unrolled: 3-line block ×3, first 2 shown]
	v_cmp_eq_u32_e32 vcc_lo, s57, v24
	s_wait_alu 0xfffd
	v_cndmask_b32_e32 v24, v28, v27, vcc_lo
	v_add_co_u32 v27, vcc_lo, v18, 1
	s_wait_alu 0xfffd
	v_add_co_ci_u32_e64 v28, null, 0, v19, vcc_lo
	v_cmp_eq_u32_e32 vcc_lo, s57, v17
	s_wait_alu 0xfffd
	v_cndmask_b32_e32 v16, v29, v16, vcc_lo
	v_cmp_ne_u32_e32 vcc_lo, 0, v24
	s_wait_alu 0xfffd
	v_cndmask_b32_e32 v17, v28, v26, vcc_lo
	s_delay_alu instid0(VALU_DEP_3) | instskip(SKIP_2) | instid1(VALU_DEP_2)
	v_cmp_ne_u32_e64 s0, 0, v16
	v_cndmask_b32_e32 v16, v27, v25, vcc_lo
	s_wait_alu 0xf1ff
	v_cndmask_b32_e64 v17, v19, v17, s0
	s_delay_alu instid0(VALU_DEP_2) | instskip(NEXT) | instid1(VALU_DEP_2)
	v_cndmask_b32_e64 v16, v18, v16, s0
	v_xor_b32_e32 v17, v17, v3
	s_delay_alu instid0(VALU_DEP_2) | instskip(NEXT) | instid1(VALU_DEP_1)
	v_xor_b32_e32 v16, v16, v3
	v_sub_co_u32 v16, vcc_lo, v16, v3
	s_wait_alu 0xfffd
	s_delay_alu instid0(VALU_DEP_3)
	v_sub_co_ci_u32_e64 v17, null, v17, v3, vcc_lo
.LBB34_32:                              ;   in Loop: Header=BB34_22 Depth=2
	s_wait_alu 0xfffe
	s_and_not1_saveexec_b32 s0, s1
	s_cbranch_execz .LBB34_34
; %bb.33:                               ;   in Loop: Header=BB34_22 Depth=2
	v_cvt_f32_u32_e32 v3, s52
	s_sub_co_i32 s1, 0, s52
	s_delay_alu instid0(VALU_DEP_1) | instskip(NEXT) | instid1(TRANS32_DEP_1)
	v_rcp_iflag_f32_e32 v3, v3
	v_mul_f32_e32 v3, 0x4f7ffffe, v3
	s_delay_alu instid0(VALU_DEP_1) | instskip(SKIP_1) | instid1(VALU_DEP_1)
	v_cvt_u32_f32_e32 v3, v3
	s_wait_alu 0xfffe
	v_mul_lo_u32 v16, s1, v3
	s_delay_alu instid0(VALU_DEP_1) | instskip(NEXT) | instid1(VALU_DEP_1)
	v_mul_hi_u32 v16, v3, v16
	v_add_nc_u32_e32 v3, v3, v16
	s_delay_alu instid0(VALU_DEP_1) | instskip(NEXT) | instid1(VALU_DEP_1)
	v_mul_hi_u32 v3, v14, v3
	v_mul_lo_u32 v16, v3, s52
	v_add_nc_u32_e32 v17, 1, v3
	s_delay_alu instid0(VALU_DEP_2) | instskip(NEXT) | instid1(VALU_DEP_1)
	v_sub_nc_u32_e32 v16, v14, v16
	v_subrev_nc_u32_e32 v18, s52, v16
	v_cmp_le_u32_e32 vcc_lo, s52, v16
	s_wait_alu 0xfffd
	s_delay_alu instid0(VALU_DEP_2) | instskip(NEXT) | instid1(VALU_DEP_1)
	v_dual_cndmask_b32 v16, v16, v18 :: v_dual_cndmask_b32 v3, v3, v17
	v_cmp_le_u32_e32 vcc_lo, s52, v16
	s_delay_alu instid0(VALU_DEP_2) | instskip(SKIP_1) | instid1(VALU_DEP_1)
	v_add_nc_u32_e32 v17, 1, v3
	s_wait_alu 0xfffd
	v_dual_cndmask_b32 v16, v3, v17 :: v_dual_mov_b32 v17, v2
.LBB34_34:                              ;   in Loop: Header=BB34_22 Depth=2
	s_wait_alu 0xfffe
	s_or_b32 exec_lo, exec_lo, s0
	s_load_b64 s[56:57], s[40:41], 0x0
	s_load_b64 s[54:55], s[38:39], 0x8
                                        ; implicit-def: $vgpr18_vgpr19
	s_mov_b32 s0, exec_lo
	s_wait_kmcnt 0x0
	v_or_b32_e32 v3, s57, v17
	s_delay_alu instid0(VALU_DEP_1)
	v_cmpx_ne_u64_e32 0, v[2:3]
	s_wait_alu 0xfffe
	s_xor_b32 s1, exec_lo, s0
	s_cbranch_execz .LBB34_36
; %bb.35:                               ;   in Loop: Header=BB34_22 Depth=2
	s_ashr_i32 s58, s57, 31
	v_ashrrev_i32_e32 v3, 31, v17
	s_wait_alu 0xfffe
	s_mov_b32 s59, s58
	s_wait_alu 0xfffe
	s_add_nc_u64 s[60:61], s[56:57], s[58:59]
	v_add_co_u32 v18, vcc_lo, v16, v3
	s_wait_alu 0xfffe
	s_xor_b64 s[60:61], s[60:61], s[58:59]
	s_wait_alu 0xfffd
	v_add_co_ci_u32_e64 v19, null, v17, v3, vcc_lo
	s_wait_alu 0xfffe
	s_cvt_f32_u32 s0, s60
	s_cvt_f32_u32 s14, s61
	s_sub_nc_u64 s[68:69], 0, s[60:61]
	v_xor_b32_e32 v28, v18, v3
	v_xor_b32_e32 v29, v19, v3
	s_wait_alu 0xfffe
	s_fmamk_f32 s0, s14, 0x4f800000, s0
	v_xor_b32_e32 v3, s58, v3
	s_wait_alu 0xfffe
	s_delay_alu instid0(SALU_CYCLE_1) | instskip(NEXT) | instid1(TRANS32_DEP_1)
	v_s_rcp_f32 s0, s0
	s_mul_f32 s0, s0, 0x5f7ffffc
	s_wait_alu 0xfffe
	s_delay_alu instid0(SALU_CYCLE_2) | instskip(SKIP_1) | instid1(SALU_CYCLE_2)
	s_mul_f32 s14, s0, 0x2f800000
	s_wait_alu 0xfffe
	s_trunc_f32 s14, s14
	s_wait_alu 0xfffe
	s_delay_alu instid0(SALU_CYCLE_2) | instskip(SKIP_2) | instid1(SALU_CYCLE_1)
	s_fmamk_f32 s0, s14, 0xcf800000, s0
	s_cvt_u32_f32 s67, s14
	s_wait_alu 0xfffe
	s_cvt_u32_f32 s66, s0
	s_delay_alu instid0(SALU_CYCLE_3) | instskip(NEXT) | instid1(SALU_CYCLE_1)
	s_mul_u64 s[70:71], s[68:69], s[66:67]
	s_mul_hi_u32 s73, s66, s71
	s_mul_i32 s72, s66, s71
	s_mul_hi_u32 s14, s66, s70
	s_mul_i32 s59, s67, s70
	s_wait_alu 0xfffe
	s_add_nc_u64 s[72:73], s[14:15], s[72:73]
	s_mul_hi_u32 s0, s67, s70
	s_mul_hi_u32 s74, s67, s71
	s_add_co_u32 s14, s72, s59
	s_wait_alu 0xfffe
	s_add_co_ci_u32 s14, s73, s0
	s_mul_i32 s70, s67, s71
	s_add_co_ci_u32 s71, s74, 0
	s_wait_alu 0xfffe
	s_add_nc_u64 s[70:71], s[14:15], s[70:71]
	s_delay_alu instid0(SALU_CYCLE_1) | instskip(SKIP_4) | instid1(SALU_CYCLE_1)
	s_add_co_u32 s66, s66, s70
	s_cselect_b32 s0, -1, 0
	s_wait_alu 0xfffe
	s_cmp_lg_u32 s0, 0
	s_add_co_ci_u32 s67, s67, s71
	s_mul_u64 s[68:69], s[68:69], s[66:67]
	s_delay_alu instid0(SALU_CYCLE_1)
	s_mul_hi_u32 s71, s66, s69
	s_mul_i32 s70, s66, s69
	s_mul_hi_u32 s14, s66, s68
	s_mul_i32 s59, s67, s68
	s_wait_alu 0xfffe
	s_add_nc_u64 s[70:71], s[14:15], s[70:71]
	s_mul_hi_u32 s0, s67, s68
	s_mul_hi_u32 s72, s67, s69
	s_add_co_u32 s14, s70, s59
	s_wait_alu 0xfffe
	s_add_co_ci_u32 s14, s71, s0
	s_mul_i32 s68, s67, s69
	s_add_co_ci_u32 s69, s72, 0
	s_wait_alu 0xfffe
	s_add_nc_u64 s[68:69], s[14:15], s[68:69]
	s_delay_alu instid0(SALU_CYCLE_1)
	s_add_co_u32 s0, s66, s68
	s_cselect_b32 s14, -1, 0
	s_wait_alu 0xfffe
	v_mul_hi_u32 v30, v28, s0
	s_cmp_lg_u32 s14, 0
	v_mad_co_u64_u32 v[24:25], null, v29, s0, 0
	s_add_co_ci_u32 s14, s67, s69
	s_wait_alu 0xfffe
	v_mad_co_u64_u32 v[18:19], null, v28, s14, 0
	v_mad_co_u64_u32 v[26:27], null, v29, s14, 0
	s_delay_alu instid0(VALU_DEP_2) | instskip(SKIP_1) | instid1(VALU_DEP_3)
	v_add_co_u32 v18, vcc_lo, v30, v18
	s_wait_alu 0xfffd
	v_add_co_ci_u32_e64 v19, null, 0, v19, vcc_lo
	s_delay_alu instid0(VALU_DEP_2) | instskip(SKIP_1) | instid1(VALU_DEP_2)
	v_add_co_u32 v18, vcc_lo, v18, v24
	s_wait_alu 0xfffd
	v_add_co_ci_u32_e32 v18, vcc_lo, v19, v25, vcc_lo
	s_wait_alu 0xfffd
	v_add_co_ci_u32_e32 v19, vcc_lo, 0, v27, vcc_lo
	s_delay_alu instid0(VALU_DEP_2) | instskip(SKIP_1) | instid1(VALU_DEP_2)
	v_add_co_u32 v24, vcc_lo, v18, v26
	s_wait_alu 0xfffd
	v_add_co_ci_u32_e64 v25, null, 0, v19, vcc_lo
	s_delay_alu instid0(VALU_DEP_2) | instskip(SKIP_1) | instid1(VALU_DEP_3)
	v_mul_lo_u32 v26, s61, v24
	v_mad_co_u64_u32 v[18:19], null, s60, v24, 0
	v_mul_lo_u32 v27, s60, v25
	s_delay_alu instid0(VALU_DEP_2) | instskip(NEXT) | instid1(VALU_DEP_2)
	v_sub_co_u32 v18, vcc_lo, v28, v18
	v_add3_u32 v19, v19, v27, v26
	v_add_co_u32 v27, s0, v24, 2
	s_wait_alu 0xf1ff
	v_add_co_ci_u32_e64 v28, null, 0, v25, s0
	s_delay_alu instid0(VALU_DEP_3) | instskip(SKIP_3) | instid1(VALU_DEP_3)
	v_sub_nc_u32_e32 v26, v29, v19
	v_sub_co_u32 v30, s0, v18, s60
	s_wait_alu 0xfffd
	v_sub_co_ci_u32_e64 v19, null, v29, v19, vcc_lo
	v_subrev_co_ci_u32_e64 v26, null, s61, v26, vcc_lo
	s_delay_alu instid0(VALU_DEP_3) | instskip(SKIP_1) | instid1(VALU_DEP_2)
	v_cmp_le_u32_e32 vcc_lo, s60, v30
	s_wait_alu 0xf1ff
	v_subrev_co_ci_u32_e64 v26, null, 0, v26, s0
	s_wait_alu 0xfffd
	v_cndmask_b32_e64 v29, 0, -1, vcc_lo
	s_delay_alu instid0(VALU_DEP_2)
	v_cmp_le_u32_e32 vcc_lo, s61, v26
	s_wait_alu 0xfffd
	v_cndmask_b32_e64 v30, 0, -1, vcc_lo
	v_cmp_le_u32_e32 vcc_lo, s60, v18
	s_wait_alu 0xfffd
	v_cndmask_b32_e64 v18, 0, -1, vcc_lo
	;; [unrolled: 3-line block ×3, first 2 shown]
	v_cmp_eq_u32_e32 vcc_lo, s61, v26
	s_wait_alu 0xfffd
	v_cndmask_b32_e32 v26, v30, v29, vcc_lo
	v_add_co_u32 v29, vcc_lo, v24, 1
	s_wait_alu 0xfffd
	v_add_co_ci_u32_e64 v30, null, 0, v25, vcc_lo
	v_cmp_eq_u32_e32 vcc_lo, s61, v19
	s_wait_alu 0xfffd
	v_cndmask_b32_e32 v18, v31, v18, vcc_lo
	v_cmp_ne_u32_e32 vcc_lo, 0, v26
	s_wait_alu 0xfffd
	v_cndmask_b32_e32 v19, v30, v28, vcc_lo
	s_delay_alu instid0(VALU_DEP_3) | instskip(SKIP_2) | instid1(VALU_DEP_2)
	v_cmp_ne_u32_e64 s0, 0, v18
	v_cndmask_b32_e32 v18, v29, v27, vcc_lo
	s_wait_alu 0xf1ff
	v_cndmask_b32_e64 v19, v25, v19, s0
	s_delay_alu instid0(VALU_DEP_2) | instskip(NEXT) | instid1(VALU_DEP_2)
	v_cndmask_b32_e64 v18, v24, v18, s0
	v_xor_b32_e32 v19, v19, v3
	s_delay_alu instid0(VALU_DEP_2) | instskip(NEXT) | instid1(VALU_DEP_1)
	v_xor_b32_e32 v18, v18, v3
	v_sub_co_u32 v18, vcc_lo, v18, v3
	s_wait_alu 0xfffd
	s_delay_alu instid0(VALU_DEP_3)
	v_sub_co_ci_u32_e64 v19, null, v19, v3, vcc_lo
.LBB34_36:                              ;   in Loop: Header=BB34_22 Depth=2
	s_wait_alu 0xfffe
	s_and_not1_saveexec_b32 s0, s1
	s_cbranch_execz .LBB34_21
; %bb.37:                               ;   in Loop: Header=BB34_22 Depth=2
	v_cvt_f32_u32_e32 v3, s56
	s_sub_co_i32 s1, 0, s56
	s_delay_alu instid0(VALU_DEP_1) | instskip(NEXT) | instid1(TRANS32_DEP_1)
	v_rcp_iflag_f32_e32 v3, v3
	v_mul_f32_e32 v3, 0x4f7ffffe, v3
	s_delay_alu instid0(VALU_DEP_1) | instskip(SKIP_1) | instid1(VALU_DEP_1)
	v_cvt_u32_f32_e32 v3, v3
	s_wait_alu 0xfffe
	v_mul_lo_u32 v18, s1, v3
	s_delay_alu instid0(VALU_DEP_1) | instskip(NEXT) | instid1(VALU_DEP_1)
	v_mul_hi_u32 v18, v3, v18
	v_add_nc_u32_e32 v3, v3, v18
	s_delay_alu instid0(VALU_DEP_1) | instskip(NEXT) | instid1(VALU_DEP_1)
	v_mul_hi_u32 v3, v16, v3
	v_mul_lo_u32 v18, v3, s56
	v_add_nc_u32_e32 v19, 1, v3
	s_delay_alu instid0(VALU_DEP_2) | instskip(NEXT) | instid1(VALU_DEP_1)
	v_sub_nc_u32_e32 v18, v16, v18
	v_subrev_nc_u32_e32 v24, s56, v18
	v_cmp_le_u32_e32 vcc_lo, s56, v18
	s_wait_alu 0xfffd
	s_delay_alu instid0(VALU_DEP_2) | instskip(NEXT) | instid1(VALU_DEP_1)
	v_dual_cndmask_b32 v18, v18, v24 :: v_dual_cndmask_b32 v3, v3, v19
	v_cmp_le_u32_e32 vcc_lo, s56, v18
	s_delay_alu instid0(VALU_DEP_2) | instskip(SKIP_1) | instid1(VALU_DEP_1)
	v_add_nc_u32_e32 v19, 1, v3
	s_wait_alu 0xfffd
	v_dual_cndmask_b32 v18, v3, v19 :: v_dual_mov_b32 v19, v2
	s_branch .LBB34_21
.LBB34_38:                              ;   in Loop: Header=BB34_3 Depth=1
	s_load_b64 s[38:39], s[24:25], 0x0
	s_wait_kmcnt 0x0
	v_cmp_gt_i64_e32 vcc_lo, s[38:39], v[4:5]
	s_and_b32 exec_lo, exec_lo, vcc_lo
	s_cbranch_execz .LBB34_2
; %bb.39:                               ;   in Loop: Header=BB34_3 Depth=1
	v_lshlrev_b64_e32 v[8:9], 3, v[10:11]
	v_cmp_lt_i64_e32 vcc_lo, s[4:5], v[6:7]
	s_delay_alu instid0(VALU_DEP_2) | instskip(SKIP_1) | instid1(VALU_DEP_3)
	v_add_co_u32 v6, s0, s10, v8
	s_wait_alu 0xf1ff
	v_add_co_ci_u32_e64 v7, null, s11, v9, s0
	s_and_saveexec_b32 s0, vcc_lo
	s_cbranch_execz .LBB34_41
; %bb.40:                               ;   in Loop: Header=BB34_3 Depth=1
	v_mov_b32_e32 v3, v2
	global_store_b64 v[6:7], v[2:3], off
.LBB34_41:                              ;   in Loop: Header=BB34_3 Depth=1
	s_wait_alu 0xfffe
	s_or_b32 exec_lo, exec_lo, s0
	v_add_co_u32 v3, vcc_lo, v4, 1
	s_wait_alu 0xfffd
	v_add_co_ci_u32_e64 v4, null, 0, v5, vcc_lo
	s_delay_alu instid0(VALU_DEP_2) | instskip(SKIP_1) | instid1(VALU_DEP_2)
	v_sub_co_u32 v8, vcc_lo, v3, v22
	s_wait_alu 0xfffd
	v_sub_co_ci_u32_e64 v9, null, v4, v23, vcc_lo
	v_cmp_gt_i64_e32 vcc_lo, s[38:39], v[3:4]
	s_delay_alu instid0(VALU_DEP_2)
	v_cmp_lt_i64_e64 s0, s[4:5], v[8:9]
	s_and_b32 s0, vcc_lo, s0
	s_wait_alu 0xfffe
	s_and_b32 exec_lo, exec_lo, s0
	s_cbranch_execz .LBB34_2
; %bb.42:                               ;   in Loop: Header=BB34_3 Depth=1
	s_lshl_b64 s[0:1], s[2:3], 3
	v_mov_b32_e32 v3, v2
	s_wait_alu 0xfffe
	v_add_co_u32 v4, vcc_lo, v6, s0
	s_wait_alu 0xfffd
	v_add_co_ci_u32_e64 v5, null, s1, v7, vcc_lo
	global_store_b64 v[4:5], v[2:3], off
	s_branch .LBB34_2
.LBB34_43:
	s_endpgm
	.section	.rodata,"a",@progbits
	.p2align	6, 0x0
	.amdhsa_kernel _ZN2at6native16triu_tril_kernelIN3c107complexIfEElLb0ELi2ELb1EEEvNS_4cuda6detail10TensorInfoIT_T0_EENS7_IKS8_S9_EEllS9_
		.amdhsa_group_segment_fixed_size 0
		.amdhsa_private_segment_fixed_size 0
		.amdhsa_kernarg_size 1112
		.amdhsa_user_sgpr_count 2
		.amdhsa_user_sgpr_dispatch_ptr 0
		.amdhsa_user_sgpr_queue_ptr 0
		.amdhsa_user_sgpr_kernarg_segment_ptr 1
		.amdhsa_user_sgpr_dispatch_id 0
		.amdhsa_user_sgpr_private_segment_size 0
		.amdhsa_wavefront_size32 1
		.amdhsa_uses_dynamic_stack 0
		.amdhsa_enable_private_segment 0
		.amdhsa_system_sgpr_workgroup_id_x 1
		.amdhsa_system_sgpr_workgroup_id_y 0
		.amdhsa_system_sgpr_workgroup_id_z 0
		.amdhsa_system_sgpr_workgroup_info 0
		.amdhsa_system_vgpr_workitem_id 0
		.amdhsa_next_free_vgpr 32
		.amdhsa_next_free_sgpr 75
		.amdhsa_reserve_vcc 1
		.amdhsa_float_round_mode_32 0
		.amdhsa_float_round_mode_16_64 0
		.amdhsa_float_denorm_mode_32 3
		.amdhsa_float_denorm_mode_16_64 3
		.amdhsa_fp16_overflow 0
		.amdhsa_workgroup_processor_mode 1
		.amdhsa_memory_ordered 1
		.amdhsa_forward_progress 1
		.amdhsa_inst_pref_size 66
		.amdhsa_round_robin_scheduling 0
		.amdhsa_exception_fp_ieee_invalid_op 0
		.amdhsa_exception_fp_denorm_src 0
		.amdhsa_exception_fp_ieee_div_zero 0
		.amdhsa_exception_fp_ieee_overflow 0
		.amdhsa_exception_fp_ieee_underflow 0
		.amdhsa_exception_fp_ieee_inexact 0
		.amdhsa_exception_int_div_zero 0
	.end_amdhsa_kernel
	.section	.text._ZN2at6native16triu_tril_kernelIN3c107complexIfEElLb0ELi2ELb1EEEvNS_4cuda6detail10TensorInfoIT_T0_EENS7_IKS8_S9_EEllS9_,"axG",@progbits,_ZN2at6native16triu_tril_kernelIN3c107complexIfEElLb0ELi2ELb1EEEvNS_4cuda6detail10TensorInfoIT_T0_EENS7_IKS8_S9_EEllS9_,comdat
.Lfunc_end34:
	.size	_ZN2at6native16triu_tril_kernelIN3c107complexIfEElLb0ELi2ELb1EEEvNS_4cuda6detail10TensorInfoIT_T0_EENS7_IKS8_S9_EEllS9_, .Lfunc_end34-_ZN2at6native16triu_tril_kernelIN3c107complexIfEElLb0ELi2ELb1EEEvNS_4cuda6detail10TensorInfoIT_T0_EENS7_IKS8_S9_EEllS9_
                                        ; -- End function
	.set _ZN2at6native16triu_tril_kernelIN3c107complexIfEElLb0ELi2ELb1EEEvNS_4cuda6detail10TensorInfoIT_T0_EENS7_IKS8_S9_EEllS9_.num_vgpr, 32
	.set _ZN2at6native16triu_tril_kernelIN3c107complexIfEElLb0ELi2ELb1EEEvNS_4cuda6detail10TensorInfoIT_T0_EENS7_IKS8_S9_EEllS9_.num_agpr, 0
	.set _ZN2at6native16triu_tril_kernelIN3c107complexIfEElLb0ELi2ELb1EEEvNS_4cuda6detail10TensorInfoIT_T0_EENS7_IKS8_S9_EEllS9_.numbered_sgpr, 75
	.set _ZN2at6native16triu_tril_kernelIN3c107complexIfEElLb0ELi2ELb1EEEvNS_4cuda6detail10TensorInfoIT_T0_EENS7_IKS8_S9_EEllS9_.num_named_barrier, 0
	.set _ZN2at6native16triu_tril_kernelIN3c107complexIfEElLb0ELi2ELb1EEEvNS_4cuda6detail10TensorInfoIT_T0_EENS7_IKS8_S9_EEllS9_.private_seg_size, 0
	.set _ZN2at6native16triu_tril_kernelIN3c107complexIfEElLb0ELi2ELb1EEEvNS_4cuda6detail10TensorInfoIT_T0_EENS7_IKS8_S9_EEllS9_.uses_vcc, 1
	.set _ZN2at6native16triu_tril_kernelIN3c107complexIfEElLb0ELi2ELb1EEEvNS_4cuda6detail10TensorInfoIT_T0_EENS7_IKS8_S9_EEllS9_.uses_flat_scratch, 0
	.set _ZN2at6native16triu_tril_kernelIN3c107complexIfEElLb0ELi2ELb1EEEvNS_4cuda6detail10TensorInfoIT_T0_EENS7_IKS8_S9_EEllS9_.has_dyn_sized_stack, 0
	.set _ZN2at6native16triu_tril_kernelIN3c107complexIfEElLb0ELi2ELb1EEEvNS_4cuda6detail10TensorInfoIT_T0_EENS7_IKS8_S9_EEllS9_.has_recursion, 0
	.set _ZN2at6native16triu_tril_kernelIN3c107complexIfEElLb0ELi2ELb1EEEvNS_4cuda6detail10TensorInfoIT_T0_EENS7_IKS8_S9_EEllS9_.has_indirect_call, 0
	.section	.AMDGPU.csdata,"",@progbits
; Kernel info:
; codeLenInByte = 8372
; TotalNumSgprs: 77
; NumVgprs: 32
; ScratchSize: 0
; MemoryBound: 0
; FloatMode: 240
; IeeeMode: 1
; LDSByteSize: 0 bytes/workgroup (compile time only)
; SGPRBlocks: 0
; VGPRBlocks: 3
; NumSGPRsForWavesPerEU: 77
; NumVGPRsForWavesPerEU: 32
; Occupancy: 16
; WaveLimiterHint : 0
; COMPUTE_PGM_RSRC2:SCRATCH_EN: 0
; COMPUTE_PGM_RSRC2:USER_SGPR: 2
; COMPUTE_PGM_RSRC2:TRAP_HANDLER: 0
; COMPUTE_PGM_RSRC2:TGID_X_EN: 1
; COMPUTE_PGM_RSRC2:TGID_Y_EN: 0
; COMPUTE_PGM_RSRC2:TGID_Z_EN: 0
; COMPUTE_PGM_RSRC2:TIDIG_COMP_CNT: 0
	.section	.text._ZN2at6native16triu_tril_kernelIN3c107complexIfEElLb0ELi2ELb0EEEvNS_4cuda6detail10TensorInfoIT_T0_EENS7_IKS8_S9_EEllS9_,"axG",@progbits,_ZN2at6native16triu_tril_kernelIN3c107complexIfEElLb0ELi2ELb0EEEvNS_4cuda6detail10TensorInfoIT_T0_EENS7_IKS8_S9_EEllS9_,comdat
	.protected	_ZN2at6native16triu_tril_kernelIN3c107complexIfEElLb0ELi2ELb0EEEvNS_4cuda6detail10TensorInfoIT_T0_EENS7_IKS8_S9_EEllS9_ ; -- Begin function _ZN2at6native16triu_tril_kernelIN3c107complexIfEElLb0ELi2ELb0EEEvNS_4cuda6detail10TensorInfoIT_T0_EENS7_IKS8_S9_EEllS9_
	.globl	_ZN2at6native16triu_tril_kernelIN3c107complexIfEElLb0ELi2ELb0EEEvNS_4cuda6detail10TensorInfoIT_T0_EENS7_IKS8_S9_EEllS9_
	.p2align	8
	.type	_ZN2at6native16triu_tril_kernelIN3c107complexIfEElLb0ELi2ELb0EEEvNS_4cuda6detail10TensorInfoIT_T0_EENS7_IKS8_S9_EEllS9_,@function
_ZN2at6native16triu_tril_kernelIN3c107complexIfEElLb0ELi2ELb0EEEvNS_4cuda6detail10TensorInfoIT_T0_EENS7_IKS8_S9_EEllS9_: ; @_ZN2at6native16triu_tril_kernelIN3c107complexIfEElLb0ELi2ELb0EEEvNS_4cuda6detail10TensorInfoIT_T0_EENS7_IKS8_S9_EEllS9_
; %bb.0:
	s_clause 0x1
	s_load_b32 s2, s[0:1], 0x364
	s_load_b128 s[4:7], s[0:1], 0x340
	v_mov_b32_e32 v2, 0
	s_delay_alu instid0(VALU_DEP_1) | instskip(SKIP_3) | instid1(VALU_DEP_1)
	v_mov_b32_e32 v1, v2
	s_wait_kmcnt 0x0
	s_and_b32 s16, s2, 0xffff
	s_mov_b32 s2, exec_lo
	v_mad_co_u64_u32 v[0:1], null, s16, ttmp9, v[0:1]
	s_delay_alu instid0(VALU_DEP_1) | instskip(NEXT) | instid1(VALU_DEP_1)
	v_lshlrev_b64_e32 v[0:1], 1, v[0:1]
	v_cmpx_gt_i64_e64 s[6:7], v[0:1]
	s_cbranch_execz .LBB35_38
; %bb.1:
	s_clause 0x1
	s_load_b32 s38, s[0:1], 0x338
	s_load_b64 s[2:3], s[0:1], 0x1a0
	s_add_nc_u64 s[20:21], s[0:1], 0x1a0
	s_load_b64 s[22:23], s[0:1], 0x350
	s_add_nc_u64 s[14:15], s[0:1], 0x358
	s_mov_b32 s27, 0
	s_mov_b32 s63, 0
	s_wait_kmcnt 0x0
	s_ashr_i32 s39, s38, 31
	s_add_co_i32 s28, s38, -3
	s_lshl_b64 s[18:19], s[38:39], 3
	s_ashr_i32 s29, s28, 31
	s_add_nc_u64 s[12:13], s[20:21], s[18:19]
	v_cmp_gt_i64_e64 s62, s[38:39], 2
	s_add_nc_u64 s[8:9], s[12:13], -8
	s_add_nc_u64 s[30:31], s[28:29], -1
	s_load_b128 s[8:11], s[8:9], 0x0
	s_load_b32 s17, s[14:15], 0x0
	s_clause 0x1
	s_load_b64 s[24:25], s[0:1], 0x0
	s_load_b128 s[12:15], s[12:13], 0xc0
	v_cvt_f32_u32_e32 v3, s22
	s_add_nc_u64 s[38:39], s[0:1], 0xc8
	s_delay_alu instid0(VALU_DEP_1)
	v_rcp_iflag_f32_e32 v3, v3
	s_wait_kmcnt 0x0
	v_cvt_f32_u32_e32 v4, s8
	s_mul_i32 s26, s17, s16
	s_add_nc_u64 s[16:17], s[0:1], s[18:19]
	s_lshl_b32 s33, s26, 1
	s_load_b128 s[16:19], s[16:17], 0xc0
	v_rcp_iflag_f32_e32 v4, v4
	s_delay_alu instid0(TRANS32_DEP_2)
	v_mul_f32_e32 v3, 0x4f7ffffe, v3
	s_bitcmp0_b32 s28, 0
	s_cselect_b32 s60, -1, 0
	s_lshl_b64 s[36:37], s[28:29], 3
	s_cmp_lg_u32 s28, 0
	s_add_nc_u64 s[34:35], s[20:21], s[36:37]
	s_add_nc_u64 s[36:37], s[0:1], s[36:37]
	s_cselect_b32 s61, -1, 0
	s_delay_alu instid0(TRANS32_DEP_1) | instskip(SKIP_2) | instid1(VALU_DEP_2)
	v_mul_f32_e32 v4, 0x4f7ffffe, v4
	v_cvt_u32_f32_e32 v16, v3
	s_ashr_i32 s40, s23, 31
	v_cvt_u32_f32_e32 v17, v4
	s_branch .LBB35_3
.LBB35_2:                               ;   in Loop: Header=BB35_3 Depth=1
	s_wait_alu 0xfffe
	s_or_b32 exec_lo, exec_lo, s0
	v_add_co_u32 v0, vcc_lo, v0, s33
	s_wait_alu 0xfffd
	v_add_co_ci_u32_e64 v1, null, 0, v1, vcc_lo
	s_delay_alu instid0(VALU_DEP_1) | instskip(SKIP_1) | instid1(SALU_CYCLE_1)
	v_cmp_le_i64_e32 vcc_lo, s[6:7], v[0:1]
	s_or_b32 s63, vcc_lo, s63
	s_and_not1_b32 exec_lo, exec_lo, s63
	s_cbranch_execz .LBB35_38
.LBB35_3:                               ; =>This Loop Header: Depth=1
                                        ;     Child Loop BB35_21 Depth 2
	v_or_b32_e32 v3, s23, v1
                                        ; implicit-def: $vgpr6_vgpr7
	s_mov_b32 s0, exec_lo
	s_delay_alu instid0(VALU_DEP_1)
	v_cmpx_ne_u64_e32 0, v[2:3]
	s_wait_alu 0xfffe
	s_xor_b32 s1, exec_lo, s0
	s_cbranch_execz .LBB35_5
; %bb.4:                                ;   in Loop: Header=BB35_3 Depth=1
	s_mov_b32 s41, s40
	v_ashrrev_i32_e32 v9, 31, v1
	s_wait_alu 0xfffe
	s_add_nc_u64 s[42:43], s[22:23], s[40:41]
	s_wait_alu 0xfffe
	s_xor_b64 s[42:43], s[42:43], s[40:41]
	v_add_co_u32 v3, vcc_lo, v0, v9
	s_wait_alu 0xfffe
	s_cvt_f32_u32 s0, s42
	s_cvt_f32_u32 s26, s43
	s_sub_nc_u64 s[46:47], 0, s[42:43]
	s_wait_alu 0xfffd
	v_add_co_ci_u32_e64 v4, null, v1, v9, vcc_lo
	s_wait_alu 0xfffe
	s_fmamk_f32 s0, s26, 0x4f800000, s0
	v_xor_b32_e32 v10, v3, v9
	s_delay_alu instid0(VALU_DEP_2) | instskip(SKIP_2) | instid1(TRANS32_DEP_1)
	v_xor_b32_e32 v11, v4, v9
	s_wait_alu 0xfffe
	v_s_rcp_f32 s0, s0
	s_mul_f32 s0, s0, 0x5f7ffffc
	s_wait_alu 0xfffe
	s_delay_alu instid0(SALU_CYCLE_2) | instskip(SKIP_1) | instid1(SALU_CYCLE_2)
	s_mul_f32 s26, s0, 0x2f800000
	s_wait_alu 0xfffe
	s_trunc_f32 s26, s26
	s_wait_alu 0xfffe
	s_delay_alu instid0(SALU_CYCLE_2) | instskip(SKIP_2) | instid1(SALU_CYCLE_1)
	s_fmamk_f32 s0, s26, 0xcf800000, s0
	s_cvt_u32_f32 s45, s26
	s_wait_alu 0xfffe
	s_cvt_u32_f32 s44, s0
	s_wait_alu 0xfffe
	s_delay_alu instid0(SALU_CYCLE_2)
	s_mul_u64 s[48:49], s[46:47], s[44:45]
	s_wait_alu 0xfffe
	s_mul_hi_u32 s51, s44, s49
	s_mul_i32 s50, s44, s49
	s_mul_hi_u32 s26, s44, s48
	s_mul_i32 s41, s45, s48
	s_wait_alu 0xfffe
	s_add_nc_u64 s[50:51], s[26:27], s[50:51]
	s_mul_hi_u32 s0, s45, s48
	s_mul_hi_u32 s52, s45, s49
	s_wait_alu 0xfffe
	s_add_co_u32 s26, s50, s41
	s_add_co_ci_u32 s26, s51, s0
	s_mul_i32 s48, s45, s49
	s_add_co_ci_u32 s49, s52, 0
	s_wait_alu 0xfffe
	s_add_nc_u64 s[48:49], s[26:27], s[48:49]
	s_wait_alu 0xfffe
	s_add_co_u32 s44, s44, s48
	s_cselect_b32 s0, -1, 0
	s_wait_alu 0xfffe
	s_cmp_lg_u32 s0, 0
	s_add_co_ci_u32 s45, s45, s49
	s_wait_alu 0xfffe
	s_mul_u64 s[46:47], s[46:47], s[44:45]
	s_wait_alu 0xfffe
	s_mul_hi_u32 s49, s44, s47
	s_mul_i32 s48, s44, s47
	s_mul_hi_u32 s26, s44, s46
	s_mul_i32 s41, s45, s46
	s_wait_alu 0xfffe
	s_add_nc_u64 s[48:49], s[26:27], s[48:49]
	s_mul_hi_u32 s0, s45, s46
	s_mul_hi_u32 s50, s45, s47
	s_wait_alu 0xfffe
	s_add_co_u32 s26, s48, s41
	s_add_co_ci_u32 s26, s49, s0
	s_mul_i32 s46, s45, s47
	s_add_co_ci_u32 s47, s50, 0
	s_wait_alu 0xfffe
	s_add_nc_u64 s[46:47], s[26:27], s[46:47]
	s_wait_alu 0xfffe
	s_add_co_u32 s0, s44, s46
	s_cselect_b32 s26, -1, 0
	s_wait_alu 0xfffe
	v_mul_hi_u32 v12, v10, s0
	s_cmp_lg_u32 s26, 0
	v_mad_co_u64_u32 v[5:6], null, v11, s0, 0
	s_add_co_ci_u32 s26, s45, s47
	s_wait_alu 0xfffe
	v_mad_co_u64_u32 v[3:4], null, v10, s26, 0
	v_mad_co_u64_u32 v[7:8], null, v11, s26, 0
	s_delay_alu instid0(VALU_DEP_2) | instskip(SKIP_1) | instid1(VALU_DEP_3)
	v_add_co_u32 v3, vcc_lo, v12, v3
	s_wait_alu 0xfffd
	v_add_co_ci_u32_e64 v4, null, 0, v4, vcc_lo
	s_delay_alu instid0(VALU_DEP_2) | instskip(SKIP_1) | instid1(VALU_DEP_2)
	v_add_co_u32 v3, vcc_lo, v3, v5
	s_wait_alu 0xfffd
	v_add_co_ci_u32_e32 v3, vcc_lo, v4, v6, vcc_lo
	s_wait_alu 0xfffd
	v_add_co_ci_u32_e32 v4, vcc_lo, 0, v8, vcc_lo
	s_delay_alu instid0(VALU_DEP_2) | instskip(SKIP_1) | instid1(VALU_DEP_2)
	v_add_co_u32 v5, vcc_lo, v3, v7
	s_wait_alu 0xfffd
	v_add_co_ci_u32_e64 v6, null, 0, v4, vcc_lo
	s_delay_alu instid0(VALU_DEP_2) | instskip(SKIP_1) | instid1(VALU_DEP_3)
	v_mul_lo_u32 v7, s43, v5
	v_mad_co_u64_u32 v[3:4], null, s42, v5, 0
	v_mul_lo_u32 v8, s42, v6
	s_delay_alu instid0(VALU_DEP_2) | instskip(NEXT) | instid1(VALU_DEP_2)
	v_sub_co_u32 v3, vcc_lo, v10, v3
	v_add3_u32 v4, v4, v8, v7
	v_add_co_u32 v8, s0, v5, 2
	s_wait_alu 0xf1ff
	v_add_co_ci_u32_e64 v10, null, 0, v6, s0
	s_delay_alu instid0(VALU_DEP_3) | instskip(SKIP_3) | instid1(VALU_DEP_3)
	v_sub_nc_u32_e32 v7, v11, v4
	v_sub_co_u32 v12, s0, v3, s42
	s_wait_alu 0xfffd
	v_sub_co_ci_u32_e64 v4, null, v11, v4, vcc_lo
	v_subrev_co_ci_u32_e64 v7, null, s43, v7, vcc_lo
	s_delay_alu instid0(VALU_DEP_3) | instskip(SKIP_1) | instid1(VALU_DEP_2)
	v_cmp_le_u32_e32 vcc_lo, s42, v12
	s_wait_alu 0xf1ff
	v_subrev_co_ci_u32_e64 v7, null, 0, v7, s0
	s_wait_alu 0xfffd
	v_cndmask_b32_e64 v11, 0, -1, vcc_lo
	s_delay_alu instid0(VALU_DEP_2)
	v_cmp_le_u32_e32 vcc_lo, s43, v7
	s_wait_alu 0xfffd
	v_cndmask_b32_e64 v12, 0, -1, vcc_lo
	v_cmp_le_u32_e32 vcc_lo, s42, v3
	s_wait_alu 0xfffd
	v_cndmask_b32_e64 v3, 0, -1, vcc_lo
	;; [unrolled: 3-line block ×3, first 2 shown]
	v_cmp_eq_u32_e32 vcc_lo, s43, v7
	s_wait_alu 0xfffd
	v_cndmask_b32_e32 v7, v12, v11, vcc_lo
	v_add_co_u32 v11, vcc_lo, v5, 1
	s_wait_alu 0xfffd
	v_add_co_ci_u32_e64 v12, null, 0, v6, vcc_lo
	v_cmp_eq_u32_e32 vcc_lo, s43, v4
	s_wait_alu 0xfffd
	v_cndmask_b32_e32 v3, v13, v3, vcc_lo
	v_cmp_ne_u32_e32 vcc_lo, 0, v7
	v_xor_b32_e32 v7, s40, v9
	s_wait_alu 0xfffd
	v_cndmask_b32_e32 v4, v12, v10, vcc_lo
	v_cmp_ne_u32_e64 s0, 0, v3
	v_cndmask_b32_e32 v3, v11, v8, vcc_lo
	s_wait_alu 0xf1ff
	s_delay_alu instid0(VALU_DEP_2) | instskip(NEXT) | instid1(VALU_DEP_2)
	v_cndmask_b32_e64 v4, v6, v4, s0
	v_cndmask_b32_e64 v3, v5, v3, s0
	s_delay_alu instid0(VALU_DEP_2) | instskip(NEXT) | instid1(VALU_DEP_2)
	v_xor_b32_e32 v4, v4, v7
	v_xor_b32_e32 v3, v3, v7
	s_delay_alu instid0(VALU_DEP_1) | instskip(SKIP_1) | instid1(VALU_DEP_3)
	v_sub_co_u32 v6, vcc_lo, v3, v7
	s_wait_alu 0xfffd
	v_sub_co_ci_u32_e64 v7, null, v4, v7, vcc_lo
.LBB35_5:                               ;   in Loop: Header=BB35_3 Depth=1
	s_wait_alu 0xfffe
	s_and_not1_saveexec_b32 s0, s1
	s_cbranch_execz .LBB35_7
; %bb.6:                                ;   in Loop: Header=BB35_3 Depth=1
	s_sub_co_i32 s1, 0, s22
	v_mov_b32_e32 v7, v2
	s_wait_alu 0xfffe
	v_mul_lo_u32 v3, s1, v16
	s_delay_alu instid0(VALU_DEP_1) | instskip(NEXT) | instid1(VALU_DEP_1)
	v_mul_hi_u32 v3, v16, v3
	v_add_nc_u32_e32 v3, v16, v3
	s_delay_alu instid0(VALU_DEP_1) | instskip(NEXT) | instid1(VALU_DEP_1)
	v_mul_hi_u32 v3, v0, v3
	v_mul_lo_u32 v4, v3, s22
	s_delay_alu instid0(VALU_DEP_1) | instskip(NEXT) | instid1(VALU_DEP_1)
	v_sub_nc_u32_e32 v4, v0, v4
	v_subrev_nc_u32_e32 v6, s22, v4
	v_cmp_le_u32_e32 vcc_lo, s22, v4
	s_wait_alu 0xfffd
	s_delay_alu instid0(VALU_DEP_2) | instskip(NEXT) | instid1(VALU_DEP_1)
	v_dual_cndmask_b32 v4, v4, v6 :: v_dual_add_nc_u32 v5, 1, v3
	v_cndmask_b32_e32 v3, v3, v5, vcc_lo
	s_delay_alu instid0(VALU_DEP_2) | instskip(NEXT) | instid1(VALU_DEP_2)
	v_cmp_le_u32_e32 vcc_lo, s22, v4
	v_add_nc_u32_e32 v5, 1, v3
	s_wait_alu 0xfffd
	s_delay_alu instid0(VALU_DEP_1)
	v_cndmask_b32_e32 v6, v3, v5, vcc_lo
.LBB35_7:                               ;   in Loop: Header=BB35_3 Depth=1
	s_wait_alu 0xfffe
	s_or_b32 exec_lo, exec_lo, s0
	v_or_b32_e32 v3, s9, v7
                                        ; implicit-def: $vgpr10_vgpr11
	s_mov_b32 s0, exec_lo
	s_delay_alu instid0(VALU_DEP_1)
	v_cmpx_ne_u64_e32 0, v[2:3]
	s_wait_alu 0xfffe
	s_xor_b32 s1, exec_lo, s0
	s_cbranch_execz .LBB35_9
; %bb.8:                                ;   in Loop: Header=BB35_3 Depth=1
	s_ashr_i32 s42, s9, 31
	v_ashrrev_i32_e32 v5, 31, v7
	s_wait_alu 0xfffe
	s_mov_b32 s43, s42
	s_wait_alu 0xfffe
	s_add_nc_u64 s[44:45], s[8:9], s[42:43]
	v_add_co_u32 v3, vcc_lo, v6, v5
	s_wait_alu 0xfffe
	s_xor_b64 s[44:45], s[44:45], s[42:43]
	s_wait_alu 0xfffd
	v_add_co_ci_u32_e64 v4, null, v7, v5, vcc_lo
	s_wait_alu 0xfffe
	s_cvt_f32_u32 s0, s44
	s_cvt_f32_u32 s26, s45
	s_sub_nc_u64 s[48:49], 0, s[44:45]
	v_xor_b32_e32 v12, v3, v5
	v_xor_b32_e32 v13, v4, v5
	s_wait_alu 0xfffe
	s_fmamk_f32 s0, s26, 0x4f800000, s0
	v_xor_b32_e32 v5, s42, v5
	s_wait_alu 0xfffe
	s_delay_alu instid0(SALU_CYCLE_1) | instskip(NEXT) | instid1(TRANS32_DEP_1)
	v_s_rcp_f32 s0, s0
	s_mul_f32 s0, s0, 0x5f7ffffc
	s_wait_alu 0xfffe
	s_delay_alu instid0(SALU_CYCLE_2) | instskip(SKIP_1) | instid1(SALU_CYCLE_2)
	s_mul_f32 s26, s0, 0x2f800000
	s_wait_alu 0xfffe
	s_trunc_f32 s26, s26
	s_wait_alu 0xfffe
	s_delay_alu instid0(SALU_CYCLE_2) | instskip(SKIP_2) | instid1(SALU_CYCLE_1)
	s_fmamk_f32 s0, s26, 0xcf800000, s0
	s_cvt_u32_f32 s47, s26
	s_wait_alu 0xfffe
	s_cvt_u32_f32 s46, s0
	s_wait_alu 0xfffe
	s_delay_alu instid0(SALU_CYCLE_2)
	s_mul_u64 s[50:51], s[48:49], s[46:47]
	s_wait_alu 0xfffe
	s_mul_hi_u32 s53, s46, s51
	s_mul_i32 s52, s46, s51
	s_mul_hi_u32 s26, s46, s50
	s_mul_i32 s41, s47, s50
	s_wait_alu 0xfffe
	s_add_nc_u64 s[52:53], s[26:27], s[52:53]
	s_mul_hi_u32 s0, s47, s50
	s_mul_hi_u32 s43, s47, s51
	s_wait_alu 0xfffe
	s_add_co_u32 s26, s52, s41
	s_add_co_ci_u32 s26, s53, s0
	s_mul_i32 s50, s47, s51
	s_add_co_ci_u32 s51, s43, 0
	s_wait_alu 0xfffe
	s_add_nc_u64 s[50:51], s[26:27], s[50:51]
	s_wait_alu 0xfffe
	s_add_co_u32 s46, s46, s50
	s_cselect_b32 s0, -1, 0
	s_wait_alu 0xfffe
	s_cmp_lg_u32 s0, 0
	s_add_co_ci_u32 s47, s47, s51
	s_wait_alu 0xfffe
	s_mul_u64 s[48:49], s[48:49], s[46:47]
	s_wait_alu 0xfffe
	s_mul_hi_u32 s51, s46, s49
	s_mul_i32 s50, s46, s49
	s_mul_hi_u32 s26, s46, s48
	s_mul_i32 s41, s47, s48
	s_wait_alu 0xfffe
	s_add_nc_u64 s[50:51], s[26:27], s[50:51]
	s_mul_hi_u32 s0, s47, s48
	s_mul_hi_u32 s43, s47, s49
	s_wait_alu 0xfffe
	s_add_co_u32 s26, s50, s41
	s_add_co_ci_u32 s26, s51, s0
	s_mul_i32 s48, s47, s49
	s_add_co_ci_u32 s49, s43, 0
	s_wait_alu 0xfffe
	s_add_nc_u64 s[48:49], s[26:27], s[48:49]
	s_wait_alu 0xfffe
	s_add_co_u32 s0, s46, s48
	s_cselect_b32 s26, -1, 0
	s_wait_alu 0xfffe
	v_mul_hi_u32 v14, v12, s0
	s_cmp_lg_u32 s26, 0
	v_mad_co_u64_u32 v[8:9], null, v13, s0, 0
	s_add_co_ci_u32 s26, s47, s49
	s_wait_alu 0xfffe
	v_mad_co_u64_u32 v[3:4], null, v12, s26, 0
	v_mad_co_u64_u32 v[10:11], null, v13, s26, 0
	s_delay_alu instid0(VALU_DEP_2) | instskip(SKIP_1) | instid1(VALU_DEP_3)
	v_add_co_u32 v3, vcc_lo, v14, v3
	s_wait_alu 0xfffd
	v_add_co_ci_u32_e64 v4, null, 0, v4, vcc_lo
	s_delay_alu instid0(VALU_DEP_2) | instskip(SKIP_1) | instid1(VALU_DEP_2)
	v_add_co_u32 v3, vcc_lo, v3, v8
	s_wait_alu 0xfffd
	v_add_co_ci_u32_e32 v3, vcc_lo, v4, v9, vcc_lo
	s_wait_alu 0xfffd
	v_add_co_ci_u32_e32 v4, vcc_lo, 0, v11, vcc_lo
	s_delay_alu instid0(VALU_DEP_2) | instskip(SKIP_1) | instid1(VALU_DEP_2)
	v_add_co_u32 v8, vcc_lo, v3, v10
	s_wait_alu 0xfffd
	v_add_co_ci_u32_e64 v9, null, 0, v4, vcc_lo
	s_delay_alu instid0(VALU_DEP_2) | instskip(SKIP_1) | instid1(VALU_DEP_3)
	v_mul_lo_u32 v10, s45, v8
	v_mad_co_u64_u32 v[3:4], null, s44, v8, 0
	v_mul_lo_u32 v11, s44, v9
	s_delay_alu instid0(VALU_DEP_2) | instskip(NEXT) | instid1(VALU_DEP_2)
	v_sub_co_u32 v3, vcc_lo, v12, v3
	v_add3_u32 v4, v4, v11, v10
	v_add_co_u32 v11, s0, v8, 2
	s_wait_alu 0xf1ff
	v_add_co_ci_u32_e64 v12, null, 0, v9, s0
	s_delay_alu instid0(VALU_DEP_3) | instskip(SKIP_3) | instid1(VALU_DEP_3)
	v_sub_nc_u32_e32 v10, v13, v4
	v_sub_co_u32 v14, s0, v3, s44
	s_wait_alu 0xfffd
	v_sub_co_ci_u32_e64 v4, null, v13, v4, vcc_lo
	v_subrev_co_ci_u32_e64 v10, null, s45, v10, vcc_lo
	s_delay_alu instid0(VALU_DEP_3) | instskip(SKIP_1) | instid1(VALU_DEP_2)
	v_cmp_le_u32_e32 vcc_lo, s44, v14
	s_wait_alu 0xf1ff
	v_subrev_co_ci_u32_e64 v10, null, 0, v10, s0
	s_wait_alu 0xfffd
	v_cndmask_b32_e64 v13, 0, -1, vcc_lo
	s_delay_alu instid0(VALU_DEP_2)
	v_cmp_le_u32_e32 vcc_lo, s45, v10
	s_wait_alu 0xfffd
	v_cndmask_b32_e64 v14, 0, -1, vcc_lo
	v_cmp_le_u32_e32 vcc_lo, s44, v3
	s_wait_alu 0xfffd
	v_cndmask_b32_e64 v3, 0, -1, vcc_lo
	v_cmp_le_u32_e32 vcc_lo, s45, v4
	s_wait_alu 0xfffd
	v_cndmask_b32_e64 v15, 0, -1, vcc_lo
	v_cmp_eq_u32_e32 vcc_lo, s45, v10
	s_wait_alu 0xfffd
	v_cndmask_b32_e32 v10, v14, v13, vcc_lo
	v_add_co_u32 v13, vcc_lo, v8, 1
	s_wait_alu 0xfffd
	v_add_co_ci_u32_e64 v14, null, 0, v9, vcc_lo
	v_cmp_eq_u32_e32 vcc_lo, s45, v4
	s_wait_alu 0xfffd
	v_cndmask_b32_e32 v3, v15, v3, vcc_lo
	v_cmp_ne_u32_e32 vcc_lo, 0, v10
	s_delay_alu instid0(VALU_DEP_2) | instskip(SKIP_3) | instid1(VALU_DEP_1)
	v_cmp_ne_u32_e64 s0, 0, v3
	s_wait_alu 0xfffd
	v_dual_cndmask_b32 v4, v14, v12 :: v_dual_cndmask_b32 v3, v13, v11
	s_wait_alu 0xf1ff
	v_cndmask_b32_e64 v4, v9, v4, s0
	s_delay_alu instid0(VALU_DEP_2) | instskip(NEXT) | instid1(VALU_DEP_2)
	v_cndmask_b32_e64 v3, v8, v3, s0
	v_xor_b32_e32 v4, v4, v5
	s_delay_alu instid0(VALU_DEP_2) | instskip(NEXT) | instid1(VALU_DEP_1)
	v_xor_b32_e32 v3, v3, v5
	v_sub_co_u32 v10, vcc_lo, v3, v5
	s_wait_alu 0xfffd
	s_delay_alu instid0(VALU_DEP_3)
	v_sub_co_ci_u32_e64 v11, null, v4, v5, vcc_lo
.LBB35_9:                               ;   in Loop: Header=BB35_3 Depth=1
	s_wait_alu 0xfffe
	s_and_not1_saveexec_b32 s0, s1
	s_cbranch_execz .LBB35_11
; %bb.10:                               ;   in Loop: Header=BB35_3 Depth=1
	s_sub_co_i32 s1, 0, s8
	v_mov_b32_e32 v11, v2
	s_wait_alu 0xfffe
	v_mul_lo_u32 v3, s1, v17
	s_delay_alu instid0(VALU_DEP_1) | instskip(NEXT) | instid1(VALU_DEP_1)
	v_mul_hi_u32 v3, v17, v3
	v_add_nc_u32_e32 v3, v17, v3
	s_delay_alu instid0(VALU_DEP_1) | instskip(NEXT) | instid1(VALU_DEP_1)
	v_mul_hi_u32 v3, v6, v3
	v_mul_lo_u32 v4, v3, s8
	v_add_nc_u32_e32 v5, 1, v3
	s_delay_alu instid0(VALU_DEP_2) | instskip(NEXT) | instid1(VALU_DEP_1)
	v_sub_nc_u32_e32 v4, v6, v4
	v_subrev_nc_u32_e32 v8, s8, v4
	v_cmp_le_u32_e32 vcc_lo, s8, v4
	s_wait_alu 0xfffd
	s_delay_alu instid0(VALU_DEP_2) | instskip(NEXT) | instid1(VALU_DEP_1)
	v_dual_cndmask_b32 v4, v4, v8 :: v_dual_cndmask_b32 v3, v3, v5
	v_cmp_le_u32_e32 vcc_lo, s8, v4
	s_delay_alu instid0(VALU_DEP_2) | instskip(SKIP_1) | instid1(VALU_DEP_1)
	v_add_nc_u32_e32 v5, 1, v3
	s_wait_alu 0xfffd
	v_cndmask_b32_e32 v10, v3, v5, vcc_lo
.LBB35_11:                              ;   in Loop: Header=BB35_3 Depth=1
	s_wait_alu 0xfffe
	s_or_b32 exec_lo, exec_lo, s0
	v_mul_lo_u32 v5, v7, s22
	v_mul_lo_u32 v12, v6, s23
	v_mad_co_u64_u32 v[3:4], null, v6, s22, 0
	v_mul_lo_u32 v13, v11, s8
	v_mul_lo_u32 v14, v10, s9
	v_mad_co_u64_u32 v[8:9], null, v10, s8, 0
	s_delay_alu instid0(VALU_DEP_4) | instskip(SKIP_1) | instid1(VALU_DEP_3)
	v_add3_u32 v5, v4, v12, v5
	v_sub_co_u32 v4, vcc_lo, v0, v3
	v_add3_u32 v3, v9, v14, v13
	s_wait_alu 0xfffd
	s_delay_alu instid0(VALU_DEP_3) | instskip(NEXT) | instid1(VALU_DEP_3)
	v_sub_co_ci_u32_e64 v5, null, v1, v5, vcc_lo
	v_mul_lo_u32 v9, s15, v4
	v_mad_co_u64_u32 v[12:13], null, s14, v4, 0
	s_wait_kmcnt 0x0
	v_mul_lo_u32 v20, s19, v4
	v_mul_lo_u32 v21, s14, v5
	;; [unrolled: 1-line block ×3, first 2 shown]
	v_mad_co_u64_u32 v[14:15], null, s18, v4, 0
	v_sub_co_u32 v18, vcc_lo, v6, v8
	s_wait_alu 0xfffd
	v_sub_co_ci_u32_e64 v19, null, v7, v3, vcc_lo
	v_add3_u32 v13, v13, v21, v9
	s_delay_alu instid0(VALU_DEP_3) | instskip(SKIP_1) | instid1(VALU_DEP_4)
	v_mul_lo_u32 v3, s13, v18
	v_add3_u32 v15, v15, v22, v20
	v_mul_lo_u32 v21, s12, v19
	s_and_not1_b32 vcc_lo, exec_lo, s62
	v_mad_co_u64_u32 v[8:9], null, s12, v18, v[12:13]
	v_mul_lo_u32 v12, s16, v19
	v_mul_lo_u32 v13, s17, v18
	v_mad_co_u64_u32 v[6:7], null, s16, v18, v[14:15]
	s_delay_alu instid0(VALU_DEP_4) | instskip(NEXT) | instid1(VALU_DEP_2)
	v_add3_u32 v9, v3, v9, v21
	v_add3_u32 v7, v13, v7, v12
	s_wait_alu 0xfffe
	s_cbranch_vccnz .LBB35_29
; %bb.12:                               ;   in Loop: Header=BB35_3 Depth=1
	s_and_not1_b32 vcc_lo, exec_lo, s60
	s_wait_alu 0xfffe
	s_cbranch_vccnz .LBB35_18
; %bb.13:                               ;   in Loop: Header=BB35_3 Depth=1
	s_load_b64 s[42:43], s[34:35], 0x8
                                        ; implicit-def: $vgpr12_vgpr13
	s_mov_b32 s0, exec_lo
	s_wait_kmcnt 0x0
	v_or_b32_e32 v3, s43, v11
	s_delay_alu instid0(VALU_DEP_1)
	v_cmpx_ne_u64_e32 0, v[2:3]
	s_wait_alu 0xfffe
	s_xor_b32 s1, exec_lo, s0
	s_cbranch_execz .LBB35_15
; %bb.14:                               ;   in Loop: Header=BB35_3 Depth=1
	s_ashr_i32 s44, s43, 31
	v_ashrrev_i32_e32 v3, 31, v11
	s_wait_alu 0xfffe
	s_mov_b32 s45, s44
	s_wait_alu 0xfffe
	s_add_nc_u64 s[46:47], s[42:43], s[44:45]
	v_add_co_u32 v12, vcc_lo, v10, v3
	s_wait_alu 0xfffe
	s_xor_b64 s[46:47], s[46:47], s[44:45]
	s_wait_alu 0xfffd
	v_add_co_ci_u32_e64 v13, null, v11, v3, vcc_lo
	s_wait_alu 0xfffe
	s_cvt_f32_u32 s0, s46
	s_cvt_f32_u32 s26, s47
	s_sub_nc_u64 s[50:51], 0, s[46:47]
	v_xor_b32_e32 v22, v12, v3
	v_xor_b32_e32 v23, v13, v3
	s_wait_alu 0xfffe
	s_fmamk_f32 s0, s26, 0x4f800000, s0
	v_xor_b32_e32 v3, s44, v3
	s_wait_alu 0xfffe
	s_delay_alu instid0(SALU_CYCLE_1) | instskip(NEXT) | instid1(TRANS32_DEP_1)
	v_s_rcp_f32 s0, s0
	s_mul_f32 s0, s0, 0x5f7ffffc
	s_wait_alu 0xfffe
	s_delay_alu instid0(SALU_CYCLE_2) | instskip(SKIP_1) | instid1(SALU_CYCLE_2)
	s_mul_f32 s26, s0, 0x2f800000
	s_wait_alu 0xfffe
	s_trunc_f32 s26, s26
	s_wait_alu 0xfffe
	s_delay_alu instid0(SALU_CYCLE_2) | instskip(SKIP_2) | instid1(SALU_CYCLE_1)
	s_fmamk_f32 s0, s26, 0xcf800000, s0
	s_cvt_u32_f32 s49, s26
	s_wait_alu 0xfffe
	s_cvt_u32_f32 s48, s0
	s_wait_alu 0xfffe
	s_delay_alu instid0(SALU_CYCLE_2)
	s_mul_u64 s[52:53], s[50:51], s[48:49]
	s_wait_alu 0xfffe
	s_mul_hi_u32 s55, s48, s53
	s_mul_i32 s54, s48, s53
	s_mul_hi_u32 s26, s48, s52
	s_mul_i32 s41, s49, s52
	s_wait_alu 0xfffe
	s_add_nc_u64 s[54:55], s[26:27], s[54:55]
	s_mul_hi_u32 s0, s49, s52
	s_mul_hi_u32 s45, s49, s53
	s_wait_alu 0xfffe
	s_add_co_u32 s26, s54, s41
	s_add_co_ci_u32 s26, s55, s0
	s_mul_i32 s52, s49, s53
	s_add_co_ci_u32 s53, s45, 0
	s_wait_alu 0xfffe
	s_add_nc_u64 s[52:53], s[26:27], s[52:53]
	s_wait_alu 0xfffe
	s_add_co_u32 s48, s48, s52
	s_cselect_b32 s0, -1, 0
	s_wait_alu 0xfffe
	s_cmp_lg_u32 s0, 0
	s_add_co_ci_u32 s49, s49, s53
	s_wait_alu 0xfffe
	s_mul_u64 s[50:51], s[50:51], s[48:49]
	s_wait_alu 0xfffe
	s_mul_hi_u32 s53, s48, s51
	s_mul_i32 s52, s48, s51
	s_mul_hi_u32 s26, s48, s50
	s_mul_i32 s41, s49, s50
	s_wait_alu 0xfffe
	s_add_nc_u64 s[52:53], s[26:27], s[52:53]
	s_mul_hi_u32 s0, s49, s50
	s_mul_hi_u32 s45, s49, s51
	s_wait_alu 0xfffe
	s_add_co_u32 s26, s52, s41
	s_add_co_ci_u32 s26, s53, s0
	s_mul_i32 s50, s49, s51
	s_add_co_ci_u32 s51, s45, 0
	s_wait_alu 0xfffe
	s_add_nc_u64 s[50:51], s[26:27], s[50:51]
	s_wait_alu 0xfffe
	s_add_co_u32 s0, s48, s50
	s_cselect_b32 s26, -1, 0
	s_wait_alu 0xfffe
	v_mul_hi_u32 v24, v22, s0
	s_cmp_lg_u32 s26, 0
	v_mad_co_u64_u32 v[14:15], null, v23, s0, 0
	s_add_co_ci_u32 s26, s49, s51
	s_wait_alu 0xfffe
	v_mad_co_u64_u32 v[12:13], null, v22, s26, 0
	v_mad_co_u64_u32 v[20:21], null, v23, s26, 0
	s_delay_alu instid0(VALU_DEP_2) | instskip(SKIP_1) | instid1(VALU_DEP_3)
	v_add_co_u32 v12, vcc_lo, v24, v12
	s_wait_alu 0xfffd
	v_add_co_ci_u32_e64 v13, null, 0, v13, vcc_lo
	s_delay_alu instid0(VALU_DEP_2) | instskip(SKIP_1) | instid1(VALU_DEP_2)
	v_add_co_u32 v12, vcc_lo, v12, v14
	s_wait_alu 0xfffd
	v_add_co_ci_u32_e32 v12, vcc_lo, v13, v15, vcc_lo
	s_wait_alu 0xfffd
	v_add_co_ci_u32_e32 v13, vcc_lo, 0, v21, vcc_lo
	s_delay_alu instid0(VALU_DEP_2) | instskip(SKIP_1) | instid1(VALU_DEP_2)
	v_add_co_u32 v14, vcc_lo, v12, v20
	s_wait_alu 0xfffd
	v_add_co_ci_u32_e64 v15, null, 0, v13, vcc_lo
	s_delay_alu instid0(VALU_DEP_2) | instskip(SKIP_1) | instid1(VALU_DEP_3)
	v_mul_lo_u32 v20, s47, v14
	v_mad_co_u64_u32 v[12:13], null, s46, v14, 0
	v_mul_lo_u32 v21, s46, v15
	s_delay_alu instid0(VALU_DEP_2) | instskip(NEXT) | instid1(VALU_DEP_2)
	v_sub_co_u32 v12, vcc_lo, v22, v12
	v_add3_u32 v13, v13, v21, v20
	v_add_co_u32 v21, s0, v14, 2
	s_wait_alu 0xf1ff
	v_add_co_ci_u32_e64 v22, null, 0, v15, s0
	s_delay_alu instid0(VALU_DEP_3) | instskip(SKIP_3) | instid1(VALU_DEP_3)
	v_sub_nc_u32_e32 v20, v23, v13
	v_sub_co_u32 v24, s0, v12, s46
	s_wait_alu 0xfffd
	v_sub_co_ci_u32_e64 v13, null, v23, v13, vcc_lo
	v_subrev_co_ci_u32_e64 v20, null, s47, v20, vcc_lo
	s_delay_alu instid0(VALU_DEP_3) | instskip(SKIP_1) | instid1(VALU_DEP_2)
	v_cmp_le_u32_e32 vcc_lo, s46, v24
	s_wait_alu 0xf1ff
	v_subrev_co_ci_u32_e64 v20, null, 0, v20, s0
	s_wait_alu 0xfffd
	v_cndmask_b32_e64 v23, 0, -1, vcc_lo
	s_delay_alu instid0(VALU_DEP_2)
	v_cmp_le_u32_e32 vcc_lo, s47, v20
	s_wait_alu 0xfffd
	v_cndmask_b32_e64 v24, 0, -1, vcc_lo
	v_cmp_le_u32_e32 vcc_lo, s46, v12
	s_wait_alu 0xfffd
	v_cndmask_b32_e64 v12, 0, -1, vcc_lo
	v_cmp_le_u32_e32 vcc_lo, s47, v13
	s_wait_alu 0xfffd
	v_cndmask_b32_e64 v25, 0, -1, vcc_lo
	v_cmp_eq_u32_e32 vcc_lo, s47, v20
	s_wait_alu 0xfffd
	v_cndmask_b32_e32 v20, v24, v23, vcc_lo
	v_add_co_u32 v23, vcc_lo, v14, 1
	s_wait_alu 0xfffd
	v_add_co_ci_u32_e64 v24, null, 0, v15, vcc_lo
	v_cmp_eq_u32_e32 vcc_lo, s47, v13
	s_wait_alu 0xfffd
	v_cndmask_b32_e32 v12, v25, v12, vcc_lo
	v_cmp_ne_u32_e32 vcc_lo, 0, v20
	s_wait_alu 0xfffd
	v_cndmask_b32_e32 v13, v24, v22, vcc_lo
	s_delay_alu instid0(VALU_DEP_3) | instskip(SKIP_2) | instid1(VALU_DEP_2)
	v_cmp_ne_u32_e64 s0, 0, v12
	v_cndmask_b32_e32 v12, v23, v21, vcc_lo
	s_wait_alu 0xf1ff
	v_cndmask_b32_e64 v13, v15, v13, s0
	s_delay_alu instid0(VALU_DEP_2) | instskip(NEXT) | instid1(VALU_DEP_2)
	v_cndmask_b32_e64 v12, v14, v12, s0
	v_xor_b32_e32 v13, v13, v3
	s_delay_alu instid0(VALU_DEP_2) | instskip(NEXT) | instid1(VALU_DEP_1)
	v_xor_b32_e32 v12, v12, v3
	v_sub_co_u32 v12, vcc_lo, v12, v3
	s_wait_alu 0xfffd
	s_delay_alu instid0(VALU_DEP_3)
	v_sub_co_ci_u32_e64 v13, null, v13, v3, vcc_lo
.LBB35_15:                              ;   in Loop: Header=BB35_3 Depth=1
	s_wait_alu 0xfffe
	s_and_not1_saveexec_b32 s0, s1
	s_cbranch_execz .LBB35_17
; %bb.16:                               ;   in Loop: Header=BB35_3 Depth=1
	v_cvt_f32_u32_e32 v3, s42
	s_sub_co_i32 s1, 0, s42
	s_delay_alu instid0(VALU_DEP_1) | instskip(NEXT) | instid1(TRANS32_DEP_1)
	v_rcp_iflag_f32_e32 v3, v3
	v_mul_f32_e32 v3, 0x4f7ffffe, v3
	s_delay_alu instid0(VALU_DEP_1) | instskip(SKIP_1) | instid1(VALU_DEP_1)
	v_cvt_u32_f32_e32 v3, v3
	s_wait_alu 0xfffe
	v_mul_lo_u32 v12, s1, v3
	s_delay_alu instid0(VALU_DEP_1) | instskip(NEXT) | instid1(VALU_DEP_1)
	v_mul_hi_u32 v12, v3, v12
	v_add_nc_u32_e32 v3, v3, v12
	s_delay_alu instid0(VALU_DEP_1) | instskip(NEXT) | instid1(VALU_DEP_1)
	v_mul_hi_u32 v3, v10, v3
	v_mul_lo_u32 v12, v3, s42
	v_add_nc_u32_e32 v13, 1, v3
	s_delay_alu instid0(VALU_DEP_2) | instskip(NEXT) | instid1(VALU_DEP_1)
	v_sub_nc_u32_e32 v12, v10, v12
	v_subrev_nc_u32_e32 v14, s42, v12
	v_cmp_le_u32_e32 vcc_lo, s42, v12
	s_wait_alu 0xfffd
	s_delay_alu instid0(VALU_DEP_2) | instskip(NEXT) | instid1(VALU_DEP_1)
	v_dual_cndmask_b32 v12, v12, v14 :: v_dual_cndmask_b32 v3, v3, v13
	v_cmp_le_u32_e32 vcc_lo, s42, v12
	s_delay_alu instid0(VALU_DEP_2) | instskip(SKIP_1) | instid1(VALU_DEP_1)
	v_add_nc_u32_e32 v13, 1, v3
	s_wait_alu 0xfffd
	v_dual_cndmask_b32 v12, v3, v13 :: v_dual_mov_b32 v13, v2
.LBB35_17:                              ;   in Loop: Header=BB35_3 Depth=1
	s_wait_alu 0xfffe
	s_or_b32 exec_lo, exec_lo, s0
	s_delay_alu instid0(VALU_DEP_1) | instskip(NEXT) | instid1(VALU_DEP_2)
	v_mul_lo_u32 v3, v13, s42
	v_mul_lo_u32 v20, v12, s43
	s_load_b64 s[0:1], s[34:35], 0xd0
	v_mad_co_u64_u32 v[14:15], null, v12, s42, 0
	s_load_b64 s[42:43], s[36:37], 0xd0
	v_add3_u32 v3, v15, v20, v3
	v_sub_co_u32 v10, vcc_lo, v10, v14
	s_wait_alu 0xfffd
	s_delay_alu instid0(VALU_DEP_2) | instskip(SKIP_1) | instid1(VALU_DEP_1)
	v_sub_co_ci_u32_e64 v3, null, v11, v3, vcc_lo
	s_wait_kmcnt 0x0
	v_mul_lo_u32 v11, s0, v3
	v_mul_lo_u32 v14, s1, v10
	v_mad_co_u64_u32 v[8:9], null, s0, v10, v[8:9]
	v_mul_lo_u32 v3, s42, v3
	v_mul_lo_u32 v15, s43, v10
	v_mad_co_u64_u32 v[6:7], null, s42, v10, v[6:7]
	s_mov_b64 s[0:1], s[30:31]
	v_add3_u32 v9, v14, v9, v11
	v_dual_mov_b32 v10, v12 :: v_dual_mov_b32 v11, v13
	v_add3_u32 v7, v15, v7, v3
	s_and_not1_b32 vcc_lo, exec_lo, s61
	s_wait_alu 0xfffe
	s_cbranch_vccz .LBB35_19
	s_branch .LBB35_29
.LBB35_18:                              ;   in Loop: Header=BB35_3 Depth=1
	s_mov_b64 s[0:1], s[28:29]
	s_and_not1_b32 vcc_lo, exec_lo, s61
	s_wait_alu 0xfffe
	s_cbranch_vccnz .LBB35_29
.LBB35_19:                              ;   in Loop: Header=BB35_3 Depth=1
	s_lshl_b64 s[44:45], s[0:1], 3
	s_add_nc_u64 s[46:47], s[0:1], 1
	s_wait_alu 0xfffe
	s_add_nc_u64 s[42:43], s[38:39], s[44:45]
	s_add_nc_u64 s[44:45], s[20:21], s[44:45]
	s_branch .LBB35_21
.LBB35_20:                              ;   in Loop: Header=BB35_21 Depth=2
	s_wait_alu 0xfffe
	s_or_b32 exec_lo, exec_lo, s0
	v_mul_lo_u32 v3, v13, s48
	v_mul_lo_u32 v24, v12, s49
	v_mad_co_u64_u32 v[20:21], null, v12, s48, 0
	s_load_b64 s[0:1], s[44:45], 0xc8
	s_load_b64 s[48:49], s[42:43], 0x0
	v_mul_lo_u32 v25, v15, s54
	v_mul_lo_u32 v26, v14, s55
	v_mad_co_u64_u32 v[22:23], null, v14, s54, 0
	v_add3_u32 v3, v21, v24, v3
	v_sub_co_u32 v10, vcc_lo, v10, v20
	s_add_nc_u64 s[46:47], s[46:47], -2
	s_add_nc_u64 s[42:43], s[42:43], -16
	s_wait_alu 0xfffd
	v_sub_co_ci_u32_e64 v3, null, v11, v3, vcc_lo
	v_mul_lo_u32 v11, s53, v10
	v_mad_co_u64_u32 v[8:9], null, s52, v10, v[8:9]
	s_delay_alu instid0(VALU_DEP_3)
	v_mul_lo_u32 v20, s52, v3
	v_mul_lo_u32 v21, s51, v10
	v_mad_co_u64_u32 v[6:7], null, s50, v10, v[6:7]
	v_mul_lo_u32 v3, s50, v3
	v_add3_u32 v10, v23, v26, v25
	s_wait_alu 0xfffe
	s_cmp_eq_u64 s[46:47], 0
	s_add_nc_u64 s[44:45], s[44:45], -16
	v_add3_u32 v9, v11, v9, v20
	v_sub_co_u32 v11, vcc_lo, v12, v22
	s_wait_alu 0xfffd
	v_sub_co_ci_u32_e64 v10, null, v13, v10, vcc_lo
	v_add3_u32 v7, v21, v7, v3
	s_wait_kmcnt 0x0
	v_mad_co_u64_u32 v[8:9], null, s0, v11, v[8:9]
	s_delay_alu instid0(VALU_DEP_3) | instskip(SKIP_4) | instid1(VALU_DEP_4)
	v_mul_lo_u32 v3, s0, v10
	v_mul_lo_u32 v12, s1, v11
	;; [unrolled: 1-line block ×4, first 2 shown]
	v_mad_co_u64_u32 v[6:7], null, s48, v11, v[6:7]
	v_add3_u32 v9, v12, v9, v3
	s_delay_alu instid0(VALU_DEP_2)
	v_add3_u32 v7, v13, v7, v10
	v_dual_mov_b32 v10, v14 :: v_dual_mov_b32 v11, v15
	s_cbranch_scc1 .LBB35_29
.LBB35_21:                              ;   Parent Loop BB35_3 Depth=1
                                        ; =>  This Inner Loop Header: Depth=2
	s_load_b64 s[48:49], s[44:45], 0x8
                                        ; implicit-def: $vgpr12_vgpr13
	s_mov_b32 s0, exec_lo
	s_wait_kmcnt 0x0
	v_or_b32_e32 v3, s49, v11
	s_delay_alu instid0(VALU_DEP_1)
	v_cmpx_ne_u64_e32 0, v[2:3]
	s_wait_alu 0xfffe
	s_xor_b32 s1, exec_lo, s0
	s_cbranch_execz .LBB35_23
; %bb.22:                               ;   in Loop: Header=BB35_21 Depth=2
	s_ashr_i32 s50, s49, 31
	v_ashrrev_i32_e32 v3, 31, v11
	s_wait_alu 0xfffe
	s_mov_b32 s51, s50
	s_wait_alu 0xfffe
	s_add_nc_u64 s[52:53], s[48:49], s[50:51]
	v_add_co_u32 v12, vcc_lo, v10, v3
	s_wait_alu 0xfffe
	s_xor_b64 s[52:53], s[52:53], s[50:51]
	s_wait_alu 0xfffd
	v_add_co_ci_u32_e64 v13, null, v11, v3, vcc_lo
	s_wait_alu 0xfffe
	s_cvt_f32_u32 s0, s52
	s_cvt_f32_u32 s26, s53
	s_sub_nc_u64 s[56:57], 0, s[52:53]
	v_xor_b32_e32 v22, v12, v3
	v_xor_b32_e32 v23, v13, v3
	s_wait_alu 0xfffe
	s_fmamk_f32 s0, s26, 0x4f800000, s0
	v_xor_b32_e32 v3, s50, v3
	s_wait_alu 0xfffe
	s_delay_alu instid0(SALU_CYCLE_1) | instskip(NEXT) | instid1(TRANS32_DEP_1)
	v_s_rcp_f32 s0, s0
	s_mul_f32 s0, s0, 0x5f7ffffc
	s_wait_alu 0xfffe
	s_delay_alu instid0(SALU_CYCLE_2) | instskip(SKIP_1) | instid1(SALU_CYCLE_2)
	s_mul_f32 s26, s0, 0x2f800000
	s_wait_alu 0xfffe
	s_trunc_f32 s26, s26
	s_wait_alu 0xfffe
	s_delay_alu instid0(SALU_CYCLE_2) | instskip(SKIP_2) | instid1(SALU_CYCLE_1)
	s_fmamk_f32 s0, s26, 0xcf800000, s0
	s_cvt_u32_f32 s55, s26
	s_wait_alu 0xfffe
	s_cvt_u32_f32 s54, s0
	s_wait_alu 0xfffe
	s_delay_alu instid0(SALU_CYCLE_2)
	s_mul_u64 s[58:59], s[56:57], s[54:55]
	s_wait_alu 0xfffe
	s_mul_hi_u32 s65, s54, s59
	s_mul_i32 s64, s54, s59
	s_mul_hi_u32 s26, s54, s58
	s_mul_i32 s41, s55, s58
	s_wait_alu 0xfffe
	s_add_nc_u64 s[64:65], s[26:27], s[64:65]
	s_mul_hi_u32 s0, s55, s58
	s_mul_hi_u32 s51, s55, s59
	s_add_co_u32 s26, s64, s41
	s_wait_alu 0xfffe
	s_add_co_ci_u32 s26, s65, s0
	s_mul_i32 s58, s55, s59
	s_add_co_ci_u32 s59, s51, 0
	s_wait_alu 0xfffe
	s_add_nc_u64 s[58:59], s[26:27], s[58:59]
	s_wait_alu 0xfffe
	s_add_co_u32 s54, s54, s58
	s_cselect_b32 s0, -1, 0
	s_wait_alu 0xfffe
	s_cmp_lg_u32 s0, 0
	s_add_co_ci_u32 s55, s55, s59
	s_wait_alu 0xfffe
	s_mul_u64 s[56:57], s[56:57], s[54:55]
	s_wait_alu 0xfffe
	s_mul_hi_u32 s59, s54, s57
	s_mul_i32 s58, s54, s57
	s_mul_hi_u32 s26, s54, s56
	s_mul_i32 s41, s55, s56
	s_wait_alu 0xfffe
	s_add_nc_u64 s[58:59], s[26:27], s[58:59]
	s_mul_hi_u32 s0, s55, s56
	s_mul_hi_u32 s51, s55, s57
	s_wait_alu 0xfffe
	s_add_co_u32 s26, s58, s41
	s_add_co_ci_u32 s26, s59, s0
	s_mul_i32 s56, s55, s57
	s_add_co_ci_u32 s57, s51, 0
	s_wait_alu 0xfffe
	s_add_nc_u64 s[56:57], s[26:27], s[56:57]
	s_wait_alu 0xfffe
	s_add_co_u32 s0, s54, s56
	s_cselect_b32 s26, -1, 0
	s_wait_alu 0xfffe
	v_mul_hi_u32 v24, v22, s0
	s_cmp_lg_u32 s26, 0
	v_mad_co_u64_u32 v[14:15], null, v23, s0, 0
	s_add_co_ci_u32 s26, s55, s57
	s_wait_alu 0xfffe
	v_mad_co_u64_u32 v[12:13], null, v22, s26, 0
	v_mad_co_u64_u32 v[20:21], null, v23, s26, 0
	s_delay_alu instid0(VALU_DEP_2) | instskip(SKIP_1) | instid1(VALU_DEP_3)
	v_add_co_u32 v12, vcc_lo, v24, v12
	s_wait_alu 0xfffd
	v_add_co_ci_u32_e64 v13, null, 0, v13, vcc_lo
	s_delay_alu instid0(VALU_DEP_2) | instskip(SKIP_1) | instid1(VALU_DEP_2)
	v_add_co_u32 v12, vcc_lo, v12, v14
	s_wait_alu 0xfffd
	v_add_co_ci_u32_e32 v12, vcc_lo, v13, v15, vcc_lo
	s_wait_alu 0xfffd
	v_add_co_ci_u32_e32 v13, vcc_lo, 0, v21, vcc_lo
	s_delay_alu instid0(VALU_DEP_2) | instskip(SKIP_1) | instid1(VALU_DEP_2)
	v_add_co_u32 v14, vcc_lo, v12, v20
	s_wait_alu 0xfffd
	v_add_co_ci_u32_e64 v15, null, 0, v13, vcc_lo
	s_delay_alu instid0(VALU_DEP_2) | instskip(SKIP_1) | instid1(VALU_DEP_3)
	v_mul_lo_u32 v20, s53, v14
	v_mad_co_u64_u32 v[12:13], null, s52, v14, 0
	v_mul_lo_u32 v21, s52, v15
	s_delay_alu instid0(VALU_DEP_2) | instskip(NEXT) | instid1(VALU_DEP_2)
	v_sub_co_u32 v12, vcc_lo, v22, v12
	v_add3_u32 v13, v13, v21, v20
	v_add_co_u32 v21, s0, v14, 2
	s_wait_alu 0xf1ff
	v_add_co_ci_u32_e64 v22, null, 0, v15, s0
	s_delay_alu instid0(VALU_DEP_3) | instskip(SKIP_3) | instid1(VALU_DEP_3)
	v_sub_nc_u32_e32 v20, v23, v13
	v_sub_co_u32 v24, s0, v12, s52
	s_wait_alu 0xfffd
	v_sub_co_ci_u32_e64 v13, null, v23, v13, vcc_lo
	v_subrev_co_ci_u32_e64 v20, null, s53, v20, vcc_lo
	s_delay_alu instid0(VALU_DEP_3) | instskip(SKIP_1) | instid1(VALU_DEP_2)
	v_cmp_le_u32_e32 vcc_lo, s52, v24
	s_wait_alu 0xf1ff
	v_subrev_co_ci_u32_e64 v20, null, 0, v20, s0
	s_wait_alu 0xfffd
	v_cndmask_b32_e64 v23, 0, -1, vcc_lo
	s_delay_alu instid0(VALU_DEP_2)
	v_cmp_le_u32_e32 vcc_lo, s53, v20
	s_wait_alu 0xfffd
	v_cndmask_b32_e64 v24, 0, -1, vcc_lo
	v_cmp_le_u32_e32 vcc_lo, s52, v12
	s_wait_alu 0xfffd
	v_cndmask_b32_e64 v12, 0, -1, vcc_lo
	;; [unrolled: 3-line block ×3, first 2 shown]
	v_cmp_eq_u32_e32 vcc_lo, s53, v20
	s_wait_alu 0xfffd
	v_cndmask_b32_e32 v20, v24, v23, vcc_lo
	v_add_co_u32 v23, vcc_lo, v14, 1
	s_wait_alu 0xfffd
	v_add_co_ci_u32_e64 v24, null, 0, v15, vcc_lo
	v_cmp_eq_u32_e32 vcc_lo, s53, v13
	s_wait_alu 0xfffd
	v_cndmask_b32_e32 v12, v25, v12, vcc_lo
	v_cmp_ne_u32_e32 vcc_lo, 0, v20
	s_wait_alu 0xfffd
	v_cndmask_b32_e32 v13, v24, v22, vcc_lo
	s_delay_alu instid0(VALU_DEP_3) | instskip(SKIP_2) | instid1(VALU_DEP_2)
	v_cmp_ne_u32_e64 s0, 0, v12
	v_cndmask_b32_e32 v12, v23, v21, vcc_lo
	s_wait_alu 0xf1ff
	v_cndmask_b32_e64 v13, v15, v13, s0
	s_delay_alu instid0(VALU_DEP_2) | instskip(NEXT) | instid1(VALU_DEP_2)
	v_cndmask_b32_e64 v12, v14, v12, s0
	v_xor_b32_e32 v13, v13, v3
	s_delay_alu instid0(VALU_DEP_2) | instskip(NEXT) | instid1(VALU_DEP_1)
	v_xor_b32_e32 v12, v12, v3
	v_sub_co_u32 v12, vcc_lo, v12, v3
	s_wait_alu 0xfffd
	s_delay_alu instid0(VALU_DEP_3)
	v_sub_co_ci_u32_e64 v13, null, v13, v3, vcc_lo
.LBB35_23:                              ;   in Loop: Header=BB35_21 Depth=2
	s_wait_alu 0xfffe
	s_and_not1_saveexec_b32 s0, s1
	s_cbranch_execz .LBB35_25
; %bb.24:                               ;   in Loop: Header=BB35_21 Depth=2
	v_cvt_f32_u32_e32 v3, s48
	s_sub_co_i32 s1, 0, s48
	s_delay_alu instid0(VALU_DEP_1) | instskip(NEXT) | instid1(TRANS32_DEP_1)
	v_rcp_iflag_f32_e32 v3, v3
	v_mul_f32_e32 v3, 0x4f7ffffe, v3
	s_delay_alu instid0(VALU_DEP_1) | instskip(SKIP_1) | instid1(VALU_DEP_1)
	v_cvt_u32_f32_e32 v3, v3
	s_wait_alu 0xfffe
	v_mul_lo_u32 v12, s1, v3
	s_delay_alu instid0(VALU_DEP_1) | instskip(NEXT) | instid1(VALU_DEP_1)
	v_mul_hi_u32 v12, v3, v12
	v_add_nc_u32_e32 v3, v3, v12
	s_delay_alu instid0(VALU_DEP_1) | instskip(NEXT) | instid1(VALU_DEP_1)
	v_mul_hi_u32 v3, v10, v3
	v_mul_lo_u32 v12, v3, s48
	v_add_nc_u32_e32 v13, 1, v3
	s_delay_alu instid0(VALU_DEP_2) | instskip(NEXT) | instid1(VALU_DEP_1)
	v_sub_nc_u32_e32 v12, v10, v12
	v_subrev_nc_u32_e32 v14, s48, v12
	v_cmp_le_u32_e32 vcc_lo, s48, v12
	s_wait_alu 0xfffd
	s_delay_alu instid0(VALU_DEP_2) | instskip(NEXT) | instid1(VALU_DEP_1)
	v_dual_cndmask_b32 v12, v12, v14 :: v_dual_cndmask_b32 v3, v3, v13
	v_cmp_le_u32_e32 vcc_lo, s48, v12
	s_delay_alu instid0(VALU_DEP_2) | instskip(SKIP_1) | instid1(VALU_DEP_1)
	v_add_nc_u32_e32 v13, 1, v3
	s_wait_alu 0xfffd
	v_dual_cndmask_b32 v12, v3, v13 :: v_dual_mov_b32 v13, v2
.LBB35_25:                              ;   in Loop: Header=BB35_21 Depth=2
	s_wait_alu 0xfffe
	s_or_b32 exec_lo, exec_lo, s0
	s_clause 0x1
	s_load_b64 s[54:55], s[44:45], 0x0
	s_load_b64 s[52:53], s[44:45], 0xd0
	;; [unrolled: 1-line block ×3, first 2 shown]
                                        ; implicit-def: $vgpr14_vgpr15
	s_mov_b32 s0, exec_lo
	s_wait_kmcnt 0x0
	v_or_b32_e32 v3, s55, v13
	s_delay_alu instid0(VALU_DEP_1)
	v_cmpx_ne_u64_e32 0, v[2:3]
	s_wait_alu 0xfffe
	s_xor_b32 s1, exec_lo, s0
	s_cbranch_execz .LBB35_27
; %bb.26:                               ;   in Loop: Header=BB35_21 Depth=2
	s_ashr_i32 s56, s55, 31
	v_ashrrev_i32_e32 v3, 31, v13
	s_wait_alu 0xfffe
	s_mov_b32 s57, s56
	s_wait_alu 0xfffe
	s_add_nc_u64 s[58:59], s[54:55], s[56:57]
	v_add_co_u32 v14, vcc_lo, v12, v3
	s_wait_alu 0xfffe
	s_xor_b64 s[58:59], s[58:59], s[56:57]
	s_wait_alu 0xfffd
	v_add_co_ci_u32_e64 v15, null, v13, v3, vcc_lo
	s_wait_alu 0xfffe
	s_cvt_f32_u32 s0, s58
	s_cvt_f32_u32 s26, s59
	s_sub_nc_u64 s[66:67], 0, s[58:59]
	v_xor_b32_e32 v24, v14, v3
	v_xor_b32_e32 v25, v15, v3
	s_wait_alu 0xfffe
	s_fmamk_f32 s0, s26, 0x4f800000, s0
	v_xor_b32_e32 v3, s56, v3
	s_wait_alu 0xfffe
	s_delay_alu instid0(SALU_CYCLE_1) | instskip(NEXT) | instid1(TRANS32_DEP_1)
	v_s_rcp_f32 s0, s0
	s_mul_f32 s0, s0, 0x5f7ffffc
	s_wait_alu 0xfffe
	s_delay_alu instid0(SALU_CYCLE_2) | instskip(SKIP_1) | instid1(SALU_CYCLE_2)
	s_mul_f32 s26, s0, 0x2f800000
	s_wait_alu 0xfffe
	s_trunc_f32 s26, s26
	s_wait_alu 0xfffe
	s_delay_alu instid0(SALU_CYCLE_2) | instskip(SKIP_2) | instid1(SALU_CYCLE_1)
	s_fmamk_f32 s0, s26, 0xcf800000, s0
	s_cvt_u32_f32 s65, s26
	s_wait_alu 0xfffe
	s_cvt_u32_f32 s64, s0
	s_delay_alu instid0(SALU_CYCLE_3) | instskip(NEXT) | instid1(SALU_CYCLE_1)
	s_mul_u64 s[68:69], s[66:67], s[64:65]
	s_mul_hi_u32 s71, s64, s69
	s_mul_i32 s70, s64, s69
	s_mul_hi_u32 s26, s64, s68
	s_mul_i32 s41, s65, s68
	s_wait_alu 0xfffe
	s_add_nc_u64 s[70:71], s[26:27], s[70:71]
	s_mul_hi_u32 s0, s65, s68
	s_mul_hi_u32 s57, s65, s69
	s_add_co_u32 s26, s70, s41
	s_wait_alu 0xfffe
	s_add_co_ci_u32 s26, s71, s0
	s_mul_i32 s68, s65, s69
	s_add_co_ci_u32 s69, s57, 0
	s_wait_alu 0xfffe
	s_add_nc_u64 s[68:69], s[26:27], s[68:69]
	s_delay_alu instid0(SALU_CYCLE_1) | instskip(SKIP_4) | instid1(SALU_CYCLE_1)
	s_add_co_u32 s64, s64, s68
	s_cselect_b32 s0, -1, 0
	s_wait_alu 0xfffe
	s_cmp_lg_u32 s0, 0
	s_add_co_ci_u32 s65, s65, s69
	s_mul_u64 s[66:67], s[66:67], s[64:65]
	s_delay_alu instid0(SALU_CYCLE_1)
	s_mul_hi_u32 s69, s64, s67
	s_mul_i32 s68, s64, s67
	s_mul_hi_u32 s26, s64, s66
	s_mul_i32 s41, s65, s66
	s_wait_alu 0xfffe
	s_add_nc_u64 s[68:69], s[26:27], s[68:69]
	s_mul_hi_u32 s0, s65, s66
	s_mul_hi_u32 s57, s65, s67
	s_add_co_u32 s26, s68, s41
	s_wait_alu 0xfffe
	s_add_co_ci_u32 s26, s69, s0
	s_mul_i32 s66, s65, s67
	s_add_co_ci_u32 s67, s57, 0
	s_wait_alu 0xfffe
	s_add_nc_u64 s[66:67], s[26:27], s[66:67]
	s_delay_alu instid0(SALU_CYCLE_1)
	s_add_co_u32 s0, s64, s66
	s_cselect_b32 s26, -1, 0
	s_wait_alu 0xfffe
	v_mul_hi_u32 v26, v24, s0
	s_cmp_lg_u32 s26, 0
	v_mad_co_u64_u32 v[20:21], null, v25, s0, 0
	s_add_co_ci_u32 s26, s65, s67
	s_wait_alu 0xfffe
	v_mad_co_u64_u32 v[14:15], null, v24, s26, 0
	v_mad_co_u64_u32 v[22:23], null, v25, s26, 0
	s_delay_alu instid0(VALU_DEP_2) | instskip(SKIP_1) | instid1(VALU_DEP_3)
	v_add_co_u32 v14, vcc_lo, v26, v14
	s_wait_alu 0xfffd
	v_add_co_ci_u32_e64 v15, null, 0, v15, vcc_lo
	s_delay_alu instid0(VALU_DEP_2) | instskip(SKIP_1) | instid1(VALU_DEP_2)
	v_add_co_u32 v14, vcc_lo, v14, v20
	s_wait_alu 0xfffd
	v_add_co_ci_u32_e32 v14, vcc_lo, v15, v21, vcc_lo
	s_wait_alu 0xfffd
	v_add_co_ci_u32_e32 v15, vcc_lo, 0, v23, vcc_lo
	s_delay_alu instid0(VALU_DEP_2) | instskip(SKIP_1) | instid1(VALU_DEP_2)
	v_add_co_u32 v20, vcc_lo, v14, v22
	s_wait_alu 0xfffd
	v_add_co_ci_u32_e64 v21, null, 0, v15, vcc_lo
	s_delay_alu instid0(VALU_DEP_2) | instskip(SKIP_1) | instid1(VALU_DEP_3)
	v_mul_lo_u32 v22, s59, v20
	v_mad_co_u64_u32 v[14:15], null, s58, v20, 0
	v_mul_lo_u32 v23, s58, v21
	s_delay_alu instid0(VALU_DEP_2) | instskip(NEXT) | instid1(VALU_DEP_2)
	v_sub_co_u32 v14, vcc_lo, v24, v14
	v_add3_u32 v15, v15, v23, v22
	v_add_co_u32 v23, s0, v20, 2
	s_wait_alu 0xf1ff
	v_add_co_ci_u32_e64 v24, null, 0, v21, s0
	s_delay_alu instid0(VALU_DEP_3) | instskip(SKIP_3) | instid1(VALU_DEP_3)
	v_sub_nc_u32_e32 v22, v25, v15
	v_sub_co_u32 v26, s0, v14, s58
	s_wait_alu 0xfffd
	v_sub_co_ci_u32_e64 v15, null, v25, v15, vcc_lo
	v_subrev_co_ci_u32_e64 v22, null, s59, v22, vcc_lo
	s_delay_alu instid0(VALU_DEP_3) | instskip(SKIP_1) | instid1(VALU_DEP_2)
	v_cmp_le_u32_e32 vcc_lo, s58, v26
	s_wait_alu 0xf1ff
	v_subrev_co_ci_u32_e64 v22, null, 0, v22, s0
	s_wait_alu 0xfffd
	v_cndmask_b32_e64 v25, 0, -1, vcc_lo
	s_delay_alu instid0(VALU_DEP_2)
	v_cmp_le_u32_e32 vcc_lo, s59, v22
	s_wait_alu 0xfffd
	v_cndmask_b32_e64 v26, 0, -1, vcc_lo
	v_cmp_le_u32_e32 vcc_lo, s58, v14
	s_wait_alu 0xfffd
	v_cndmask_b32_e64 v14, 0, -1, vcc_lo
	;; [unrolled: 3-line block ×3, first 2 shown]
	v_cmp_eq_u32_e32 vcc_lo, s59, v22
	s_wait_alu 0xfffd
	v_cndmask_b32_e32 v22, v26, v25, vcc_lo
	v_add_co_u32 v25, vcc_lo, v20, 1
	s_wait_alu 0xfffd
	v_add_co_ci_u32_e64 v26, null, 0, v21, vcc_lo
	v_cmp_eq_u32_e32 vcc_lo, s59, v15
	s_wait_alu 0xfffd
	v_cndmask_b32_e32 v14, v27, v14, vcc_lo
	v_cmp_ne_u32_e32 vcc_lo, 0, v22
	s_wait_alu 0xfffd
	v_cndmask_b32_e32 v15, v26, v24, vcc_lo
	s_delay_alu instid0(VALU_DEP_3) | instskip(SKIP_2) | instid1(VALU_DEP_2)
	v_cmp_ne_u32_e64 s0, 0, v14
	v_cndmask_b32_e32 v14, v25, v23, vcc_lo
	s_wait_alu 0xf1ff
	v_cndmask_b32_e64 v15, v21, v15, s0
	s_delay_alu instid0(VALU_DEP_2) | instskip(NEXT) | instid1(VALU_DEP_2)
	v_cndmask_b32_e64 v14, v20, v14, s0
	v_xor_b32_e32 v15, v15, v3
	s_delay_alu instid0(VALU_DEP_2) | instskip(NEXT) | instid1(VALU_DEP_1)
	v_xor_b32_e32 v14, v14, v3
	v_sub_co_u32 v14, vcc_lo, v14, v3
	s_wait_alu 0xfffd
	s_delay_alu instid0(VALU_DEP_3)
	v_sub_co_ci_u32_e64 v15, null, v15, v3, vcc_lo
.LBB35_27:                              ;   in Loop: Header=BB35_21 Depth=2
	s_wait_alu 0xfffe
	s_and_not1_saveexec_b32 s0, s1
	s_cbranch_execz .LBB35_20
; %bb.28:                               ;   in Loop: Header=BB35_21 Depth=2
	v_cvt_f32_u32_e32 v3, s54
	s_sub_co_i32 s1, 0, s54
	s_delay_alu instid0(VALU_DEP_1) | instskip(NEXT) | instid1(TRANS32_DEP_1)
	v_rcp_iflag_f32_e32 v3, v3
	v_mul_f32_e32 v3, 0x4f7ffffe, v3
	s_delay_alu instid0(VALU_DEP_1) | instskip(SKIP_1) | instid1(VALU_DEP_1)
	v_cvt_u32_f32_e32 v3, v3
	s_wait_alu 0xfffe
	v_mul_lo_u32 v14, s1, v3
	s_delay_alu instid0(VALU_DEP_1) | instskip(NEXT) | instid1(VALU_DEP_1)
	v_mul_hi_u32 v14, v3, v14
	v_add_nc_u32_e32 v3, v3, v14
	s_delay_alu instid0(VALU_DEP_1) | instskip(NEXT) | instid1(VALU_DEP_1)
	v_mul_hi_u32 v3, v12, v3
	v_mul_lo_u32 v14, v3, s54
	v_add_nc_u32_e32 v15, 1, v3
	s_delay_alu instid0(VALU_DEP_2) | instskip(NEXT) | instid1(VALU_DEP_1)
	v_sub_nc_u32_e32 v14, v12, v14
	v_subrev_nc_u32_e32 v20, s54, v14
	v_cmp_le_u32_e32 vcc_lo, s54, v14
	s_wait_alu 0xfffd
	s_delay_alu instid0(VALU_DEP_2) | instskip(NEXT) | instid1(VALU_DEP_1)
	v_dual_cndmask_b32 v14, v14, v20 :: v_dual_cndmask_b32 v3, v3, v15
	v_cmp_le_u32_e32 vcc_lo, s54, v14
	s_delay_alu instid0(VALU_DEP_2) | instskip(SKIP_1) | instid1(VALU_DEP_1)
	v_add_nc_u32_e32 v15, 1, v3
	s_wait_alu 0xfffd
	v_dual_cndmask_b32 v14, v3, v15 :: v_dual_mov_b32 v15, v2
	s_branch .LBB35_20
.LBB35_29:                              ;   in Loop: Header=BB35_3 Depth=1
	v_sub_co_u32 v12, vcc_lo, v4, v18
	s_wait_alu 0xfffd
	v_sub_co_ci_u32_e64 v13, null, v5, v19, vcc_lo
	v_dual_mov_b32 v14, 0 :: v_dual_mov_b32 v15, 0
	v_dual_mov_b32 v10, 0 :: v_dual_mov_b32 v11, 0
	s_mov_b32 s0, exec_lo
	s_delay_alu instid0(VALU_DEP_3)
	v_cmpx_ge_i64_e64 s[4:5], v[12:13]
	s_cbranch_execz .LBB35_35
; %bb.30:                               ;   in Loop: Header=BB35_3 Depth=1
	v_dual_mov_b32 v11, 0 :: v_dual_mov_b32 v10, 0
	v_dual_mov_b32 v15, 0 :: v_dual_mov_b32 v14, 0
	s_mov_b32 s1, exec_lo
	v_cmpx_gt_i64_e64 s[10:11], v[4:5]
	s_cbranch_execz .LBB35_34
; %bb.31:                               ;   in Loop: Header=BB35_3 Depth=1
	v_lshlrev_b64_e32 v[8:9], 3, v[8:9]
	s_delay_alu instid0(VALU_DEP_1) | instskip(SKIP_1) | instid1(VALU_DEP_2)
	v_add_co_u32 v8, vcc_lo, s2, v8
	s_wait_alu 0xfffd
	v_add_co_ci_u32_e64 v9, null, s3, v9, vcc_lo
	v_add_co_u32 v14, vcc_lo, v4, 1
	s_wait_alu 0xfffd
	v_add_co_ci_u32_e64 v15, null, 0, v5, vcc_lo
	global_load_b64 v[10:11], v[8:9], off
	v_cmp_gt_i64_e32 vcc_lo, s[10:11], v[14:15]
	v_dual_mov_b32 v14, 0 :: v_dual_mov_b32 v15, 0
	s_and_saveexec_b32 s26, vcc_lo
	s_cbranch_execz .LBB35_33
; %bb.32:                               ;   in Loop: Header=BB35_3 Depth=1
	s_lshl_b64 s[42:43], s[14:15], 3
	s_wait_alu 0xfffe
	v_add_co_u32 v8, vcc_lo, v8, s42
	s_wait_alu 0xfffd
	v_add_co_ci_u32_e64 v9, null, s43, v9, vcc_lo
	global_load_b64 v[14:15], v[8:9], off
.LBB35_33:                              ;   in Loop: Header=BB35_3 Depth=1
	s_wait_alu 0xfffe
	s_or_b32 exec_lo, exec_lo, s26
.LBB35_34:                              ;   in Loop: Header=BB35_3 Depth=1
	s_wait_alu 0xfffe
	s_or_b32 exec_lo, exec_lo, s1
	v_add_co_u32 v8, vcc_lo, v12, 1
	s_wait_alu 0xfffd
	v_add_co_ci_u32_e64 v9, null, 0, v13, vcc_lo
	s_delay_alu instid0(VALU_DEP_1)
	v_cmp_lt_i64_e32 vcc_lo, s[4:5], v[8:9]
	s_wait_loadcnt 0x0
	s_wait_alu 0xfffd
	v_cndmask_b32_e64 v14, v14, 0, vcc_lo
	v_cndmask_b32_e64 v15, v15, 0, vcc_lo
.LBB35_35:                              ;   in Loop: Header=BB35_3 Depth=1
	s_wait_alu 0xfffe
	s_or_b32 exec_lo, exec_lo, s0
	s_delay_alu instid0(SALU_CYCLE_1)
	s_mov_b32 s0, exec_lo
	v_cmpx_gt_i64_e64 s[10:11], v[4:5]
	s_cbranch_execz .LBB35_2
; %bb.36:                               ;   in Loop: Header=BB35_3 Depth=1
	v_lshlrev_b64_e32 v[6:7], 3, v[6:7]
	v_add_co_u32 v8, vcc_lo, v4, 1
	s_wait_alu 0xfffd
	v_add_co_ci_u32_e64 v9, null, 0, v5, vcc_lo
	s_mov_b32 s1, exec_lo
	v_add_co_u32 v3, vcc_lo, s24, v6
	s_wait_alu 0xfffd
	v_add_co_ci_u32_e64 v4, null, s25, v7, vcc_lo
	global_store_b64 v[3:4], v[10:11], off
	v_cmpx_gt_i64_e64 s[10:11], v[8:9]
	s_wait_alu 0xfffe
	s_xor_b32 s1, exec_lo, s1
	s_cbranch_execz .LBB35_2
; %bb.37:                               ;   in Loop: Header=BB35_3 Depth=1
	s_lshl_b64 s[42:43], s[18:19], 3
	s_wait_alu 0xfffe
	v_add_co_u32 v3, vcc_lo, v3, s42
	s_wait_alu 0xfffd
	v_add_co_ci_u32_e64 v4, null, s43, v4, vcc_lo
	global_store_b64 v[3:4], v[14:15], off
	s_branch .LBB35_2
.LBB35_38:
	s_endpgm
	.section	.rodata,"a",@progbits
	.p2align	6, 0x0
	.amdhsa_kernel _ZN2at6native16triu_tril_kernelIN3c107complexIfEElLb0ELi2ELb0EEEvNS_4cuda6detail10TensorInfoIT_T0_EENS7_IKS8_S9_EEllS9_
		.amdhsa_group_segment_fixed_size 0
		.amdhsa_private_segment_fixed_size 0
		.amdhsa_kernarg_size 1112
		.amdhsa_user_sgpr_count 2
		.amdhsa_user_sgpr_dispatch_ptr 0
		.amdhsa_user_sgpr_queue_ptr 0
		.amdhsa_user_sgpr_kernarg_segment_ptr 1
		.amdhsa_user_sgpr_dispatch_id 0
		.amdhsa_user_sgpr_private_segment_size 0
		.amdhsa_wavefront_size32 1
		.amdhsa_uses_dynamic_stack 0
		.amdhsa_enable_private_segment 0
		.amdhsa_system_sgpr_workgroup_id_x 1
		.amdhsa_system_sgpr_workgroup_id_y 0
		.amdhsa_system_sgpr_workgroup_id_z 0
		.amdhsa_system_sgpr_workgroup_info 0
		.amdhsa_system_vgpr_workitem_id 0
		.amdhsa_next_free_vgpr 28
		.amdhsa_next_free_sgpr 72
		.amdhsa_reserve_vcc 1
		.amdhsa_float_round_mode_32 0
		.amdhsa_float_round_mode_16_64 0
		.amdhsa_float_denorm_mode_32 3
		.amdhsa_float_denorm_mode_16_64 3
		.amdhsa_fp16_overflow 0
		.amdhsa_workgroup_processor_mode 1
		.amdhsa_memory_ordered 1
		.amdhsa_forward_progress 1
		.amdhsa_inst_pref_size 51
		.amdhsa_round_robin_scheduling 0
		.amdhsa_exception_fp_ieee_invalid_op 0
		.amdhsa_exception_fp_denorm_src 0
		.amdhsa_exception_fp_ieee_div_zero 0
		.amdhsa_exception_fp_ieee_overflow 0
		.amdhsa_exception_fp_ieee_underflow 0
		.amdhsa_exception_fp_ieee_inexact 0
		.amdhsa_exception_int_div_zero 0
	.end_amdhsa_kernel
	.section	.text._ZN2at6native16triu_tril_kernelIN3c107complexIfEElLb0ELi2ELb0EEEvNS_4cuda6detail10TensorInfoIT_T0_EENS7_IKS8_S9_EEllS9_,"axG",@progbits,_ZN2at6native16triu_tril_kernelIN3c107complexIfEElLb0ELi2ELb0EEEvNS_4cuda6detail10TensorInfoIT_T0_EENS7_IKS8_S9_EEllS9_,comdat
.Lfunc_end35:
	.size	_ZN2at6native16triu_tril_kernelIN3c107complexIfEElLb0ELi2ELb0EEEvNS_4cuda6detail10TensorInfoIT_T0_EENS7_IKS8_S9_EEllS9_, .Lfunc_end35-_ZN2at6native16triu_tril_kernelIN3c107complexIfEElLb0ELi2ELb0EEEvNS_4cuda6detail10TensorInfoIT_T0_EENS7_IKS8_S9_EEllS9_
                                        ; -- End function
	.set _ZN2at6native16triu_tril_kernelIN3c107complexIfEElLb0ELi2ELb0EEEvNS_4cuda6detail10TensorInfoIT_T0_EENS7_IKS8_S9_EEllS9_.num_vgpr, 28
	.set _ZN2at6native16triu_tril_kernelIN3c107complexIfEElLb0ELi2ELb0EEEvNS_4cuda6detail10TensorInfoIT_T0_EENS7_IKS8_S9_EEllS9_.num_agpr, 0
	.set _ZN2at6native16triu_tril_kernelIN3c107complexIfEElLb0ELi2ELb0EEEvNS_4cuda6detail10TensorInfoIT_T0_EENS7_IKS8_S9_EEllS9_.numbered_sgpr, 72
	.set _ZN2at6native16triu_tril_kernelIN3c107complexIfEElLb0ELi2ELb0EEEvNS_4cuda6detail10TensorInfoIT_T0_EENS7_IKS8_S9_EEllS9_.num_named_barrier, 0
	.set _ZN2at6native16triu_tril_kernelIN3c107complexIfEElLb0ELi2ELb0EEEvNS_4cuda6detail10TensorInfoIT_T0_EENS7_IKS8_S9_EEllS9_.private_seg_size, 0
	.set _ZN2at6native16triu_tril_kernelIN3c107complexIfEElLb0ELi2ELb0EEEvNS_4cuda6detail10TensorInfoIT_T0_EENS7_IKS8_S9_EEllS9_.uses_vcc, 1
	.set _ZN2at6native16triu_tril_kernelIN3c107complexIfEElLb0ELi2ELb0EEEvNS_4cuda6detail10TensorInfoIT_T0_EENS7_IKS8_S9_EEllS9_.uses_flat_scratch, 0
	.set _ZN2at6native16triu_tril_kernelIN3c107complexIfEElLb0ELi2ELb0EEEvNS_4cuda6detail10TensorInfoIT_T0_EENS7_IKS8_S9_EEllS9_.has_dyn_sized_stack, 0
	.set _ZN2at6native16triu_tril_kernelIN3c107complexIfEElLb0ELi2ELb0EEEvNS_4cuda6detail10TensorInfoIT_T0_EENS7_IKS8_S9_EEllS9_.has_recursion, 0
	.set _ZN2at6native16triu_tril_kernelIN3c107complexIfEElLb0ELi2ELb0EEEvNS_4cuda6detail10TensorInfoIT_T0_EENS7_IKS8_S9_EEllS9_.has_indirect_call, 0
	.section	.AMDGPU.csdata,"",@progbits
; Kernel info:
; codeLenInByte = 6492
; TotalNumSgprs: 74
; NumVgprs: 28
; ScratchSize: 0
; MemoryBound: 0
; FloatMode: 240
; IeeeMode: 1
; LDSByteSize: 0 bytes/workgroup (compile time only)
; SGPRBlocks: 0
; VGPRBlocks: 3
; NumSGPRsForWavesPerEU: 74
; NumVGPRsForWavesPerEU: 28
; Occupancy: 16
; WaveLimiterHint : 0
; COMPUTE_PGM_RSRC2:SCRATCH_EN: 0
; COMPUTE_PGM_RSRC2:USER_SGPR: 2
; COMPUTE_PGM_RSRC2:TRAP_HANDLER: 0
; COMPUTE_PGM_RSRC2:TGID_X_EN: 1
; COMPUTE_PGM_RSRC2:TGID_Y_EN: 0
; COMPUTE_PGM_RSRC2:TGID_Z_EN: 0
; COMPUTE_PGM_RSRC2:TIDIG_COMP_CNT: 0
	.section	.text._ZN2at6native16triu_tril_kernelIN3c107complexINS2_4HalfEEEiLb0ELi2ELb1EEEvNS_4cuda6detail10TensorInfoIT_T0_EENS8_IKS9_SA_EEllSA_,"axG",@progbits,_ZN2at6native16triu_tril_kernelIN3c107complexINS2_4HalfEEEiLb0ELi2ELb1EEEvNS_4cuda6detail10TensorInfoIT_T0_EENS8_IKS9_SA_EEllSA_,comdat
	.protected	_ZN2at6native16triu_tril_kernelIN3c107complexINS2_4HalfEEEiLb0ELi2ELb1EEEvNS_4cuda6detail10TensorInfoIT_T0_EENS8_IKS9_SA_EEllSA_ ; -- Begin function _ZN2at6native16triu_tril_kernelIN3c107complexINS2_4HalfEEEiLb0ELi2ELb1EEEvNS_4cuda6detail10TensorInfoIT_T0_EENS8_IKS9_SA_EEllSA_
	.globl	_ZN2at6native16triu_tril_kernelIN3c107complexINS2_4HalfEEEiLb0ELi2ELb1EEEvNS_4cuda6detail10TensorInfoIT_T0_EENS8_IKS9_SA_EEllSA_
	.p2align	8
	.type	_ZN2at6native16triu_tril_kernelIN3c107complexINS2_4HalfEEEiLb0ELi2ELb1EEEvNS_4cuda6detail10TensorInfoIT_T0_EENS8_IKS9_SA_EEllSA_,@function
_ZN2at6native16triu_tril_kernelIN3c107complexINS2_4HalfEEEiLb0ELi2ELb1EEEvNS_4cuda6detail10TensorInfoIT_T0_EENS8_IKS9_SA_EEllSA_: ; @_ZN2at6native16triu_tril_kernelIN3c107complexINS2_4HalfEEEiLb0ELi2ELb1EEEvNS_4cuda6detail10TensorInfoIT_T0_EENS8_IKS9_SA_EEllSA_
; %bb.0:
	s_clause 0x1
	s_load_b32 s2, s[0:1], 0x1d4
	s_load_b128 s[4:7], s[0:1], 0x1b0
	v_mov_b32_e32 v2, 0
	s_mov_b32 s3, exec_lo
	s_delay_alu instid0(VALU_DEP_1)
	v_mov_b32_e32 v1, v2
	s_wait_kmcnt 0x0
	s_and_b32 s2, s2, 0xffff
	s_delay_alu instid0(VALU_DEP_1) | instid1(SALU_CYCLE_1)
	v_mad_co_u64_u32 v[0:1], null, s2, ttmp9, v[0:1]
	s_delay_alu instid0(VALU_DEP_1) | instskip(NEXT) | instid1(VALU_DEP_1)
	v_lshlrev_b64_e32 v[0:1], 1, v[0:1]
	v_cmpx_gt_i64_e64 s[6:7], v[0:1]
	s_cbranch_execz .LBB36_62
; %bb.1:
	s_clause 0x1
	s_load_b32 s20, s[0:1], 0x1a8
	s_load_b32 s8, s[0:1], 0x1c0
	s_add_nc_u64 s[12:13], s[0:1], 0x1c8
	s_add_nc_u64 s[10:11], s[0:1], 0xd8
	s_load_b32 s3, s[12:13], 0x0
	s_mov_b32 s19, 0
	s_mov_b32 s57, 0
	s_wait_kmcnt 0x0
	s_ashr_i32 s21, s20, 31
	v_cvt_f32_u32_e32 v3, s8
	s_lshl_b64 s[22:23], s[20:21], 2
	s_add_co_i32 s9, s20, 6
	s_add_nc_u64 s[12:13], s[10:11], s[22:23]
	s_mul_i32 s3, s3, s2
	s_clause 0x1
	s_load_b32 s14, s[12:13], 0x0
	s_load_b64 s[16:17], s[0:1], 0x0
	v_rcp_iflag_f32_e32 v3, v3
	s_and_b32 s18, s20, 7
	s_add_co_i32 s33, s20, -3
	s_and_b32 s52, s9, 7
	s_lshl_b32 s53, s3, 1
	s_ashr_i32 s9, s8, 31
	v_cmp_gt_i64_e64 s56, s[20:21], 2
	s_add_nc_u64 s[20:21], s[0:1], s[22:23]
	s_wait_kmcnt 0x0
	v_cvt_f32_u32_e32 v4, s14
	s_ashr_i32 s15, s14, 31
	s_cmp_lg_u32 s18, 2
	s_cselect_b32 s54, -1, 0
	s_delay_alu instid0(VALU_DEP_1)
	v_rcp_iflag_f32_e32 v4, v4
	v_mul_f32_e32 v3, 0x4f7ffffe, v3
	s_cmp_gt_u32 s33, 6
	s_cselect_b32 s55, -1, 0
	s_sub_co_i32 s2, 0, s8
	s_wait_alu 0xfffe
	s_ashr_i32 s22, s9, 31
	s_ashr_i32 s24, s15, 31
	s_delay_alu instid0(TRANS32_DEP_1) | instskip(SKIP_1) | instid1(VALU_DEP_2)
	v_mul_f32_e32 v4, 0x4f7ffffe, v4
	v_cvt_u32_f32_e32 v3, v3
	v_cvt_u32_f32_e32 v25, v4
	s_delay_alu instid0(VALU_DEP_2) | instskip(NEXT) | instid1(VALU_DEP_1)
	v_mul_lo_u32 v5, s2, v3
	v_mul_hi_u32 v5, v3, v5
	s_delay_alu instid0(VALU_DEP_1)
	v_add_nc_u32_e32 v26, v3, v5
	s_branch .LBB36_3
.LBB36_2:                               ;   in Loop: Header=BB36_3 Depth=1
	s_wait_alu 0xfffe
	s_or_b32 exec_lo, exec_lo, s23
	v_add_co_u32 v0, vcc_lo, v0, s53
	s_wait_alu 0xfffd
	v_add_co_ci_u32_e64 v1, null, 0, v1, vcc_lo
	s_delay_alu instid0(VALU_DEP_1) | instskip(SKIP_1) | instid1(SALU_CYCLE_1)
	v_cmp_le_i64_e32 vcc_lo, s[6:7], v[0:1]
	s_or_b32 s57, vcc_lo, s57
	s_and_not1_b32 exec_lo, exec_lo, s57
	s_cbranch_execz .LBB36_62
.LBB36_3:                               ; =>This Loop Header: Depth=1
                                        ;     Child Loop BB36_16 Depth 2
                                        ;     Child Loop BB36_22 Depth 2
	v_or_b32_e32 v3, s9, v1
                                        ; implicit-def: $vgpr4_vgpr5
	s_mov_b32 s2, exec_lo
	s_delay_alu instid0(VALU_DEP_1)
	v_cmpx_ne_u64_e32 0, v[2:3]
	s_wait_alu 0xfffe
	s_xor_b32 s3, exec_lo, s2
	s_cbranch_execz .LBB36_5
; %bb.4:                                ;   in Loop: Header=BB36_3 Depth=1
	s_mov_b32 s23, s22
	v_ashrrev_i32_e32 v9, 31, v1
	s_wait_alu 0xfffe
	s_add_nc_u64 s[26:27], s[8:9], s[22:23]
	s_wait_alu 0xfffe
	s_xor_b64 s[26:27], s[26:27], s[22:23]
	v_add_co_u32 v3, vcc_lo, v0, v9
	s_wait_alu 0xfffe
	s_cvt_f32_u32 s2, s26
	s_cvt_f32_u32 s18, s27
	s_sub_nc_u64 s[30:31], 0, s[26:27]
	s_wait_alu 0xfffd
	v_add_co_ci_u32_e64 v4, null, v1, v9, vcc_lo
	s_wait_alu 0xfffe
	s_fmamk_f32 s2, s18, 0x4f800000, s2
	v_xor_b32_e32 v10, v3, v9
	s_delay_alu instid0(VALU_DEP_2) | instskip(SKIP_2) | instid1(TRANS32_DEP_1)
	v_xor_b32_e32 v11, v4, v9
	s_wait_alu 0xfffe
	v_s_rcp_f32 s2, s2
	s_mul_f32 s2, s2, 0x5f7ffffc
	s_wait_alu 0xfffe
	s_delay_alu instid0(SALU_CYCLE_2) | instskip(SKIP_1) | instid1(SALU_CYCLE_2)
	s_mul_f32 s18, s2, 0x2f800000
	s_wait_alu 0xfffe
	s_trunc_f32 s18, s18
	s_wait_alu 0xfffe
	s_delay_alu instid0(SALU_CYCLE_2) | instskip(SKIP_2) | instid1(SALU_CYCLE_1)
	s_fmamk_f32 s2, s18, 0xcf800000, s2
	s_cvt_u32_f32 s29, s18
	s_wait_alu 0xfffe
	s_cvt_u32_f32 s28, s2
	s_wait_alu 0xfffe
	s_delay_alu instid0(SALU_CYCLE_2)
	s_mul_u64 s[34:35], s[30:31], s[28:29]
	s_wait_alu 0xfffe
	s_mul_hi_u32 s37, s28, s35
	s_mul_i32 s36, s28, s35
	s_mul_hi_u32 s18, s28, s34
	s_mul_i32 s23, s29, s34
	s_wait_alu 0xfffe
	s_add_nc_u64 s[36:37], s[18:19], s[36:37]
	s_mul_hi_u32 s2, s29, s34
	s_mul_hi_u32 s25, s29, s35
	s_wait_alu 0xfffe
	s_add_co_u32 s18, s36, s23
	s_add_co_ci_u32 s18, s37, s2
	s_mul_i32 s34, s29, s35
	s_add_co_ci_u32 s35, s25, 0
	s_wait_alu 0xfffe
	s_add_nc_u64 s[34:35], s[18:19], s[34:35]
	s_wait_alu 0xfffe
	s_add_co_u32 s28, s28, s34
	s_cselect_b32 s2, -1, 0
	s_wait_alu 0xfffe
	s_cmp_lg_u32 s2, 0
	s_add_co_ci_u32 s29, s29, s35
	s_wait_alu 0xfffe
	s_mul_u64 s[30:31], s[30:31], s[28:29]
	s_wait_alu 0xfffe
	s_mul_hi_u32 s35, s28, s31
	s_mul_i32 s34, s28, s31
	s_mul_hi_u32 s18, s28, s30
	s_mul_i32 s23, s29, s30
	s_wait_alu 0xfffe
	s_add_nc_u64 s[34:35], s[18:19], s[34:35]
	s_mul_hi_u32 s2, s29, s30
	s_mul_hi_u32 s25, s29, s31
	s_wait_alu 0xfffe
	s_add_co_u32 s18, s34, s23
	s_add_co_ci_u32 s18, s35, s2
	s_mul_i32 s30, s29, s31
	s_add_co_ci_u32 s31, s25, 0
	s_wait_alu 0xfffe
	s_add_nc_u64 s[30:31], s[18:19], s[30:31]
	s_wait_alu 0xfffe
	s_add_co_u32 s2, s28, s30
	s_cselect_b32 s18, -1, 0
	s_wait_alu 0xfffe
	v_mul_hi_u32 v12, v10, s2
	s_cmp_lg_u32 s18, 0
	v_mad_co_u64_u32 v[5:6], null, v11, s2, 0
	s_add_co_ci_u32 s18, s29, s31
	s_wait_alu 0xfffe
	v_mad_co_u64_u32 v[3:4], null, v10, s18, 0
	v_mad_co_u64_u32 v[7:8], null, v11, s18, 0
	s_delay_alu instid0(VALU_DEP_2) | instskip(SKIP_1) | instid1(VALU_DEP_3)
	v_add_co_u32 v3, vcc_lo, v12, v3
	s_wait_alu 0xfffd
	v_add_co_ci_u32_e64 v4, null, 0, v4, vcc_lo
	s_delay_alu instid0(VALU_DEP_2) | instskip(SKIP_1) | instid1(VALU_DEP_2)
	v_add_co_u32 v3, vcc_lo, v3, v5
	s_wait_alu 0xfffd
	v_add_co_ci_u32_e32 v3, vcc_lo, v4, v6, vcc_lo
	s_wait_alu 0xfffd
	v_add_co_ci_u32_e32 v4, vcc_lo, 0, v8, vcc_lo
	s_delay_alu instid0(VALU_DEP_2) | instskip(SKIP_1) | instid1(VALU_DEP_2)
	v_add_co_u32 v5, vcc_lo, v3, v7
	s_wait_alu 0xfffd
	v_add_co_ci_u32_e64 v6, null, 0, v4, vcc_lo
	s_delay_alu instid0(VALU_DEP_2) | instskip(SKIP_1) | instid1(VALU_DEP_3)
	v_mul_lo_u32 v7, s27, v5
	v_mad_co_u64_u32 v[3:4], null, s26, v5, 0
	v_mul_lo_u32 v8, s26, v6
	s_delay_alu instid0(VALU_DEP_2) | instskip(NEXT) | instid1(VALU_DEP_2)
	v_sub_co_u32 v3, vcc_lo, v10, v3
	v_add3_u32 v4, v4, v8, v7
	v_add_co_u32 v8, s2, v5, 2
	s_wait_alu 0xf1ff
	v_add_co_ci_u32_e64 v10, null, 0, v6, s2
	s_delay_alu instid0(VALU_DEP_3) | instskip(SKIP_3) | instid1(VALU_DEP_3)
	v_sub_nc_u32_e32 v7, v11, v4
	v_sub_co_u32 v12, s2, v3, s26
	s_wait_alu 0xfffd
	v_sub_co_ci_u32_e64 v4, null, v11, v4, vcc_lo
	v_subrev_co_ci_u32_e64 v7, null, s27, v7, vcc_lo
	s_delay_alu instid0(VALU_DEP_3) | instskip(SKIP_1) | instid1(VALU_DEP_2)
	v_cmp_le_u32_e32 vcc_lo, s26, v12
	s_wait_alu 0xf1ff
	v_subrev_co_ci_u32_e64 v7, null, 0, v7, s2
	s_wait_alu 0xfffd
	v_cndmask_b32_e64 v11, 0, -1, vcc_lo
	s_delay_alu instid0(VALU_DEP_2)
	v_cmp_le_u32_e32 vcc_lo, s27, v7
	s_wait_alu 0xfffd
	v_cndmask_b32_e64 v12, 0, -1, vcc_lo
	v_cmp_le_u32_e32 vcc_lo, s26, v3
	s_wait_alu 0xfffd
	v_cndmask_b32_e64 v3, 0, -1, vcc_lo
	;; [unrolled: 3-line block ×3, first 2 shown]
	v_cmp_eq_u32_e32 vcc_lo, s27, v7
	s_wait_alu 0xfffd
	v_cndmask_b32_e32 v7, v12, v11, vcc_lo
	v_add_co_u32 v11, vcc_lo, v5, 1
	s_wait_alu 0xfffd
	v_add_co_ci_u32_e64 v12, null, 0, v6, vcc_lo
	v_cmp_eq_u32_e32 vcc_lo, s27, v4
	s_wait_alu 0xfffd
	v_cndmask_b32_e32 v3, v13, v3, vcc_lo
	v_cmp_ne_u32_e32 vcc_lo, 0, v7
	v_xor_b32_e32 v7, s22, v9
	s_wait_alu 0xfffd
	v_cndmask_b32_e32 v4, v12, v10, vcc_lo
	v_cmp_ne_u32_e64 s2, 0, v3
	v_cndmask_b32_e32 v3, v11, v8, vcc_lo
	s_wait_alu 0xf1ff
	s_delay_alu instid0(VALU_DEP_2) | instskip(NEXT) | instid1(VALU_DEP_2)
	v_cndmask_b32_e64 v4, v6, v4, s2
	v_cndmask_b32_e64 v3, v5, v3, s2
	s_delay_alu instid0(VALU_DEP_2) | instskip(NEXT) | instid1(VALU_DEP_2)
	v_xor_b32_e32 v5, v4, v7
	v_xor_b32_e32 v3, v3, v7
	s_delay_alu instid0(VALU_DEP_1) | instskip(SKIP_1) | instid1(VALU_DEP_3)
	v_sub_co_u32 v4, vcc_lo, v3, v7
	s_wait_alu 0xfffd
	v_sub_co_ci_u32_e64 v5, null, v5, v7, vcc_lo
.LBB36_5:                               ;   in Loop: Header=BB36_3 Depth=1
	s_wait_alu 0xfffe
	s_and_not1_saveexec_b32 s2, s3
	s_cbranch_execz .LBB36_7
; %bb.6:                                ;   in Loop: Header=BB36_3 Depth=1
	v_mul_hi_u32 v3, v0, v26
	s_delay_alu instid0(VALU_DEP_1) | instskip(NEXT) | instid1(VALU_DEP_1)
	v_mul_lo_u32 v4, v3, s8
	v_sub_nc_u32_e32 v4, v0, v4
	s_delay_alu instid0(VALU_DEP_1) | instskip(SKIP_2) | instid1(VALU_DEP_2)
	v_subrev_nc_u32_e32 v6, s8, v4
	v_cmp_le_u32_e32 vcc_lo, s8, v4
	s_wait_alu 0xfffd
	v_dual_cndmask_b32 v4, v4, v6 :: v_dual_add_nc_u32 v5, 1, v3
	s_delay_alu instid0(VALU_DEP_1) | instskip(NEXT) | instid1(VALU_DEP_2)
	v_cndmask_b32_e32 v3, v3, v5, vcc_lo
	v_cmp_le_u32_e32 vcc_lo, s8, v4
	s_delay_alu instid0(VALU_DEP_2) | instskip(SKIP_1) | instid1(VALU_DEP_1)
	v_add_nc_u32_e32 v5, 1, v3
	s_wait_alu 0xfffd
	v_dual_cndmask_b32 v4, v3, v5 :: v_dual_mov_b32 v5, v2
.LBB36_7:                               ;   in Loop: Header=BB36_3 Depth=1
	s_wait_alu 0xfffe
	s_or_b32 exec_lo, exec_lo, s2
	s_delay_alu instid0(VALU_DEP_1) | instskip(SKIP_1) | instid1(VALU_DEP_1)
	v_or_b32_e32 v3, s15, v5
                                        ; implicit-def: $vgpr7_vgpr8
	s_mov_b32 s2, exec_lo
	v_cmpx_ne_u64_e32 0, v[2:3]
	s_wait_alu 0xfffe
	s_xor_b32 s3, exec_lo, s2
	s_cbranch_execz .LBB36_9
; %bb.8:                                ;   in Loop: Header=BB36_3 Depth=1
	s_mov_b32 s25, s24
	v_ashrrev_i32_e32 v3, 31, v5
	s_wait_alu 0xfffe
	s_add_nc_u64 s[26:27], s[14:15], s[24:25]
	s_wait_alu 0xfffe
	s_xor_b64 s[26:27], s[26:27], s[24:25]
	v_add_co_u32 v6, vcc_lo, v4, v3
	s_wait_alu 0xfffe
	s_cvt_f32_u32 s2, s26
	s_cvt_f32_u32 s18, s27
	s_sub_nc_u64 s[30:31], 0, s[26:27]
	s_wait_alu 0xfffd
	v_add_co_ci_u32_e64 v5, null, v5, v3, vcc_lo
	s_wait_alu 0xfffe
	s_fmamk_f32 s2, s18, 0x4f800000, s2
	v_xor_b32_e32 v11, v6, v3
	s_delay_alu instid0(VALU_DEP_2) | instskip(SKIP_3) | instid1(TRANS32_DEP_1)
	v_xor_b32_e32 v12, v5, v3
	s_wait_alu 0xfffe
	v_s_rcp_f32 s2, s2
	v_xor_b32_e32 v3, s24, v3
	s_mul_f32 s2, s2, 0x5f7ffffc
	s_wait_alu 0xfffe
	s_delay_alu instid0(SALU_CYCLE_2) | instskip(SKIP_1) | instid1(SALU_CYCLE_2)
	s_mul_f32 s18, s2, 0x2f800000
	s_wait_alu 0xfffe
	s_trunc_f32 s18, s18
	s_wait_alu 0xfffe
	s_delay_alu instid0(SALU_CYCLE_2) | instskip(SKIP_2) | instid1(SALU_CYCLE_1)
	s_fmamk_f32 s2, s18, 0xcf800000, s2
	s_cvt_u32_f32 s29, s18
	s_wait_alu 0xfffe
	s_cvt_u32_f32 s28, s2
	s_wait_alu 0xfffe
	s_delay_alu instid0(SALU_CYCLE_2)
	s_mul_u64 s[34:35], s[30:31], s[28:29]
	s_wait_alu 0xfffe
	s_mul_hi_u32 s37, s28, s35
	s_mul_i32 s36, s28, s35
	s_mul_hi_u32 s18, s28, s34
	s_mul_i32 s23, s29, s34
	s_wait_alu 0xfffe
	s_add_nc_u64 s[36:37], s[18:19], s[36:37]
	s_mul_hi_u32 s2, s29, s34
	s_mul_hi_u32 s25, s29, s35
	s_wait_alu 0xfffe
	s_add_co_u32 s18, s36, s23
	s_add_co_ci_u32 s18, s37, s2
	s_mul_i32 s34, s29, s35
	s_add_co_ci_u32 s35, s25, 0
	s_wait_alu 0xfffe
	s_add_nc_u64 s[34:35], s[18:19], s[34:35]
	s_wait_alu 0xfffe
	s_add_co_u32 s28, s28, s34
	s_cselect_b32 s2, -1, 0
	s_wait_alu 0xfffe
	s_cmp_lg_u32 s2, 0
	s_add_co_ci_u32 s29, s29, s35
	s_wait_alu 0xfffe
	s_mul_u64 s[30:31], s[30:31], s[28:29]
	s_wait_alu 0xfffe
	s_mul_hi_u32 s35, s28, s31
	s_mul_i32 s34, s28, s31
	s_mul_hi_u32 s18, s28, s30
	s_mul_i32 s23, s29, s30
	s_wait_alu 0xfffe
	s_add_nc_u64 s[34:35], s[18:19], s[34:35]
	s_mul_hi_u32 s2, s29, s30
	s_mul_hi_u32 s25, s29, s31
	s_wait_alu 0xfffe
	s_add_co_u32 s18, s34, s23
	s_add_co_ci_u32 s18, s35, s2
	s_mul_i32 s30, s29, s31
	s_add_co_ci_u32 s31, s25, 0
	s_wait_alu 0xfffe
	s_add_nc_u64 s[30:31], s[18:19], s[30:31]
	s_wait_alu 0xfffe
	s_add_co_u32 s2, s28, s30
	s_cselect_b32 s18, -1, 0
	s_wait_alu 0xfffe
	v_mul_hi_u32 v13, v11, s2
	s_cmp_lg_u32 s18, 0
	v_mad_co_u64_u32 v[7:8], null, v12, s2, 0
	s_add_co_ci_u32 s18, s29, s31
	s_wait_alu 0xfffe
	v_mad_co_u64_u32 v[5:6], null, v11, s18, 0
	v_mad_co_u64_u32 v[9:10], null, v12, s18, 0
	s_delay_alu instid0(VALU_DEP_2) | instskip(SKIP_1) | instid1(VALU_DEP_3)
	v_add_co_u32 v5, vcc_lo, v13, v5
	s_wait_alu 0xfffd
	v_add_co_ci_u32_e64 v6, null, 0, v6, vcc_lo
	s_delay_alu instid0(VALU_DEP_2) | instskip(SKIP_1) | instid1(VALU_DEP_2)
	v_add_co_u32 v5, vcc_lo, v5, v7
	s_wait_alu 0xfffd
	v_add_co_ci_u32_e32 v5, vcc_lo, v6, v8, vcc_lo
	s_wait_alu 0xfffd
	v_add_co_ci_u32_e32 v6, vcc_lo, 0, v10, vcc_lo
	s_delay_alu instid0(VALU_DEP_2) | instskip(SKIP_1) | instid1(VALU_DEP_2)
	v_add_co_u32 v7, vcc_lo, v5, v9
	s_wait_alu 0xfffd
	v_add_co_ci_u32_e64 v8, null, 0, v6, vcc_lo
	s_delay_alu instid0(VALU_DEP_2) | instskip(SKIP_1) | instid1(VALU_DEP_3)
	v_mul_lo_u32 v9, s27, v7
	v_mad_co_u64_u32 v[5:6], null, s26, v7, 0
	v_mul_lo_u32 v10, s26, v8
	s_delay_alu instid0(VALU_DEP_2) | instskip(NEXT) | instid1(VALU_DEP_2)
	v_sub_co_u32 v5, vcc_lo, v11, v5
	v_add3_u32 v6, v6, v10, v9
	v_add_co_u32 v10, s2, v7, 2
	s_wait_alu 0xf1ff
	v_add_co_ci_u32_e64 v11, null, 0, v8, s2
	s_delay_alu instid0(VALU_DEP_3) | instskip(SKIP_3) | instid1(VALU_DEP_3)
	v_sub_nc_u32_e32 v9, v12, v6
	v_sub_co_u32 v13, s2, v5, s26
	s_wait_alu 0xfffd
	v_sub_co_ci_u32_e64 v6, null, v12, v6, vcc_lo
	v_subrev_co_ci_u32_e64 v9, null, s27, v9, vcc_lo
	s_delay_alu instid0(VALU_DEP_3) | instskip(SKIP_1) | instid1(VALU_DEP_2)
	v_cmp_le_u32_e32 vcc_lo, s26, v13
	s_wait_alu 0xf1ff
	v_subrev_co_ci_u32_e64 v9, null, 0, v9, s2
	s_wait_alu 0xfffd
	v_cndmask_b32_e64 v12, 0, -1, vcc_lo
	s_delay_alu instid0(VALU_DEP_2)
	v_cmp_le_u32_e32 vcc_lo, s27, v9
	s_wait_alu 0xfffd
	v_cndmask_b32_e64 v13, 0, -1, vcc_lo
	v_cmp_le_u32_e32 vcc_lo, s26, v5
	s_wait_alu 0xfffd
	v_cndmask_b32_e64 v5, 0, -1, vcc_lo
	;; [unrolled: 3-line block ×3, first 2 shown]
	v_cmp_eq_u32_e32 vcc_lo, s27, v9
	s_wait_alu 0xfffd
	v_cndmask_b32_e32 v9, v13, v12, vcc_lo
	v_add_co_u32 v12, vcc_lo, v7, 1
	s_wait_alu 0xfffd
	v_add_co_ci_u32_e64 v13, null, 0, v8, vcc_lo
	v_cmp_eq_u32_e32 vcc_lo, s27, v6
	s_wait_alu 0xfffd
	v_cndmask_b32_e32 v5, v14, v5, vcc_lo
	v_cmp_ne_u32_e32 vcc_lo, 0, v9
	s_wait_alu 0xfffd
	v_cndmask_b32_e32 v6, v13, v11, vcc_lo
	s_delay_alu instid0(VALU_DEP_3) | instskip(SKIP_2) | instid1(VALU_DEP_2)
	v_cmp_ne_u32_e64 s2, 0, v5
	v_cndmask_b32_e32 v5, v12, v10, vcc_lo
	s_wait_alu 0xf1ff
	v_cndmask_b32_e64 v6, v8, v6, s2
	s_delay_alu instid0(VALU_DEP_2) | instskip(NEXT) | instid1(VALU_DEP_2)
	v_cndmask_b32_e64 v5, v7, v5, s2
	v_xor_b32_e32 v6, v6, v3
	s_delay_alu instid0(VALU_DEP_2) | instskip(NEXT) | instid1(VALU_DEP_1)
	v_xor_b32_e32 v5, v5, v3
	v_sub_co_u32 v7, vcc_lo, v5, v3
	s_wait_alu 0xfffd
	s_delay_alu instid0(VALU_DEP_3)
	v_sub_co_ci_u32_e64 v8, null, v6, v3, vcc_lo
.LBB36_9:                               ;   in Loop: Header=BB36_3 Depth=1
	s_wait_alu 0xfffe
	s_and_not1_saveexec_b32 s2, s3
	s_cbranch_execz .LBB36_11
; %bb.10:                               ;   in Loop: Header=BB36_3 Depth=1
	s_sub_co_i32 s3, 0, s14
	v_mov_b32_e32 v8, v2
	s_wait_alu 0xfffe
	v_mul_lo_u32 v3, s3, v25
	s_delay_alu instid0(VALU_DEP_1) | instskip(NEXT) | instid1(VALU_DEP_1)
	v_mul_hi_u32 v3, v25, v3
	v_add_nc_u32_e32 v3, v25, v3
	s_delay_alu instid0(VALU_DEP_1) | instskip(NEXT) | instid1(VALU_DEP_1)
	v_mul_hi_u32 v3, v4, v3
	v_mul_lo_u32 v5, v3, s14
	v_add_nc_u32_e32 v6, 1, v3
	s_delay_alu instid0(VALU_DEP_2) | instskip(NEXT) | instid1(VALU_DEP_1)
	v_sub_nc_u32_e32 v5, v4, v5
	v_subrev_nc_u32_e32 v7, s14, v5
	v_cmp_le_u32_e32 vcc_lo, s14, v5
	s_wait_alu 0xfffd
	s_delay_alu instid0(VALU_DEP_2) | instskip(SKIP_1) | instid1(VALU_DEP_2)
	v_cndmask_b32_e32 v5, v5, v7, vcc_lo
	v_cndmask_b32_e32 v3, v3, v6, vcc_lo
	v_cmp_le_u32_e32 vcc_lo, s14, v5
	s_delay_alu instid0(VALU_DEP_2) | instskip(SKIP_1) | instid1(VALU_DEP_1)
	v_add_nc_u32_e32 v6, 1, v3
	s_wait_alu 0xfffd
	v_cndmask_b32_e32 v7, v3, v6, vcc_lo
.LBB36_11:                              ;   in Loop: Header=BB36_3 Depth=1
	s_wait_alu 0xfffe
	s_or_b32 exec_lo, exec_lo, s2
	v_mad_co_u64_u32 v[5:6], null, v4, s8, 0
	s_delay_alu instid0(VALU_DEP_2) | instskip(SKIP_3) | instid1(VALU_DEP_1)
	v_mad_co_u64_u32 v[9:10], null, v7, s14, 0
	s_mov_b32 s23, exec_lo
	v_sub_co_u32 v28, null, v0, v5
	v_sub_co_u32 v27, null, v4, v9
	v_sub_nc_u32_e32 v6, v28, v27
	s_delay_alu instid0(VALU_DEP_1) | instskip(NEXT) | instid1(VALU_DEP_1)
	v_add_nc_u32_e32 v3, 2, v6
	v_ashrrev_i32_e32 v4, 31, v3
	s_delay_alu instid0(VALU_DEP_1)
	v_cmpx_lt_i64_e64 s[4:5], v[3:4]
	s_cbranch_execz .LBB36_2
; %bb.12:                               ;   in Loop: Header=BB36_3 Depth=1
	s_load_b64 s[2:3], s[20:21], 0x64
	s_and_not1_b32 vcc_lo, exec_lo, s56
	s_wait_kmcnt 0x0
	v_mul_lo_u32 v3, s3, v28
	s_delay_alu instid0(VALU_DEP_1)
	v_mad_co_u64_u32 v[4:5], null, s2, v27, v[3:4]
	s_wait_alu 0xfffe
	s_cbranch_vccnz .LBB36_56
; %bb.13:                               ;   in Loop: Header=BB36_3 Depth=1
	s_mov_b32 s25, s52
	s_and_not1_b32 vcc_lo, exec_lo, s54
	s_mov_b32 s18, s33
	s_mov_b32 s2, s33
	s_wait_alu 0xfffe
	s_cbranch_vccz .LBB36_16
; %bb.14:                               ;   in Loop: Header=BB36_3 Depth=1
	s_and_not1_b32 vcc_lo, exec_lo, s55
	s_wait_alu 0xfffe
	s_cbranch_vccz .LBB36_21
	s_branch .LBB36_56
.LBB36_15:                              ;   in Loop: Header=BB36_16 Depth=2
	s_wait_alu 0xfffe
	s_or_b32 exec_lo, exec_lo, s2
	s_add_nc_u64 s[26:27], s[0:1], s[26:27]
	v_mul_lo_u32 v3, v9, s28
	s_load_b32 s2, s[26:27], 0x6c
	s_add_co_i32 s25, s25, -1
	s_add_co_i32 s18, s18, -1
	s_wait_alu 0xfffe
	s_cmp_lg_u32 s25, 0
	s_delay_alu instid0(VALU_DEP_1) | instskip(SKIP_2) | instid1(VALU_DEP_2)
	v_sub_nc_u32_e32 v3, v7, v3
	v_dual_mov_b32 v7, v9 :: v_dual_mov_b32 v8, v10
	s_wait_kmcnt 0x0
	v_mad_co_u64_u32 v[4:5], null, s2, v3, v[4:5]
	s_cbranch_scc0 .LBB36_20
.LBB36_16:                              ;   Parent Loop BB36_3 Depth=1
                                        ; =>  This Inner Loop Header: Depth=2
	s_lshl_b64 s[26:27], s[18:19], 2
                                        ; implicit-def: $vgpr9_vgpr10
	s_mov_b32 s2, exec_lo
	s_wait_alu 0xfffe
	s_add_nc_u64 s[28:29], s[10:11], s[26:27]
	s_load_b32 s28, s[28:29], 0x8
	s_wait_kmcnt 0x0
	s_ashr_i32 s29, s28, 31
	s_wait_alu 0xfffe
	v_or_b32_e32 v3, s29, v8
	s_delay_alu instid0(VALU_DEP_1)
	v_cmpx_ne_u64_e32 0, v[2:3]
	s_xor_b32 s36, exec_lo, s2
	s_cbranch_execz .LBB36_18
; %bb.17:                               ;   in Loop: Header=BB36_16 Depth=2
	s_ashr_i32 s30, s29, 31
	s_mov_b32 s43, s19
	s_wait_alu 0xfffe
	s_mov_b32 s31, s30
	s_mov_b32 s47, s19
	s_wait_alu 0xfffe
	s_add_nc_u64 s[34:35], s[28:29], s[30:31]
	v_ashrrev_i32_e32 v3, 31, v8
	s_wait_alu 0xfffe
	s_xor_b64 s[34:35], s[34:35], s[30:31]
	s_wait_alu 0xfffe
	s_cvt_f32_u32 s2, s34
	s_cvt_f32_u32 s29, s35
	s_sub_nc_u64 s[40:41], 0, s[34:35]
	v_add_co_u32 v5, vcc_lo, v7, v3
	s_wait_alu 0xfffe
	s_fmamk_f32 s2, s29, 0x4f800000, s2
	s_wait_alu 0xfffd
	v_add_co_ci_u32_e64 v8, null, v8, v3, vcc_lo
	v_xor_b32_e32 v5, v5, v3
	s_wait_alu 0xfffe
	v_s_rcp_f32 s2, s2
	s_delay_alu instid0(VALU_DEP_2) | instskip(SKIP_1) | instid1(TRANS32_DEP_1)
	v_xor_b32_e32 v14, v8, v3
	v_xor_b32_e32 v3, s30, v3
	s_mul_f32 s2, s2, 0x5f7ffffc
	s_wait_alu 0xfffe
	s_delay_alu instid0(SALU_CYCLE_2) | instskip(SKIP_1) | instid1(SALU_CYCLE_2)
	s_mul_f32 s29, s2, 0x2f800000
	s_wait_alu 0xfffe
	s_trunc_f32 s29, s29
	s_wait_alu 0xfffe
	s_delay_alu instid0(SALU_CYCLE_2) | instskip(SKIP_2) | instid1(SALU_CYCLE_1)
	s_fmamk_f32 s2, s29, 0xcf800000, s2
	s_cvt_u32_f32 s39, s29
	s_wait_alu 0xfffe
	s_cvt_u32_f32 s38, s2
	s_wait_alu 0xfffe
	s_delay_alu instid0(SALU_CYCLE_2)
	s_mul_u64 s[44:45], s[40:41], s[38:39]
	s_wait_alu 0xfffe
	s_mul_hi_u32 s49, s38, s45
	s_mul_i32 s48, s38, s45
	s_mul_hi_u32 s42, s38, s44
	s_mul_i32 s29, s39, s44
	s_wait_alu 0xfffe
	s_add_nc_u64 s[42:43], s[42:43], s[48:49]
	s_mul_hi_u32 s2, s39, s44
	s_mul_hi_u32 s31, s39, s45
	s_wait_alu 0xfffe
	s_add_co_u32 s29, s42, s29
	s_add_co_ci_u32 s46, s43, s2
	s_mul_i32 s44, s39, s45
	s_add_co_ci_u32 s45, s31, 0
	s_wait_alu 0xfffe
	s_add_nc_u64 s[42:43], s[46:47], s[44:45]
	s_mov_b32 s45, s19
	s_wait_alu 0xfffe
	s_add_co_u32 s38, s38, s42
	s_cselect_b32 s2, -1, 0
	s_wait_alu 0xfffe
	s_cmp_lg_u32 s2, 0
	s_add_co_ci_u32 s39, s39, s43
	s_mov_b32 s43, s19
	s_wait_alu 0xfffe
	s_mul_u64 s[40:41], s[40:41], s[38:39]
	s_wait_alu 0xfffe
	s_mul_hi_u32 s47, s38, s41
	s_mul_i32 s46, s38, s41
	s_mul_hi_u32 s44, s38, s40
	s_mul_i32 s29, s39, s40
	s_wait_alu 0xfffe
	s_add_nc_u64 s[44:45], s[44:45], s[46:47]
	s_mul_hi_u32 s2, s39, s40
	s_mul_hi_u32 s31, s39, s41
	s_wait_alu 0xfffe
	s_add_co_u32 s29, s44, s29
	s_add_co_ci_u32 s42, s45, s2
	s_mul_i32 s40, s39, s41
	s_add_co_ci_u32 s41, s31, 0
	s_wait_alu 0xfffe
	s_add_nc_u64 s[40:41], s[42:43], s[40:41]
	s_wait_alu 0xfffe
	s_add_co_u32 s2, s38, s40
	s_cselect_b32 s29, -1, 0
	s_wait_alu 0xfffe
	v_mul_hi_u32 v15, v5, s2
	s_cmp_lg_u32 s29, 0
	v_mad_co_u64_u32 v[10:11], null, v14, s2, 0
	s_add_co_ci_u32 s29, s39, s41
	s_wait_alu 0xfffe
	v_mad_co_u64_u32 v[8:9], null, v5, s29, 0
	v_mad_co_u64_u32 v[12:13], null, v14, s29, 0
	s_delay_alu instid0(VALU_DEP_2) | instskip(SKIP_1) | instid1(VALU_DEP_3)
	v_add_co_u32 v8, vcc_lo, v15, v8
	s_wait_alu 0xfffd
	v_add_co_ci_u32_e64 v9, null, 0, v9, vcc_lo
	s_delay_alu instid0(VALU_DEP_2) | instskip(SKIP_1) | instid1(VALU_DEP_2)
	v_add_co_u32 v8, vcc_lo, v8, v10
	s_wait_alu 0xfffd
	v_add_co_ci_u32_e32 v8, vcc_lo, v9, v11, vcc_lo
	s_wait_alu 0xfffd
	v_add_co_ci_u32_e32 v9, vcc_lo, 0, v13, vcc_lo
	s_delay_alu instid0(VALU_DEP_2) | instskip(SKIP_1) | instid1(VALU_DEP_2)
	v_add_co_u32 v10, vcc_lo, v8, v12
	s_wait_alu 0xfffd
	v_add_co_ci_u32_e64 v11, null, 0, v9, vcc_lo
	s_delay_alu instid0(VALU_DEP_2) | instskip(SKIP_1) | instid1(VALU_DEP_3)
	v_mul_lo_u32 v12, s35, v10
	v_mad_co_u64_u32 v[8:9], null, s34, v10, 0
	v_mul_lo_u32 v13, s34, v11
	s_delay_alu instid0(VALU_DEP_2) | instskip(NEXT) | instid1(VALU_DEP_2)
	v_sub_co_u32 v5, vcc_lo, v5, v8
	v_add3_u32 v9, v9, v13, v12
	s_delay_alu instid0(VALU_DEP_1) | instskip(SKIP_2) | instid1(VALU_DEP_2)
	v_sub_nc_u32_e32 v12, v14, v9
	s_wait_alu 0xfffd
	v_sub_co_ci_u32_e64 v9, null, v14, v9, vcc_lo
	v_subrev_co_ci_u32_e64 v8, null, s35, v12, vcc_lo
	v_add_co_u32 v12, s2, v10, 2
	s_wait_alu 0xf1ff
	v_add_co_ci_u32_e64 v13, null, 0, v11, s2
	v_sub_co_u32 v15, s2, v5, s34
	s_wait_alu 0xf1ff
	v_subrev_co_ci_u32_e64 v8, null, 0, v8, s2
	s_delay_alu instid0(VALU_DEP_2) | instskip(SKIP_2) | instid1(VALU_DEP_3)
	v_cmp_le_u32_e32 vcc_lo, s34, v15
	s_wait_alu 0xfffd
	v_cndmask_b32_e64 v14, 0, -1, vcc_lo
	v_cmp_le_u32_e32 vcc_lo, s35, v8
	s_wait_alu 0xfffd
	v_cndmask_b32_e64 v15, 0, -1, vcc_lo
	;; [unrolled: 3-line block ×4, first 2 shown]
	v_cmp_eq_u32_e32 vcc_lo, s35, v8
	s_wait_alu 0xfffd
	v_cndmask_b32_e32 v8, v15, v14, vcc_lo
	v_add_co_u32 v14, vcc_lo, v10, 1
	s_wait_alu 0xfffd
	v_add_co_ci_u32_e64 v15, null, 0, v11, vcc_lo
	v_cmp_eq_u32_e32 vcc_lo, s35, v9
	s_wait_alu 0xfffd
	v_cndmask_b32_e32 v5, v16, v5, vcc_lo
	v_cmp_ne_u32_e32 vcc_lo, 0, v8
	s_delay_alu instid0(VALU_DEP_2) | instskip(SKIP_3) | instid1(VALU_DEP_1)
	v_cmp_ne_u32_e64 s2, 0, v5
	s_wait_alu 0xfffd
	v_dual_cndmask_b32 v8, v15, v13 :: v_dual_cndmask_b32 v5, v14, v12
	s_wait_alu 0xf1ff
	v_cndmask_b32_e64 v8, v11, v8, s2
	s_delay_alu instid0(VALU_DEP_2) | instskip(NEXT) | instid1(VALU_DEP_2)
	v_cndmask_b32_e64 v5, v10, v5, s2
	v_xor_b32_e32 v8, v8, v3
	s_delay_alu instid0(VALU_DEP_2) | instskip(NEXT) | instid1(VALU_DEP_1)
	v_xor_b32_e32 v5, v5, v3
	v_sub_co_u32 v9, vcc_lo, v5, v3
	s_wait_alu 0xfffd
	s_delay_alu instid0(VALU_DEP_3)
	v_sub_co_ci_u32_e64 v10, null, v8, v3, vcc_lo
.LBB36_18:                              ;   in Loop: Header=BB36_16 Depth=2
	s_wait_alu 0xfffe
	s_and_not1_saveexec_b32 s2, s36
	s_cbranch_execz .LBB36_15
; %bb.19:                               ;   in Loop: Header=BB36_16 Depth=2
	v_cvt_f32_u32_e32 v3, s28
	s_sub_co_i32 s29, 0, s28
	v_mov_b32_e32 v10, v2
	s_delay_alu instid0(VALU_DEP_2) | instskip(NEXT) | instid1(TRANS32_DEP_1)
	v_rcp_iflag_f32_e32 v3, v3
	v_mul_f32_e32 v3, 0x4f7ffffe, v3
	s_delay_alu instid0(VALU_DEP_1) | instskip(SKIP_1) | instid1(VALU_DEP_1)
	v_cvt_u32_f32_e32 v3, v3
	s_wait_alu 0xfffe
	v_mul_lo_u32 v5, s29, v3
	s_delay_alu instid0(VALU_DEP_1) | instskip(NEXT) | instid1(VALU_DEP_1)
	v_mul_hi_u32 v5, v3, v5
	v_add_nc_u32_e32 v3, v3, v5
	s_delay_alu instid0(VALU_DEP_1) | instskip(NEXT) | instid1(VALU_DEP_1)
	v_mul_hi_u32 v3, v7, v3
	v_mul_lo_u32 v5, v3, s28
	s_delay_alu instid0(VALU_DEP_1) | instskip(NEXT) | instid1(VALU_DEP_1)
	v_sub_nc_u32_e32 v5, v7, v5
	v_subrev_nc_u32_e32 v9, s28, v5
	v_cmp_le_u32_e32 vcc_lo, s28, v5
	s_wait_alu 0xfffd
	s_delay_alu instid0(VALU_DEP_2) | instskip(NEXT) | instid1(VALU_DEP_1)
	v_dual_cndmask_b32 v5, v5, v9 :: v_dual_add_nc_u32 v8, 1, v3
	v_cndmask_b32_e32 v3, v3, v8, vcc_lo
	s_delay_alu instid0(VALU_DEP_2) | instskip(NEXT) | instid1(VALU_DEP_2)
	v_cmp_le_u32_e32 vcc_lo, s28, v5
	v_add_nc_u32_e32 v8, 1, v3
	s_wait_alu 0xfffd
	s_delay_alu instid0(VALU_DEP_1)
	v_cndmask_b32_e32 v9, v3, v8, vcc_lo
	s_branch .LBB36_15
.LBB36_20:                              ;   in Loop: Header=BB36_3 Depth=1
	s_mov_b32 s2, s18
	s_and_not1_b32 vcc_lo, exec_lo, s55
	s_wait_alu 0xfffe
	s_cbranch_vccnz .LBB36_56
.LBB36_21:                              ;   in Loop: Header=BB36_3 Depth=1
	s_add_co_i32 s26, s2, -7
.LBB36_22:                              ;   Parent Loop BB36_3 Depth=1
                                        ; =>  This Inner Loop Header: Depth=2
	s_wait_alu 0xfffe
	s_add_co_i32 s18, s26, 7
                                        ; implicit-def: $vgpr9_vgpr10
	s_mov_b32 s2, exec_lo
	s_wait_alu 0xfffe
	s_lshl_b64 s[34:35], s[18:19], 2
	s_wait_alu 0xfffe
	s_add_nc_u64 s[28:29], s[10:11], s[34:35]
	s_load_b32 s28, s[28:29], 0x8
	s_wait_kmcnt 0x0
	s_ashr_i32 s29, s28, 31
	s_wait_alu 0xfffe
	v_or_b32_e32 v3, s29, v8
	s_delay_alu instid0(VALU_DEP_1)
	v_cmpx_ne_u64_e32 0, v[2:3]
	s_xor_b32 s25, exec_lo, s2
	s_cbranch_execz .LBB36_24
; %bb.23:                               ;   in Loop: Header=BB36_22 Depth=2
	s_ashr_i32 s30, s29, 31
	v_ashrrev_i32_e32 v3, 31, v8
	s_wait_alu 0xfffe
	s_mov_b32 s31, s30
	s_wait_alu 0xfffe
	s_add_nc_u64 s[36:37], s[28:29], s[30:31]
	v_add_co_u32 v5, vcc_lo, v7, v3
	s_wait_alu 0xfffe
	s_xor_b64 s[36:37], s[36:37], s[30:31]
	s_wait_alu 0xfffd
	v_add_co_ci_u32_e64 v8, null, v8, v3, vcc_lo
	s_wait_alu 0xfffe
	s_cvt_f32_u32 s2, s36
	s_cvt_f32_u32 s18, s37
	s_sub_nc_u64 s[40:41], 0, s[36:37]
	v_xor_b32_e32 v5, v5, v3
	v_xor_b32_e32 v14, v8, v3
	s_wait_alu 0xfffe
	s_fmamk_f32 s2, s18, 0x4f800000, s2
	v_xor_b32_e32 v3, s30, v3
	s_wait_alu 0xfffe
	s_delay_alu instid0(SALU_CYCLE_1) | instskip(NEXT) | instid1(TRANS32_DEP_1)
	v_s_rcp_f32 s2, s2
	s_mul_f32 s2, s2, 0x5f7ffffc
	s_wait_alu 0xfffe
	s_delay_alu instid0(SALU_CYCLE_2) | instskip(SKIP_1) | instid1(SALU_CYCLE_2)
	s_mul_f32 s18, s2, 0x2f800000
	s_wait_alu 0xfffe
	s_trunc_f32 s18, s18
	s_wait_alu 0xfffe
	s_delay_alu instid0(SALU_CYCLE_2) | instskip(SKIP_2) | instid1(SALU_CYCLE_1)
	s_fmamk_f32 s2, s18, 0xcf800000, s2
	s_cvt_u32_f32 s39, s18
	s_wait_alu 0xfffe
	s_cvt_u32_f32 s38, s2
	s_wait_alu 0xfffe
	s_delay_alu instid0(SALU_CYCLE_2)
	s_mul_u64 s[42:43], s[40:41], s[38:39]
	s_wait_alu 0xfffe
	s_mul_hi_u32 s45, s38, s43
	s_mul_i32 s44, s38, s43
	s_mul_hi_u32 s18, s38, s42
	s_mul_i32 s27, s39, s42
	s_wait_alu 0xfffe
	s_add_nc_u64 s[44:45], s[18:19], s[44:45]
	s_mul_hi_u32 s2, s39, s42
	s_mul_hi_u32 s29, s39, s43
	s_wait_alu 0xfffe
	s_add_co_u32 s18, s44, s27
	s_add_co_ci_u32 s18, s45, s2
	s_mul_i32 s42, s39, s43
	s_add_co_ci_u32 s43, s29, 0
	s_wait_alu 0xfffe
	s_add_nc_u64 s[42:43], s[18:19], s[42:43]
	s_wait_alu 0xfffe
	s_add_co_u32 s38, s38, s42
	s_cselect_b32 s2, -1, 0
	s_wait_alu 0xfffe
	s_cmp_lg_u32 s2, 0
	s_add_co_ci_u32 s39, s39, s43
	s_wait_alu 0xfffe
	s_mul_u64 s[40:41], s[40:41], s[38:39]
	s_wait_alu 0xfffe
	s_mul_hi_u32 s43, s38, s41
	s_mul_i32 s42, s38, s41
	s_mul_hi_u32 s18, s38, s40
	s_mul_i32 s27, s39, s40
	s_wait_alu 0xfffe
	s_add_nc_u64 s[42:43], s[18:19], s[42:43]
	s_mul_hi_u32 s2, s39, s40
	s_mul_hi_u32 s29, s39, s41
	s_wait_alu 0xfffe
	s_add_co_u32 s18, s42, s27
	s_add_co_ci_u32 s18, s43, s2
	s_mul_i32 s40, s39, s41
	s_add_co_ci_u32 s41, s29, 0
	s_wait_alu 0xfffe
	s_add_nc_u64 s[40:41], s[18:19], s[40:41]
	s_wait_alu 0xfffe
	s_add_co_u32 s2, s38, s40
	s_cselect_b32 s18, -1, 0
	s_wait_alu 0xfffe
	v_mul_hi_u32 v15, v5, s2
	s_cmp_lg_u32 s18, 0
	v_mad_co_u64_u32 v[10:11], null, v14, s2, 0
	s_add_co_ci_u32 s18, s39, s41
	s_wait_alu 0xfffe
	v_mad_co_u64_u32 v[8:9], null, v5, s18, 0
	v_mad_co_u64_u32 v[12:13], null, v14, s18, 0
	s_delay_alu instid0(VALU_DEP_2) | instskip(SKIP_1) | instid1(VALU_DEP_3)
	v_add_co_u32 v8, vcc_lo, v15, v8
	s_wait_alu 0xfffd
	v_add_co_ci_u32_e64 v9, null, 0, v9, vcc_lo
	s_delay_alu instid0(VALU_DEP_2) | instskip(SKIP_1) | instid1(VALU_DEP_2)
	v_add_co_u32 v8, vcc_lo, v8, v10
	s_wait_alu 0xfffd
	v_add_co_ci_u32_e32 v8, vcc_lo, v9, v11, vcc_lo
	s_wait_alu 0xfffd
	v_add_co_ci_u32_e32 v9, vcc_lo, 0, v13, vcc_lo
	s_delay_alu instid0(VALU_DEP_2) | instskip(SKIP_1) | instid1(VALU_DEP_2)
	v_add_co_u32 v10, vcc_lo, v8, v12
	s_wait_alu 0xfffd
	v_add_co_ci_u32_e64 v11, null, 0, v9, vcc_lo
	s_delay_alu instid0(VALU_DEP_2) | instskip(SKIP_1) | instid1(VALU_DEP_3)
	v_mul_lo_u32 v12, s37, v10
	v_mad_co_u64_u32 v[8:9], null, s36, v10, 0
	v_mul_lo_u32 v13, s36, v11
	s_delay_alu instid0(VALU_DEP_2) | instskip(NEXT) | instid1(VALU_DEP_2)
	v_sub_co_u32 v5, vcc_lo, v5, v8
	v_add3_u32 v9, v9, v13, v12
	s_delay_alu instid0(VALU_DEP_1) | instskip(SKIP_2) | instid1(VALU_DEP_2)
	v_sub_nc_u32_e32 v12, v14, v9
	s_wait_alu 0xfffd
	v_sub_co_ci_u32_e64 v9, null, v14, v9, vcc_lo
	v_subrev_co_ci_u32_e64 v8, null, s37, v12, vcc_lo
	v_add_co_u32 v12, s2, v10, 2
	s_wait_alu 0xf1ff
	v_add_co_ci_u32_e64 v13, null, 0, v11, s2
	v_sub_co_u32 v15, s2, v5, s36
	s_wait_alu 0xf1ff
	v_subrev_co_ci_u32_e64 v8, null, 0, v8, s2
	s_delay_alu instid0(VALU_DEP_2) | instskip(SKIP_2) | instid1(VALU_DEP_3)
	v_cmp_le_u32_e32 vcc_lo, s36, v15
	s_wait_alu 0xfffd
	v_cndmask_b32_e64 v14, 0, -1, vcc_lo
	v_cmp_le_u32_e32 vcc_lo, s37, v8
	s_wait_alu 0xfffd
	v_cndmask_b32_e64 v15, 0, -1, vcc_lo
	;; [unrolled: 3-line block ×4, first 2 shown]
	v_cmp_eq_u32_e32 vcc_lo, s37, v8
	s_wait_alu 0xfffd
	v_cndmask_b32_e32 v8, v15, v14, vcc_lo
	v_add_co_u32 v14, vcc_lo, v10, 1
	s_wait_alu 0xfffd
	v_add_co_ci_u32_e64 v15, null, 0, v11, vcc_lo
	v_cmp_eq_u32_e32 vcc_lo, s37, v9
	s_wait_alu 0xfffd
	v_cndmask_b32_e32 v5, v16, v5, vcc_lo
	v_cmp_ne_u32_e32 vcc_lo, 0, v8
	s_delay_alu instid0(VALU_DEP_2) | instskip(SKIP_3) | instid1(VALU_DEP_1)
	v_cmp_ne_u32_e64 s2, 0, v5
	s_wait_alu 0xfffd
	v_dual_cndmask_b32 v8, v15, v13 :: v_dual_cndmask_b32 v5, v14, v12
	s_wait_alu 0xf1ff
	v_cndmask_b32_e64 v8, v11, v8, s2
	s_delay_alu instid0(VALU_DEP_2) | instskip(NEXT) | instid1(VALU_DEP_2)
	v_cndmask_b32_e64 v5, v10, v5, s2
	v_xor_b32_e32 v8, v8, v3
	s_delay_alu instid0(VALU_DEP_2) | instskip(NEXT) | instid1(VALU_DEP_1)
	v_xor_b32_e32 v5, v5, v3
	v_sub_co_u32 v9, vcc_lo, v5, v3
	s_wait_alu 0xfffd
	s_delay_alu instid0(VALU_DEP_3)
	v_sub_co_ci_u32_e64 v10, null, v8, v3, vcc_lo
.LBB36_24:                              ;   in Loop: Header=BB36_22 Depth=2
	s_wait_alu 0xfffe
	s_and_not1_saveexec_b32 s2, s25
	s_cbranch_execz .LBB36_26
; %bb.25:                               ;   in Loop: Header=BB36_22 Depth=2
	v_cvt_f32_u32_e32 v3, s28
	s_sub_co_i32 s18, 0, s28
	v_mov_b32_e32 v10, v2
	s_delay_alu instid0(VALU_DEP_2) | instskip(NEXT) | instid1(TRANS32_DEP_1)
	v_rcp_iflag_f32_e32 v3, v3
	v_mul_f32_e32 v3, 0x4f7ffffe, v3
	s_delay_alu instid0(VALU_DEP_1) | instskip(SKIP_1) | instid1(VALU_DEP_1)
	v_cvt_u32_f32_e32 v3, v3
	s_wait_alu 0xfffe
	v_mul_lo_u32 v5, s18, v3
	s_delay_alu instid0(VALU_DEP_1) | instskip(NEXT) | instid1(VALU_DEP_1)
	v_mul_hi_u32 v5, v3, v5
	v_add_nc_u32_e32 v3, v3, v5
	s_delay_alu instid0(VALU_DEP_1) | instskip(NEXT) | instid1(VALU_DEP_1)
	v_mul_hi_u32 v3, v7, v3
	v_mul_lo_u32 v5, v3, s28
	s_delay_alu instid0(VALU_DEP_1) | instskip(NEXT) | instid1(VALU_DEP_1)
	v_sub_nc_u32_e32 v5, v7, v5
	v_subrev_nc_u32_e32 v9, s28, v5
	v_cmp_le_u32_e32 vcc_lo, s28, v5
	s_wait_alu 0xfffd
	s_delay_alu instid0(VALU_DEP_2) | instskip(NEXT) | instid1(VALU_DEP_1)
	v_dual_cndmask_b32 v5, v5, v9 :: v_dual_add_nc_u32 v8, 1, v3
	v_cndmask_b32_e32 v3, v3, v8, vcc_lo
	s_delay_alu instid0(VALU_DEP_2) | instskip(NEXT) | instid1(VALU_DEP_2)
	v_cmp_le_u32_e32 vcc_lo, s28, v5
	v_add_nc_u32_e32 v8, 1, v3
	s_wait_alu 0xfffd
	s_delay_alu instid0(VALU_DEP_1)
	v_cndmask_b32_e32 v9, v3, v8, vcc_lo
.LBB36_26:                              ;   in Loop: Header=BB36_22 Depth=2
	s_wait_alu 0xfffe
	s_or_b32 exec_lo, exec_lo, s2
	s_add_co_i32 s18, s26, 6
	s_add_nc_u64 s[34:35], s[0:1], s[34:35]
	s_wait_alu 0xfffe
	s_lshl_b64 s[36:37], s[18:19], 2
                                        ; implicit-def: $vgpr11_vgpr12
	s_mov_b32 s2, exec_lo
	s_wait_alu 0xfffe
	s_add_nc_u64 s[30:31], s[10:11], s[36:37]
	s_clause 0x1
	s_load_b32 s25, s[34:35], 0x6c
	s_load_b32 s30, s[30:31], 0x8
	s_wait_kmcnt 0x0
	s_ashr_i32 s31, s30, 31
	s_wait_alu 0xfffe
	v_or_b32_e32 v3, s31, v10
	s_delay_alu instid0(VALU_DEP_1)
	v_cmpx_ne_u64_e32 0, v[2:3]
	s_xor_b32 s27, exec_lo, s2
	s_cbranch_execz .LBB36_28
; %bb.27:                               ;   in Loop: Header=BB36_22 Depth=2
	s_ashr_i32 s34, s31, 31
	v_ashrrev_i32_e32 v3, 31, v10
	s_wait_alu 0xfffe
	s_mov_b32 s35, s34
	s_wait_alu 0xfffe
	s_add_nc_u64 s[38:39], s[30:31], s[34:35]
	v_add_co_u32 v5, vcc_lo, v9, v3
	s_wait_alu 0xfffe
	s_xor_b64 s[38:39], s[38:39], s[34:35]
	s_wait_alu 0xfffd
	v_add_co_ci_u32_e64 v8, null, v10, v3, vcc_lo
	s_wait_alu 0xfffe
	s_cvt_f32_u32 s2, s38
	s_cvt_f32_u32 s18, s39
	s_sub_nc_u64 s[42:43], 0, s[38:39]
	v_xor_b32_e32 v5, v5, v3
	v_xor_b32_e32 v8, v8, v3
	s_wait_alu 0xfffe
	s_fmamk_f32 s2, s18, 0x4f800000, s2
	v_xor_b32_e32 v3, s34, v3
	s_wait_alu 0xfffe
	s_delay_alu instid0(SALU_CYCLE_1) | instskip(NEXT) | instid1(TRANS32_DEP_1)
	v_s_rcp_f32 s2, s2
	s_mul_f32 s2, s2, 0x5f7ffffc
	s_wait_alu 0xfffe
	s_delay_alu instid0(SALU_CYCLE_2) | instskip(SKIP_1) | instid1(SALU_CYCLE_2)
	s_mul_f32 s18, s2, 0x2f800000
	s_wait_alu 0xfffe
	s_trunc_f32 s18, s18
	s_wait_alu 0xfffe
	s_delay_alu instid0(SALU_CYCLE_2) | instskip(SKIP_2) | instid1(SALU_CYCLE_1)
	s_fmamk_f32 s2, s18, 0xcf800000, s2
	s_cvt_u32_f32 s41, s18
	s_wait_alu 0xfffe
	s_cvt_u32_f32 s40, s2
	s_wait_alu 0xfffe
	s_delay_alu instid0(SALU_CYCLE_2)
	s_mul_u64 s[44:45], s[42:43], s[40:41]
	s_wait_alu 0xfffe
	s_mul_hi_u32 s47, s40, s45
	s_mul_i32 s46, s40, s45
	s_mul_hi_u32 s18, s40, s44
	s_mul_i32 s29, s41, s44
	s_wait_alu 0xfffe
	s_add_nc_u64 s[46:47], s[18:19], s[46:47]
	s_mul_hi_u32 s2, s41, s44
	s_mul_hi_u32 s31, s41, s45
	s_wait_alu 0xfffe
	s_add_co_u32 s18, s46, s29
	s_add_co_ci_u32 s18, s47, s2
	s_mul_i32 s44, s41, s45
	s_add_co_ci_u32 s45, s31, 0
	s_wait_alu 0xfffe
	s_add_nc_u64 s[44:45], s[18:19], s[44:45]
	s_wait_alu 0xfffe
	s_add_co_u32 s40, s40, s44
	s_cselect_b32 s2, -1, 0
	s_wait_alu 0xfffe
	s_cmp_lg_u32 s2, 0
	s_add_co_ci_u32 s41, s41, s45
	s_wait_alu 0xfffe
	s_mul_u64 s[42:43], s[42:43], s[40:41]
	s_wait_alu 0xfffe
	s_mul_hi_u32 s45, s40, s43
	s_mul_i32 s44, s40, s43
	s_mul_hi_u32 s18, s40, s42
	s_mul_i32 s29, s41, s42
	s_wait_alu 0xfffe
	s_add_nc_u64 s[44:45], s[18:19], s[44:45]
	s_mul_hi_u32 s2, s41, s42
	s_mul_hi_u32 s31, s41, s43
	s_wait_alu 0xfffe
	s_add_co_u32 s18, s44, s29
	s_add_co_ci_u32 s18, s45, s2
	s_mul_i32 s42, s41, s43
	s_add_co_ci_u32 s43, s31, 0
	s_wait_alu 0xfffe
	s_add_nc_u64 s[42:43], s[18:19], s[42:43]
	s_wait_alu 0xfffe
	s_add_co_u32 s2, s40, s42
	s_cselect_b32 s18, -1, 0
	s_wait_alu 0xfffe
	v_mul_hi_u32 v16, v5, s2
	s_cmp_lg_u32 s18, 0
	v_mad_co_u64_u32 v[12:13], null, v8, s2, 0
	s_add_co_ci_u32 s18, s41, s43
	s_wait_alu 0xfffe
	v_mad_co_u64_u32 v[10:11], null, v5, s18, 0
	v_mad_co_u64_u32 v[14:15], null, v8, s18, 0
	s_delay_alu instid0(VALU_DEP_2) | instskip(SKIP_1) | instid1(VALU_DEP_3)
	v_add_co_u32 v10, vcc_lo, v16, v10
	s_wait_alu 0xfffd
	v_add_co_ci_u32_e64 v11, null, 0, v11, vcc_lo
	s_delay_alu instid0(VALU_DEP_2) | instskip(SKIP_1) | instid1(VALU_DEP_2)
	v_add_co_u32 v10, vcc_lo, v10, v12
	s_wait_alu 0xfffd
	v_add_co_ci_u32_e32 v10, vcc_lo, v11, v13, vcc_lo
	s_wait_alu 0xfffd
	v_add_co_ci_u32_e32 v11, vcc_lo, 0, v15, vcc_lo
	s_delay_alu instid0(VALU_DEP_2) | instskip(SKIP_1) | instid1(VALU_DEP_2)
	v_add_co_u32 v12, vcc_lo, v10, v14
	s_wait_alu 0xfffd
	v_add_co_ci_u32_e64 v13, null, 0, v11, vcc_lo
	s_delay_alu instid0(VALU_DEP_2) | instskip(SKIP_1) | instid1(VALU_DEP_3)
	v_mul_lo_u32 v14, s39, v12
	v_mad_co_u64_u32 v[10:11], null, s38, v12, 0
	v_mul_lo_u32 v15, s38, v13
	s_delay_alu instid0(VALU_DEP_2) | instskip(NEXT) | instid1(VALU_DEP_2)
	v_sub_co_u32 v5, vcc_lo, v5, v10
	v_add3_u32 v11, v11, v15, v14
	s_delay_alu instid0(VALU_DEP_1) | instskip(SKIP_2) | instid1(VALU_DEP_2)
	v_sub_nc_u32_e32 v14, v8, v11
	s_wait_alu 0xfffd
	v_sub_co_ci_u32_e64 v8, null, v8, v11, vcc_lo
	v_subrev_co_ci_u32_e64 v10, null, s39, v14, vcc_lo
	v_add_co_u32 v14, s2, v12, 2
	s_wait_alu 0xf1ff
	v_add_co_ci_u32_e64 v15, null, 0, v13, s2
	v_sub_co_u32 v16, s2, v5, s38
	s_wait_alu 0xf1ff
	v_subrev_co_ci_u32_e64 v10, null, 0, v10, s2
	s_delay_alu instid0(VALU_DEP_2) | instskip(SKIP_2) | instid1(VALU_DEP_3)
	v_cmp_le_u32_e32 vcc_lo, s38, v16
	s_wait_alu 0xfffd
	v_cndmask_b32_e64 v11, 0, -1, vcc_lo
	v_cmp_le_u32_e32 vcc_lo, s39, v10
	s_wait_alu 0xfffd
	v_cndmask_b32_e64 v16, 0, -1, vcc_lo
	v_cmp_le_u32_e32 vcc_lo, s38, v5
	s_wait_alu 0xfffd
	v_cndmask_b32_e64 v5, 0, -1, vcc_lo
	v_cmp_le_u32_e32 vcc_lo, s39, v8
	s_wait_alu 0xfffd
	v_cndmask_b32_e64 v17, 0, -1, vcc_lo
	v_cmp_eq_u32_e32 vcc_lo, s39, v10
	s_wait_alu 0xfffd
	v_cndmask_b32_e32 v10, v16, v11, vcc_lo
	v_add_co_u32 v11, vcc_lo, v12, 1
	s_wait_alu 0xfffd
	v_add_co_ci_u32_e64 v16, null, 0, v13, vcc_lo
	v_cmp_eq_u32_e32 vcc_lo, s39, v8
	s_wait_alu 0xfffd
	v_cndmask_b32_e32 v5, v17, v5, vcc_lo
	v_cmp_ne_u32_e32 vcc_lo, 0, v10
	s_delay_alu instid0(VALU_DEP_2) | instskip(SKIP_3) | instid1(VALU_DEP_1)
	v_cmp_ne_u32_e64 s2, 0, v5
	s_wait_alu 0xfffd
	v_dual_cndmask_b32 v8, v16, v15 :: v_dual_cndmask_b32 v5, v11, v14
	s_wait_alu 0xf1ff
	v_cndmask_b32_e64 v8, v13, v8, s2
	s_delay_alu instid0(VALU_DEP_2) | instskip(NEXT) | instid1(VALU_DEP_2)
	v_cndmask_b32_e64 v5, v12, v5, s2
	v_xor_b32_e32 v8, v8, v3
	s_delay_alu instid0(VALU_DEP_2) | instskip(NEXT) | instid1(VALU_DEP_1)
	v_xor_b32_e32 v5, v5, v3
	v_sub_co_u32 v11, vcc_lo, v5, v3
	s_wait_alu 0xfffd
	s_delay_alu instid0(VALU_DEP_3)
	v_sub_co_ci_u32_e64 v12, null, v8, v3, vcc_lo
.LBB36_28:                              ;   in Loop: Header=BB36_22 Depth=2
	s_wait_alu 0xfffe
	s_and_not1_saveexec_b32 s2, s27
	s_cbranch_execz .LBB36_30
; %bb.29:                               ;   in Loop: Header=BB36_22 Depth=2
	v_cvt_f32_u32_e32 v3, s30
	s_sub_co_i32 s18, 0, s30
	v_mov_b32_e32 v12, v2
	s_delay_alu instid0(VALU_DEP_2) | instskip(NEXT) | instid1(TRANS32_DEP_1)
	v_rcp_iflag_f32_e32 v3, v3
	v_mul_f32_e32 v3, 0x4f7ffffe, v3
	s_delay_alu instid0(VALU_DEP_1) | instskip(SKIP_1) | instid1(VALU_DEP_1)
	v_cvt_u32_f32_e32 v3, v3
	s_wait_alu 0xfffe
	v_mul_lo_u32 v5, s18, v3
	s_delay_alu instid0(VALU_DEP_1) | instskip(NEXT) | instid1(VALU_DEP_1)
	v_mul_hi_u32 v5, v3, v5
	v_add_nc_u32_e32 v3, v3, v5
	s_delay_alu instid0(VALU_DEP_1) | instskip(NEXT) | instid1(VALU_DEP_1)
	v_mul_hi_u32 v3, v9, v3
	v_mul_lo_u32 v5, v3, s30
	s_delay_alu instid0(VALU_DEP_1) | instskip(NEXT) | instid1(VALU_DEP_1)
	v_sub_nc_u32_e32 v5, v9, v5
	v_subrev_nc_u32_e32 v10, s30, v5
	v_cmp_le_u32_e32 vcc_lo, s30, v5
	s_wait_alu 0xfffd
	s_delay_alu instid0(VALU_DEP_2) | instskip(NEXT) | instid1(VALU_DEP_1)
	v_dual_cndmask_b32 v5, v5, v10 :: v_dual_add_nc_u32 v8, 1, v3
	v_cndmask_b32_e32 v3, v3, v8, vcc_lo
	s_delay_alu instid0(VALU_DEP_2) | instskip(NEXT) | instid1(VALU_DEP_2)
	v_cmp_le_u32_e32 vcc_lo, s30, v5
	v_add_nc_u32_e32 v8, 1, v3
	s_wait_alu 0xfffd
	s_delay_alu instid0(VALU_DEP_1)
	v_cndmask_b32_e32 v11, v3, v8, vcc_lo
.LBB36_30:                              ;   in Loop: Header=BB36_22 Depth=2
	s_wait_alu 0xfffe
	s_or_b32 exec_lo, exec_lo, s2
	s_add_co_i32 s18, s26, 5
	s_add_nc_u64 s[36:37], s[0:1], s[36:37]
	s_wait_alu 0xfffe
	s_lshl_b64 s[38:39], s[18:19], 2
                                        ; implicit-def: $vgpr13_vgpr14
	s_mov_b32 s2, exec_lo
	s_wait_alu 0xfffe
	s_add_nc_u64 s[34:35], s[10:11], s[38:39]
	s_clause 0x1
	s_load_b32 s29, s[36:37], 0x6c
	s_load_b32 s34, s[34:35], 0x8
	s_wait_kmcnt 0x0
	s_ashr_i32 s35, s34, 31
	s_wait_alu 0xfffe
	v_or_b32_e32 v3, s35, v12
	s_delay_alu instid0(VALU_DEP_1)
	v_cmpx_ne_u64_e32 0, v[2:3]
	s_xor_b32 s27, exec_lo, s2
	s_cbranch_execz .LBB36_32
; %bb.31:                               ;   in Loop: Header=BB36_22 Depth=2
	s_ashr_i32 s36, s35, 31
	v_ashrrev_i32_e32 v3, 31, v12
	s_wait_alu 0xfffe
	s_mov_b32 s37, s36
	s_wait_alu 0xfffe
	s_add_nc_u64 s[40:41], s[34:35], s[36:37]
	v_add_co_u32 v5, vcc_lo, v11, v3
	s_wait_alu 0xfffe
	s_xor_b64 s[40:41], s[40:41], s[36:37]
	s_wait_alu 0xfffd
	v_add_co_ci_u32_e64 v8, null, v12, v3, vcc_lo
	s_wait_alu 0xfffe
	s_cvt_f32_u32 s2, s40
	s_cvt_f32_u32 s18, s41
	s_sub_nc_u64 s[44:45], 0, s[40:41]
	v_xor_b32_e32 v5, v5, v3
	v_xor_b32_e32 v8, v8, v3
	s_wait_alu 0xfffe
	s_fmamk_f32 s2, s18, 0x4f800000, s2
	v_xor_b32_e32 v3, s36, v3
	s_wait_alu 0xfffe
	s_delay_alu instid0(SALU_CYCLE_1) | instskip(NEXT) | instid1(TRANS32_DEP_1)
	v_s_rcp_f32 s2, s2
	s_mul_f32 s2, s2, 0x5f7ffffc
	s_wait_alu 0xfffe
	s_delay_alu instid0(SALU_CYCLE_2) | instskip(SKIP_1) | instid1(SALU_CYCLE_2)
	s_mul_f32 s18, s2, 0x2f800000
	s_wait_alu 0xfffe
	s_trunc_f32 s18, s18
	s_wait_alu 0xfffe
	s_delay_alu instid0(SALU_CYCLE_2) | instskip(SKIP_2) | instid1(SALU_CYCLE_1)
	s_fmamk_f32 s2, s18, 0xcf800000, s2
	s_cvt_u32_f32 s43, s18
	s_wait_alu 0xfffe
	s_cvt_u32_f32 s42, s2
	s_wait_alu 0xfffe
	s_delay_alu instid0(SALU_CYCLE_2)
	s_mul_u64 s[46:47], s[44:45], s[42:43]
	s_wait_alu 0xfffe
	s_mul_hi_u32 s49, s42, s47
	s_mul_i32 s48, s42, s47
	s_mul_hi_u32 s18, s42, s46
	s_mul_i32 s31, s43, s46
	s_wait_alu 0xfffe
	s_add_nc_u64 s[48:49], s[18:19], s[48:49]
	s_mul_hi_u32 s2, s43, s46
	s_mul_hi_u32 s35, s43, s47
	s_wait_alu 0xfffe
	s_add_co_u32 s18, s48, s31
	s_add_co_ci_u32 s18, s49, s2
	s_mul_i32 s46, s43, s47
	s_add_co_ci_u32 s47, s35, 0
	s_wait_alu 0xfffe
	s_add_nc_u64 s[46:47], s[18:19], s[46:47]
	s_wait_alu 0xfffe
	s_add_co_u32 s42, s42, s46
	s_cselect_b32 s2, -1, 0
	s_wait_alu 0xfffe
	s_cmp_lg_u32 s2, 0
	s_add_co_ci_u32 s43, s43, s47
	s_wait_alu 0xfffe
	s_mul_u64 s[44:45], s[44:45], s[42:43]
	s_wait_alu 0xfffe
	s_mul_hi_u32 s47, s42, s45
	s_mul_i32 s46, s42, s45
	s_mul_hi_u32 s18, s42, s44
	s_mul_i32 s31, s43, s44
	s_wait_alu 0xfffe
	s_add_nc_u64 s[46:47], s[18:19], s[46:47]
	s_mul_hi_u32 s2, s43, s44
	s_mul_hi_u32 s35, s43, s45
	s_wait_alu 0xfffe
	s_add_co_u32 s18, s46, s31
	s_add_co_ci_u32 s18, s47, s2
	s_mul_i32 s44, s43, s45
	s_add_co_ci_u32 s45, s35, 0
	s_wait_alu 0xfffe
	s_add_nc_u64 s[44:45], s[18:19], s[44:45]
	s_wait_alu 0xfffe
	s_add_co_u32 s2, s42, s44
	s_cselect_b32 s18, -1, 0
	s_wait_alu 0xfffe
	v_mul_hi_u32 v10, v5, s2
	s_cmp_lg_u32 s18, 0
	v_mad_co_u64_u32 v[14:15], null, v8, s2, 0
	s_add_co_ci_u32 s18, s43, s45
	s_wait_alu 0xfffe
	v_mad_co_u64_u32 v[12:13], null, v5, s18, 0
	v_mad_co_u64_u32 v[16:17], null, v8, s18, 0
	s_delay_alu instid0(VALU_DEP_2) | instskip(SKIP_1) | instid1(VALU_DEP_3)
	v_add_co_u32 v10, vcc_lo, v10, v12
	s_wait_alu 0xfffd
	v_add_co_ci_u32_e64 v12, null, 0, v13, vcc_lo
	s_delay_alu instid0(VALU_DEP_2) | instskip(SKIP_1) | instid1(VALU_DEP_2)
	v_add_co_u32 v10, vcc_lo, v10, v14
	s_wait_alu 0xfffd
	v_add_co_ci_u32_e32 v10, vcc_lo, v12, v15, vcc_lo
	s_wait_alu 0xfffd
	v_add_co_ci_u32_e32 v12, vcc_lo, 0, v17, vcc_lo
	s_delay_alu instid0(VALU_DEP_2) | instskip(SKIP_1) | instid1(VALU_DEP_2)
	v_add_co_u32 v10, vcc_lo, v10, v16
	s_wait_alu 0xfffd
	v_add_co_ci_u32_e64 v14, null, 0, v12, vcc_lo
	s_delay_alu instid0(VALU_DEP_2) | instskip(SKIP_1) | instid1(VALU_DEP_3)
	v_mul_lo_u32 v15, s41, v10
	v_mad_co_u64_u32 v[12:13], null, s40, v10, 0
	v_mul_lo_u32 v16, s40, v14
	s_delay_alu instid0(VALU_DEP_2) | instskip(NEXT) | instid1(VALU_DEP_2)
	v_sub_co_u32 v5, vcc_lo, v5, v12
	v_add3_u32 v13, v13, v16, v15
	s_delay_alu instid0(VALU_DEP_1) | instskip(SKIP_2) | instid1(VALU_DEP_2)
	v_sub_nc_u32_e32 v15, v8, v13
	s_wait_alu 0xfffd
	v_sub_co_ci_u32_e64 v8, null, v8, v13, vcc_lo
	v_subrev_co_ci_u32_e64 v12, null, s41, v15, vcc_lo
	v_add_co_u32 v15, s2, v10, 2
	s_wait_alu 0xf1ff
	v_add_co_ci_u32_e64 v16, null, 0, v14, s2
	v_sub_co_u32 v17, s2, v5, s40
	s_wait_alu 0xf1ff
	v_subrev_co_ci_u32_e64 v12, null, 0, v12, s2
	s_delay_alu instid0(VALU_DEP_2) | instskip(SKIP_2) | instid1(VALU_DEP_3)
	v_cmp_le_u32_e32 vcc_lo, s40, v17
	s_wait_alu 0xfffd
	v_cndmask_b32_e64 v13, 0, -1, vcc_lo
	v_cmp_le_u32_e32 vcc_lo, s41, v12
	s_wait_alu 0xfffd
	v_cndmask_b32_e64 v17, 0, -1, vcc_lo
	;; [unrolled: 3-line block ×4, first 2 shown]
	v_cmp_eq_u32_e32 vcc_lo, s41, v12
	s_wait_alu 0xfffd
	v_cndmask_b32_e32 v12, v17, v13, vcc_lo
	v_add_co_u32 v13, vcc_lo, v10, 1
	s_wait_alu 0xfffd
	v_add_co_ci_u32_e64 v17, null, 0, v14, vcc_lo
	v_cmp_eq_u32_e32 vcc_lo, s41, v8
	s_wait_alu 0xfffd
	v_cndmask_b32_e32 v5, v18, v5, vcc_lo
	v_cmp_ne_u32_e32 vcc_lo, 0, v12
	s_wait_alu 0xfffd
	v_cndmask_b32_e32 v8, v17, v16, vcc_lo
	s_delay_alu instid0(VALU_DEP_3) | instskip(SKIP_2) | instid1(VALU_DEP_2)
	v_cmp_ne_u32_e64 s2, 0, v5
	v_cndmask_b32_e32 v5, v13, v15, vcc_lo
	s_wait_alu 0xf1ff
	v_cndmask_b32_e64 v8, v14, v8, s2
	s_delay_alu instid0(VALU_DEP_2) | instskip(NEXT) | instid1(VALU_DEP_2)
	v_cndmask_b32_e64 v5, v10, v5, s2
	v_xor_b32_e32 v8, v8, v3
	s_delay_alu instid0(VALU_DEP_2) | instskip(NEXT) | instid1(VALU_DEP_1)
	v_xor_b32_e32 v5, v5, v3
	v_sub_co_u32 v13, vcc_lo, v5, v3
	s_wait_alu 0xfffd
	s_delay_alu instid0(VALU_DEP_3)
	v_sub_co_ci_u32_e64 v14, null, v8, v3, vcc_lo
.LBB36_32:                              ;   in Loop: Header=BB36_22 Depth=2
	s_wait_alu 0xfffe
	s_and_not1_saveexec_b32 s2, s27
	s_cbranch_execz .LBB36_34
; %bb.33:                               ;   in Loop: Header=BB36_22 Depth=2
	v_cvt_f32_u32_e32 v3, s34
	s_sub_co_i32 s18, 0, s34
	v_mov_b32_e32 v14, v2
	s_delay_alu instid0(VALU_DEP_2) | instskip(NEXT) | instid1(TRANS32_DEP_1)
	v_rcp_iflag_f32_e32 v3, v3
	v_mul_f32_e32 v3, 0x4f7ffffe, v3
	s_delay_alu instid0(VALU_DEP_1) | instskip(SKIP_1) | instid1(VALU_DEP_1)
	v_cvt_u32_f32_e32 v3, v3
	s_wait_alu 0xfffe
	v_mul_lo_u32 v5, s18, v3
	s_delay_alu instid0(VALU_DEP_1) | instskip(NEXT) | instid1(VALU_DEP_1)
	v_mul_hi_u32 v5, v3, v5
	v_add_nc_u32_e32 v3, v3, v5
	s_delay_alu instid0(VALU_DEP_1) | instskip(NEXT) | instid1(VALU_DEP_1)
	v_mul_hi_u32 v3, v11, v3
	v_mul_lo_u32 v5, v3, s34
	s_delay_alu instid0(VALU_DEP_1) | instskip(NEXT) | instid1(VALU_DEP_1)
	v_sub_nc_u32_e32 v5, v11, v5
	v_subrev_nc_u32_e32 v10, s34, v5
	v_cmp_le_u32_e32 vcc_lo, s34, v5
	s_wait_alu 0xfffd
	s_delay_alu instid0(VALU_DEP_2) | instskip(NEXT) | instid1(VALU_DEP_1)
	v_dual_cndmask_b32 v5, v5, v10 :: v_dual_add_nc_u32 v8, 1, v3
	v_cndmask_b32_e32 v3, v3, v8, vcc_lo
	s_delay_alu instid0(VALU_DEP_2) | instskip(NEXT) | instid1(VALU_DEP_2)
	v_cmp_le_u32_e32 vcc_lo, s34, v5
	v_add_nc_u32_e32 v8, 1, v3
	s_wait_alu 0xfffd
	s_delay_alu instid0(VALU_DEP_1)
	v_cndmask_b32_e32 v13, v3, v8, vcc_lo
.LBB36_34:                              ;   in Loop: Header=BB36_22 Depth=2
	s_wait_alu 0xfffe
	s_or_b32 exec_lo, exec_lo, s2
	s_add_co_i32 s18, s26, 4
	s_add_nc_u64 s[38:39], s[0:1], s[38:39]
	s_wait_alu 0xfffe
	s_lshl_b64 s[40:41], s[18:19], 2
                                        ; implicit-def: $vgpr15_vgpr16
	s_mov_b32 s2, exec_lo
	s_wait_alu 0xfffe
	s_add_nc_u64 s[36:37], s[10:11], s[40:41]
	s_clause 0x1
	s_load_b32 s31, s[38:39], 0x6c
	s_load_b32 s36, s[36:37], 0x8
	s_wait_kmcnt 0x0
	s_ashr_i32 s37, s36, 31
	s_wait_alu 0xfffe
	v_or_b32_e32 v3, s37, v14
	s_delay_alu instid0(VALU_DEP_1)
	v_cmpx_ne_u64_e32 0, v[2:3]
	s_xor_b32 s27, exec_lo, s2
	s_cbranch_execz .LBB36_36
; %bb.35:                               ;   in Loop: Header=BB36_22 Depth=2
	s_ashr_i32 s38, s37, 31
	v_ashrrev_i32_e32 v3, 31, v14
	s_wait_alu 0xfffe
	s_mov_b32 s39, s38
	s_wait_alu 0xfffe
	s_add_nc_u64 s[42:43], s[36:37], s[38:39]
	v_add_co_u32 v5, vcc_lo, v13, v3
	s_wait_alu 0xfffe
	s_xor_b64 s[42:43], s[42:43], s[38:39]
	s_wait_alu 0xfffd
	v_add_co_ci_u32_e64 v8, null, v14, v3, vcc_lo
	s_wait_alu 0xfffe
	s_cvt_f32_u32 s2, s42
	s_cvt_f32_u32 s18, s43
	s_sub_nc_u64 s[46:47], 0, s[42:43]
	v_xor_b32_e32 v5, v5, v3
	v_xor_b32_e32 v8, v8, v3
	s_wait_alu 0xfffe
	s_fmamk_f32 s2, s18, 0x4f800000, s2
	v_xor_b32_e32 v3, s38, v3
	s_wait_alu 0xfffe
	s_delay_alu instid0(SALU_CYCLE_1) | instskip(NEXT) | instid1(TRANS32_DEP_1)
	v_s_rcp_f32 s2, s2
	s_mul_f32 s2, s2, 0x5f7ffffc
	s_wait_alu 0xfffe
	s_delay_alu instid0(SALU_CYCLE_2) | instskip(SKIP_1) | instid1(SALU_CYCLE_2)
	s_mul_f32 s18, s2, 0x2f800000
	s_wait_alu 0xfffe
	s_trunc_f32 s18, s18
	s_wait_alu 0xfffe
	s_delay_alu instid0(SALU_CYCLE_2) | instskip(SKIP_2) | instid1(SALU_CYCLE_1)
	s_fmamk_f32 s2, s18, 0xcf800000, s2
	s_cvt_u32_f32 s45, s18
	s_wait_alu 0xfffe
	s_cvt_u32_f32 s44, s2
	s_wait_alu 0xfffe
	s_delay_alu instid0(SALU_CYCLE_2)
	s_mul_u64 s[48:49], s[46:47], s[44:45]
	s_wait_alu 0xfffe
	s_mul_hi_u32 s51, s44, s49
	s_mul_i32 s50, s44, s49
	s_mul_hi_u32 s18, s44, s48
	s_mul_i32 s35, s45, s48
	s_wait_alu 0xfffe
	s_add_nc_u64 s[50:51], s[18:19], s[50:51]
	s_mul_hi_u32 s2, s45, s48
	s_mul_hi_u32 s37, s45, s49
	s_wait_alu 0xfffe
	s_add_co_u32 s18, s50, s35
	s_add_co_ci_u32 s18, s51, s2
	s_mul_i32 s48, s45, s49
	s_add_co_ci_u32 s49, s37, 0
	s_wait_alu 0xfffe
	s_add_nc_u64 s[48:49], s[18:19], s[48:49]
	s_wait_alu 0xfffe
	s_add_co_u32 s44, s44, s48
	s_cselect_b32 s2, -1, 0
	s_wait_alu 0xfffe
	s_cmp_lg_u32 s2, 0
	s_add_co_ci_u32 s45, s45, s49
	s_wait_alu 0xfffe
	s_mul_u64 s[46:47], s[46:47], s[44:45]
	s_wait_alu 0xfffe
	s_mul_hi_u32 s49, s44, s47
	s_mul_i32 s48, s44, s47
	s_mul_hi_u32 s18, s44, s46
	s_mul_i32 s35, s45, s46
	s_wait_alu 0xfffe
	s_add_nc_u64 s[48:49], s[18:19], s[48:49]
	s_mul_hi_u32 s2, s45, s46
	s_mul_hi_u32 s37, s45, s47
	s_wait_alu 0xfffe
	s_add_co_u32 s18, s48, s35
	s_add_co_ci_u32 s18, s49, s2
	s_mul_i32 s46, s45, s47
	s_add_co_ci_u32 s47, s37, 0
	s_wait_alu 0xfffe
	s_add_nc_u64 s[46:47], s[18:19], s[46:47]
	s_wait_alu 0xfffe
	s_add_co_u32 s2, s44, s46
	s_cselect_b32 s18, -1, 0
	s_wait_alu 0xfffe
	v_mul_hi_u32 v10, v5, s2
	s_cmp_lg_u32 s18, 0
	v_mad_co_u64_u32 v[16:17], null, v8, s2, 0
	s_add_co_ci_u32 s18, s45, s47
	s_wait_alu 0xfffe
	v_mad_co_u64_u32 v[14:15], null, v5, s18, 0
	v_mad_co_u64_u32 v[18:19], null, v8, s18, 0
	s_delay_alu instid0(VALU_DEP_2) | instskip(SKIP_1) | instid1(VALU_DEP_3)
	v_add_co_u32 v10, vcc_lo, v10, v14
	s_wait_alu 0xfffd
	v_add_co_ci_u32_e64 v12, null, 0, v15, vcc_lo
	s_delay_alu instid0(VALU_DEP_2) | instskip(SKIP_1) | instid1(VALU_DEP_2)
	v_add_co_u32 v10, vcc_lo, v10, v16
	s_wait_alu 0xfffd
	v_add_co_ci_u32_e32 v10, vcc_lo, v12, v17, vcc_lo
	s_wait_alu 0xfffd
	v_add_co_ci_u32_e32 v12, vcc_lo, 0, v19, vcc_lo
	s_delay_alu instid0(VALU_DEP_2) | instskip(SKIP_1) | instid1(VALU_DEP_2)
	v_add_co_u32 v10, vcc_lo, v10, v18
	s_wait_alu 0xfffd
	v_add_co_ci_u32_e64 v12, null, 0, v12, vcc_lo
	s_delay_alu instid0(VALU_DEP_2) | instskip(SKIP_1) | instid1(VALU_DEP_3)
	v_mul_lo_u32 v16, s43, v10
	v_mad_co_u64_u32 v[14:15], null, s42, v10, 0
	v_mul_lo_u32 v17, s42, v12
	s_delay_alu instid0(VALU_DEP_2) | instskip(NEXT) | instid1(VALU_DEP_2)
	v_sub_co_u32 v5, vcc_lo, v5, v14
	v_add3_u32 v15, v15, v17, v16
	s_delay_alu instid0(VALU_DEP_1) | instskip(SKIP_2) | instid1(VALU_DEP_2)
	v_sub_nc_u32_e32 v16, v8, v15
	s_wait_alu 0xfffd
	v_sub_co_ci_u32_e64 v8, null, v8, v15, vcc_lo
	v_subrev_co_ci_u32_e64 v14, null, s43, v16, vcc_lo
	v_add_co_u32 v16, s2, v10, 2
	s_wait_alu 0xf1ff
	v_add_co_ci_u32_e64 v17, null, 0, v12, s2
	v_sub_co_u32 v18, s2, v5, s42
	s_wait_alu 0xf1ff
	v_subrev_co_ci_u32_e64 v14, null, 0, v14, s2
	s_delay_alu instid0(VALU_DEP_2) | instskip(SKIP_2) | instid1(VALU_DEP_3)
	v_cmp_le_u32_e32 vcc_lo, s42, v18
	s_wait_alu 0xfffd
	v_cndmask_b32_e64 v15, 0, -1, vcc_lo
	v_cmp_le_u32_e32 vcc_lo, s43, v14
	s_wait_alu 0xfffd
	v_cndmask_b32_e64 v18, 0, -1, vcc_lo
	;; [unrolled: 3-line block ×4, first 2 shown]
	v_cmp_eq_u32_e32 vcc_lo, s43, v14
	s_wait_alu 0xfffd
	v_cndmask_b32_e32 v14, v18, v15, vcc_lo
	v_add_co_u32 v15, vcc_lo, v10, 1
	s_wait_alu 0xfffd
	v_add_co_ci_u32_e64 v18, null, 0, v12, vcc_lo
	v_cmp_eq_u32_e32 vcc_lo, s43, v8
	s_wait_alu 0xfffd
	v_cndmask_b32_e32 v5, v19, v5, vcc_lo
	v_cmp_ne_u32_e32 vcc_lo, 0, v14
	s_delay_alu instid0(VALU_DEP_2) | instskip(SKIP_3) | instid1(VALU_DEP_1)
	v_cmp_ne_u32_e64 s2, 0, v5
	s_wait_alu 0xfffd
	v_dual_cndmask_b32 v8, v18, v17 :: v_dual_cndmask_b32 v5, v15, v16
	s_wait_alu 0xf1ff
	v_cndmask_b32_e64 v8, v12, v8, s2
	s_delay_alu instid0(VALU_DEP_2) | instskip(NEXT) | instid1(VALU_DEP_2)
	v_cndmask_b32_e64 v5, v10, v5, s2
	v_xor_b32_e32 v8, v8, v3
	s_delay_alu instid0(VALU_DEP_2) | instskip(NEXT) | instid1(VALU_DEP_1)
	v_xor_b32_e32 v5, v5, v3
	v_sub_co_u32 v15, vcc_lo, v5, v3
	s_wait_alu 0xfffd
	s_delay_alu instid0(VALU_DEP_3)
	v_sub_co_ci_u32_e64 v16, null, v8, v3, vcc_lo
.LBB36_36:                              ;   in Loop: Header=BB36_22 Depth=2
	s_wait_alu 0xfffe
	s_and_not1_saveexec_b32 s2, s27
	s_cbranch_execz .LBB36_38
; %bb.37:                               ;   in Loop: Header=BB36_22 Depth=2
	v_cvt_f32_u32_e32 v3, s36
	s_sub_co_i32 s18, 0, s36
	v_mov_b32_e32 v16, v2
	s_delay_alu instid0(VALU_DEP_2) | instskip(NEXT) | instid1(TRANS32_DEP_1)
	v_rcp_iflag_f32_e32 v3, v3
	v_mul_f32_e32 v3, 0x4f7ffffe, v3
	s_delay_alu instid0(VALU_DEP_1) | instskip(SKIP_1) | instid1(VALU_DEP_1)
	v_cvt_u32_f32_e32 v3, v3
	s_wait_alu 0xfffe
	v_mul_lo_u32 v5, s18, v3
	s_delay_alu instid0(VALU_DEP_1) | instskip(NEXT) | instid1(VALU_DEP_1)
	v_mul_hi_u32 v5, v3, v5
	v_add_nc_u32_e32 v3, v3, v5
	s_delay_alu instid0(VALU_DEP_1) | instskip(NEXT) | instid1(VALU_DEP_1)
	v_mul_hi_u32 v3, v13, v3
	v_mul_lo_u32 v5, v3, s36
	s_delay_alu instid0(VALU_DEP_1) | instskip(NEXT) | instid1(VALU_DEP_1)
	v_sub_nc_u32_e32 v5, v13, v5
	v_subrev_nc_u32_e32 v10, s36, v5
	v_cmp_le_u32_e32 vcc_lo, s36, v5
	s_wait_alu 0xfffd
	s_delay_alu instid0(VALU_DEP_2) | instskip(NEXT) | instid1(VALU_DEP_1)
	v_dual_cndmask_b32 v5, v5, v10 :: v_dual_add_nc_u32 v8, 1, v3
	v_cndmask_b32_e32 v3, v3, v8, vcc_lo
	s_delay_alu instid0(VALU_DEP_2) | instskip(NEXT) | instid1(VALU_DEP_2)
	v_cmp_le_u32_e32 vcc_lo, s36, v5
	v_add_nc_u32_e32 v8, 1, v3
	s_wait_alu 0xfffd
	s_delay_alu instid0(VALU_DEP_1)
	v_cndmask_b32_e32 v15, v3, v8, vcc_lo
.LBB36_38:                              ;   in Loop: Header=BB36_22 Depth=2
	s_wait_alu 0xfffe
	s_or_b32 exec_lo, exec_lo, s2
	s_add_co_i32 s18, s26, 3
	s_add_nc_u64 s[40:41], s[0:1], s[40:41]
	s_wait_alu 0xfffe
	s_lshl_b64 s[42:43], s[18:19], 2
                                        ; implicit-def: $vgpr17_vgpr18
	s_mov_b32 s2, exec_lo
	s_wait_alu 0xfffe
	s_add_nc_u64 s[38:39], s[10:11], s[42:43]
	s_clause 0x1
	s_load_b32 s35, s[40:41], 0x6c
	s_load_b32 s38, s[38:39], 0x8
	s_wait_kmcnt 0x0
	s_ashr_i32 s39, s38, 31
	s_wait_alu 0xfffe
	v_or_b32_e32 v3, s39, v16
	s_delay_alu instid0(VALU_DEP_1)
	v_cmpx_ne_u64_e32 0, v[2:3]
	s_xor_b32 s27, exec_lo, s2
	s_cbranch_execz .LBB36_40
; %bb.39:                               ;   in Loop: Header=BB36_22 Depth=2
	s_ashr_i32 s40, s39, 31
	v_ashrrev_i32_e32 v3, 31, v16
	s_wait_alu 0xfffe
	s_mov_b32 s41, s40
	s_wait_alu 0xfffe
	s_add_nc_u64 s[44:45], s[38:39], s[40:41]
	v_add_co_u32 v5, vcc_lo, v15, v3
	s_wait_alu 0xfffe
	s_xor_b64 s[44:45], s[44:45], s[40:41]
	s_wait_alu 0xfffd
	v_add_co_ci_u32_e64 v8, null, v16, v3, vcc_lo
	s_wait_alu 0xfffe
	s_cvt_f32_u32 s2, s44
	s_cvt_f32_u32 s18, s45
	s_sub_nc_u64 s[48:49], 0, s[44:45]
	v_xor_b32_e32 v5, v5, v3
	v_xor_b32_e32 v8, v8, v3
	s_wait_alu 0xfffe
	s_fmamk_f32 s2, s18, 0x4f800000, s2
	v_xor_b32_e32 v3, s40, v3
	s_wait_alu 0xfffe
	s_delay_alu instid0(SALU_CYCLE_1) | instskip(NEXT) | instid1(TRANS32_DEP_1)
	v_s_rcp_f32 s2, s2
	s_mul_f32 s2, s2, 0x5f7ffffc
	s_wait_alu 0xfffe
	s_delay_alu instid0(SALU_CYCLE_2) | instskip(SKIP_1) | instid1(SALU_CYCLE_2)
	s_mul_f32 s18, s2, 0x2f800000
	s_wait_alu 0xfffe
	s_trunc_f32 s18, s18
	s_wait_alu 0xfffe
	s_delay_alu instid0(SALU_CYCLE_2) | instskip(SKIP_2) | instid1(SALU_CYCLE_1)
	s_fmamk_f32 s2, s18, 0xcf800000, s2
	s_cvt_u32_f32 s47, s18
	s_wait_alu 0xfffe
	s_cvt_u32_f32 s46, s2
	s_wait_alu 0xfffe
	s_delay_alu instid0(SALU_CYCLE_2)
	s_mul_u64 s[50:51], s[48:49], s[46:47]
	s_wait_alu 0xfffe
	s_mul_hi_u32 s59, s46, s51
	s_mul_i32 s58, s46, s51
	s_mul_hi_u32 s18, s46, s50
	s_mul_i32 s37, s47, s50
	s_wait_alu 0xfffe
	s_add_nc_u64 s[58:59], s[18:19], s[58:59]
	s_mul_hi_u32 s2, s47, s50
	s_mul_hi_u32 s39, s47, s51
	s_add_co_u32 s18, s58, s37
	s_wait_alu 0xfffe
	s_add_co_ci_u32 s18, s59, s2
	s_mul_i32 s50, s47, s51
	s_add_co_ci_u32 s51, s39, 0
	s_wait_alu 0xfffe
	s_add_nc_u64 s[50:51], s[18:19], s[50:51]
	s_wait_alu 0xfffe
	s_add_co_u32 s46, s46, s50
	s_cselect_b32 s2, -1, 0
	s_wait_alu 0xfffe
	s_cmp_lg_u32 s2, 0
	s_add_co_ci_u32 s47, s47, s51
	s_wait_alu 0xfffe
	s_mul_u64 s[48:49], s[48:49], s[46:47]
	s_wait_alu 0xfffe
	s_mul_hi_u32 s51, s46, s49
	s_mul_i32 s50, s46, s49
	s_mul_hi_u32 s18, s46, s48
	s_mul_i32 s37, s47, s48
	s_wait_alu 0xfffe
	s_add_nc_u64 s[50:51], s[18:19], s[50:51]
	s_mul_hi_u32 s2, s47, s48
	s_mul_hi_u32 s39, s47, s49
	s_wait_alu 0xfffe
	s_add_co_u32 s18, s50, s37
	s_add_co_ci_u32 s18, s51, s2
	s_mul_i32 s48, s47, s49
	s_add_co_ci_u32 s49, s39, 0
	s_wait_alu 0xfffe
	s_add_nc_u64 s[48:49], s[18:19], s[48:49]
	s_wait_alu 0xfffe
	s_add_co_u32 s2, s46, s48
	s_cselect_b32 s18, -1, 0
	s_wait_alu 0xfffe
	v_mul_hi_u32 v10, v5, s2
	s_cmp_lg_u32 s18, 0
	v_mad_co_u64_u32 v[18:19], null, v8, s2, 0
	s_add_co_ci_u32 s18, s47, s49
	s_wait_alu 0xfffe
	v_mad_co_u64_u32 v[16:17], null, v5, s18, 0
	v_mad_co_u64_u32 v[20:21], null, v8, s18, 0
	s_delay_alu instid0(VALU_DEP_2) | instskip(SKIP_1) | instid1(VALU_DEP_3)
	v_add_co_u32 v10, vcc_lo, v10, v16
	s_wait_alu 0xfffd
	v_add_co_ci_u32_e64 v12, null, 0, v17, vcc_lo
	s_delay_alu instid0(VALU_DEP_2) | instskip(SKIP_1) | instid1(VALU_DEP_2)
	v_add_co_u32 v10, vcc_lo, v10, v18
	s_wait_alu 0xfffd
	v_add_co_ci_u32_e32 v10, vcc_lo, v12, v19, vcc_lo
	s_wait_alu 0xfffd
	v_add_co_ci_u32_e32 v12, vcc_lo, 0, v21, vcc_lo
	s_delay_alu instid0(VALU_DEP_2) | instskip(SKIP_1) | instid1(VALU_DEP_2)
	v_add_co_u32 v10, vcc_lo, v10, v20
	s_wait_alu 0xfffd
	v_add_co_ci_u32_e64 v12, null, 0, v12, vcc_lo
	s_delay_alu instid0(VALU_DEP_2) | instskip(SKIP_1) | instid1(VALU_DEP_3)
	v_mul_lo_u32 v14, s45, v10
	v_mad_co_u64_u32 v[16:17], null, s44, v10, 0
	v_mul_lo_u32 v18, s44, v12
	s_delay_alu instid0(VALU_DEP_2) | instskip(NEXT) | instid1(VALU_DEP_2)
	v_sub_co_u32 v5, vcc_lo, v5, v16
	v_add3_u32 v14, v17, v18, v14
	s_delay_alu instid0(VALU_DEP_1) | instskip(SKIP_2) | instid1(VALU_DEP_2)
	v_sub_nc_u32_e32 v17, v8, v14
	s_wait_alu 0xfffd
	v_sub_co_ci_u32_e64 v8, null, v8, v14, vcc_lo
	v_subrev_co_ci_u32_e64 v16, null, s45, v17, vcc_lo
	v_add_co_u32 v17, s2, v10, 2
	s_wait_alu 0xf1ff
	v_add_co_ci_u32_e64 v18, null, 0, v12, s2
	v_sub_co_u32 v19, s2, v5, s44
	s_wait_alu 0xf1ff
	v_subrev_co_ci_u32_e64 v16, null, 0, v16, s2
	s_delay_alu instid0(VALU_DEP_2) | instskip(SKIP_2) | instid1(VALU_DEP_3)
	v_cmp_le_u32_e32 vcc_lo, s44, v19
	s_wait_alu 0xfffd
	v_cndmask_b32_e64 v14, 0, -1, vcc_lo
	v_cmp_le_u32_e32 vcc_lo, s45, v16
	s_wait_alu 0xfffd
	v_cndmask_b32_e64 v19, 0, -1, vcc_lo
	;; [unrolled: 3-line block ×4, first 2 shown]
	v_cmp_eq_u32_e32 vcc_lo, s45, v16
	s_wait_alu 0xfffd
	v_cndmask_b32_e32 v14, v19, v14, vcc_lo
	v_add_co_u32 v16, vcc_lo, v10, 1
	s_wait_alu 0xfffd
	v_add_co_ci_u32_e64 v19, null, 0, v12, vcc_lo
	v_cmp_eq_u32_e32 vcc_lo, s45, v8
	s_wait_alu 0xfffd
	v_cndmask_b32_e32 v5, v20, v5, vcc_lo
	v_cmp_ne_u32_e32 vcc_lo, 0, v14
	s_delay_alu instid0(VALU_DEP_2) | instskip(SKIP_3) | instid1(VALU_DEP_1)
	v_cmp_ne_u32_e64 s2, 0, v5
	s_wait_alu 0xfffd
	v_dual_cndmask_b32 v8, v19, v18 :: v_dual_cndmask_b32 v5, v16, v17
	s_wait_alu 0xf1ff
	v_cndmask_b32_e64 v8, v12, v8, s2
	s_delay_alu instid0(VALU_DEP_2) | instskip(NEXT) | instid1(VALU_DEP_2)
	v_cndmask_b32_e64 v5, v10, v5, s2
	v_xor_b32_e32 v8, v8, v3
	s_delay_alu instid0(VALU_DEP_2) | instskip(NEXT) | instid1(VALU_DEP_1)
	v_xor_b32_e32 v5, v5, v3
	v_sub_co_u32 v17, vcc_lo, v5, v3
	s_wait_alu 0xfffd
	s_delay_alu instid0(VALU_DEP_3)
	v_sub_co_ci_u32_e64 v18, null, v8, v3, vcc_lo
.LBB36_40:                              ;   in Loop: Header=BB36_22 Depth=2
	s_wait_alu 0xfffe
	s_and_not1_saveexec_b32 s2, s27
	s_cbranch_execz .LBB36_42
; %bb.41:                               ;   in Loop: Header=BB36_22 Depth=2
	v_cvt_f32_u32_e32 v3, s38
	s_sub_co_i32 s18, 0, s38
	v_mov_b32_e32 v18, v2
	s_delay_alu instid0(VALU_DEP_2) | instskip(NEXT) | instid1(TRANS32_DEP_1)
	v_rcp_iflag_f32_e32 v3, v3
	v_mul_f32_e32 v3, 0x4f7ffffe, v3
	s_delay_alu instid0(VALU_DEP_1) | instskip(SKIP_1) | instid1(VALU_DEP_1)
	v_cvt_u32_f32_e32 v3, v3
	s_wait_alu 0xfffe
	v_mul_lo_u32 v5, s18, v3
	s_delay_alu instid0(VALU_DEP_1) | instskip(NEXT) | instid1(VALU_DEP_1)
	v_mul_hi_u32 v5, v3, v5
	v_add_nc_u32_e32 v3, v3, v5
	s_delay_alu instid0(VALU_DEP_1) | instskip(NEXT) | instid1(VALU_DEP_1)
	v_mul_hi_u32 v3, v15, v3
	v_mul_lo_u32 v5, v3, s38
	s_delay_alu instid0(VALU_DEP_1) | instskip(NEXT) | instid1(VALU_DEP_1)
	v_sub_nc_u32_e32 v5, v15, v5
	v_subrev_nc_u32_e32 v10, s38, v5
	v_cmp_le_u32_e32 vcc_lo, s38, v5
	s_wait_alu 0xfffd
	s_delay_alu instid0(VALU_DEP_2) | instskip(NEXT) | instid1(VALU_DEP_1)
	v_dual_cndmask_b32 v5, v5, v10 :: v_dual_add_nc_u32 v8, 1, v3
	v_cndmask_b32_e32 v3, v3, v8, vcc_lo
	s_delay_alu instid0(VALU_DEP_2) | instskip(NEXT) | instid1(VALU_DEP_2)
	v_cmp_le_u32_e32 vcc_lo, s38, v5
	v_add_nc_u32_e32 v8, 1, v3
	s_wait_alu 0xfffd
	s_delay_alu instid0(VALU_DEP_1)
	v_cndmask_b32_e32 v17, v3, v8, vcc_lo
.LBB36_42:                              ;   in Loop: Header=BB36_22 Depth=2
	s_wait_alu 0xfffe
	s_or_b32 exec_lo, exec_lo, s2
	s_add_co_i32 s18, s26, 2
	s_add_nc_u64 s[42:43], s[0:1], s[42:43]
	s_wait_alu 0xfffe
	s_lshl_b64 s[44:45], s[18:19], 2
                                        ; implicit-def: $vgpr19_vgpr20
	s_mov_b32 s2, exec_lo
	s_wait_alu 0xfffe
	s_add_nc_u64 s[40:41], s[10:11], s[44:45]
	s_clause 0x1
	s_load_b32 s37, s[42:43], 0x6c
	s_load_b32 s40, s[40:41], 0x8
	s_wait_kmcnt 0x0
	s_ashr_i32 s41, s40, 31
	s_wait_alu 0xfffe
	v_or_b32_e32 v3, s41, v18
	s_delay_alu instid0(VALU_DEP_1)
	v_cmpx_ne_u64_e32 0, v[2:3]
	s_xor_b32 s27, exec_lo, s2
	s_cbranch_execz .LBB36_44
; %bb.43:                               ;   in Loop: Header=BB36_22 Depth=2
	s_ashr_i32 s42, s41, 31
	v_ashrrev_i32_e32 v3, 31, v18
	s_wait_alu 0xfffe
	s_mov_b32 s43, s42
	s_wait_alu 0xfffe
	s_add_nc_u64 s[46:47], s[40:41], s[42:43]
	v_add_co_u32 v5, vcc_lo, v17, v3
	s_wait_alu 0xfffe
	s_xor_b64 s[46:47], s[46:47], s[42:43]
	s_wait_alu 0xfffd
	v_add_co_ci_u32_e64 v8, null, v18, v3, vcc_lo
	s_wait_alu 0xfffe
	s_cvt_f32_u32 s2, s46
	s_cvt_f32_u32 s18, s47
	s_sub_nc_u64 s[50:51], 0, s[46:47]
	v_xor_b32_e32 v5, v5, v3
	v_xor_b32_e32 v8, v8, v3
	s_wait_alu 0xfffe
	s_fmamk_f32 s2, s18, 0x4f800000, s2
	v_xor_b32_e32 v3, s42, v3
	s_wait_alu 0xfffe
	s_delay_alu instid0(SALU_CYCLE_1) | instskip(NEXT) | instid1(TRANS32_DEP_1)
	v_s_rcp_f32 s2, s2
	s_mul_f32 s2, s2, 0x5f7ffffc
	s_wait_alu 0xfffe
	s_delay_alu instid0(SALU_CYCLE_2) | instskip(SKIP_1) | instid1(SALU_CYCLE_2)
	s_mul_f32 s18, s2, 0x2f800000
	s_wait_alu 0xfffe
	s_trunc_f32 s18, s18
	s_wait_alu 0xfffe
	s_delay_alu instid0(SALU_CYCLE_2) | instskip(SKIP_2) | instid1(SALU_CYCLE_1)
	s_fmamk_f32 s2, s18, 0xcf800000, s2
	s_cvt_u32_f32 s49, s18
	s_wait_alu 0xfffe
	s_cvt_u32_f32 s48, s2
	s_wait_alu 0xfffe
	s_delay_alu instid0(SALU_CYCLE_2) | instskip(NEXT) | instid1(SALU_CYCLE_1)
	s_mul_u64 s[58:59], s[50:51], s[48:49]
	s_mul_hi_u32 s61, s48, s59
	s_mul_i32 s60, s48, s59
	s_mul_hi_u32 s18, s48, s58
	s_mul_i32 s39, s49, s58
	s_wait_alu 0xfffe
	s_add_nc_u64 s[60:61], s[18:19], s[60:61]
	s_mul_hi_u32 s2, s49, s58
	s_mul_hi_u32 s41, s49, s59
	s_add_co_u32 s18, s60, s39
	s_wait_alu 0xfffe
	s_add_co_ci_u32 s18, s61, s2
	s_mul_i32 s58, s49, s59
	s_add_co_ci_u32 s59, s41, 0
	s_wait_alu 0xfffe
	s_add_nc_u64 s[58:59], s[18:19], s[58:59]
	s_delay_alu instid0(SALU_CYCLE_1)
	s_add_co_u32 s48, s48, s58
	s_cselect_b32 s2, -1, 0
	s_wait_alu 0xfffe
	s_cmp_lg_u32 s2, 0
	s_add_co_ci_u32 s49, s49, s59
	s_wait_alu 0xfffe
	s_mul_u64 s[50:51], s[50:51], s[48:49]
	s_wait_alu 0xfffe
	s_mul_hi_u32 s59, s48, s51
	s_mul_i32 s58, s48, s51
	s_mul_hi_u32 s18, s48, s50
	s_mul_i32 s39, s49, s50
	s_wait_alu 0xfffe
	s_add_nc_u64 s[58:59], s[18:19], s[58:59]
	s_mul_hi_u32 s2, s49, s50
	s_mul_hi_u32 s41, s49, s51
	s_add_co_u32 s18, s58, s39
	s_wait_alu 0xfffe
	s_add_co_ci_u32 s18, s59, s2
	s_mul_i32 s50, s49, s51
	s_add_co_ci_u32 s51, s41, 0
	s_wait_alu 0xfffe
	s_add_nc_u64 s[50:51], s[18:19], s[50:51]
	s_wait_alu 0xfffe
	s_add_co_u32 s2, s48, s50
	s_cselect_b32 s18, -1, 0
	s_wait_alu 0xfffe
	v_mul_hi_u32 v10, v5, s2
	s_cmp_lg_u32 s18, 0
	v_mad_co_u64_u32 v[20:21], null, v8, s2, 0
	s_add_co_ci_u32 s18, s49, s51
	s_wait_alu 0xfffe
	v_mad_co_u64_u32 v[18:19], null, v5, s18, 0
	v_mad_co_u64_u32 v[22:23], null, v8, s18, 0
	s_delay_alu instid0(VALU_DEP_2) | instskip(SKIP_1) | instid1(VALU_DEP_3)
	v_add_co_u32 v10, vcc_lo, v10, v18
	s_wait_alu 0xfffd
	v_add_co_ci_u32_e64 v12, null, 0, v19, vcc_lo
	s_delay_alu instid0(VALU_DEP_2) | instskip(SKIP_1) | instid1(VALU_DEP_2)
	v_add_co_u32 v10, vcc_lo, v10, v20
	s_wait_alu 0xfffd
	v_add_co_ci_u32_e32 v10, vcc_lo, v12, v21, vcc_lo
	s_wait_alu 0xfffd
	v_add_co_ci_u32_e32 v12, vcc_lo, 0, v23, vcc_lo
	s_delay_alu instid0(VALU_DEP_2) | instskip(SKIP_1) | instid1(VALU_DEP_2)
	v_add_co_u32 v10, vcc_lo, v10, v22
	s_wait_alu 0xfffd
	v_add_co_ci_u32_e64 v12, null, 0, v12, vcc_lo
	s_delay_alu instid0(VALU_DEP_2) | instskip(SKIP_1) | instid1(VALU_DEP_3)
	v_mul_lo_u32 v14, s47, v10
	v_mad_co_u64_u32 v[18:19], null, s46, v10, 0
	v_mul_lo_u32 v16, s46, v12
	s_delay_alu instid0(VALU_DEP_2) | instskip(NEXT) | instid1(VALU_DEP_2)
	v_sub_co_u32 v5, vcc_lo, v5, v18
	v_add3_u32 v14, v19, v16, v14
	v_add_co_u32 v18, s2, v10, 2
	s_wait_alu 0xf1ff
	v_add_co_ci_u32_e64 v19, null, 0, v12, s2
	s_delay_alu instid0(VALU_DEP_3) | instskip(SKIP_3) | instid1(VALU_DEP_3)
	v_sub_nc_u32_e32 v16, v8, v14
	v_sub_co_u32 v20, s2, v5, s46
	s_wait_alu 0xfffd
	v_sub_co_ci_u32_e64 v8, null, v8, v14, vcc_lo
	v_subrev_co_ci_u32_e64 v16, null, s47, v16, vcc_lo
	s_delay_alu instid0(VALU_DEP_3) | instskip(SKIP_1) | instid1(VALU_DEP_2)
	v_cmp_le_u32_e32 vcc_lo, s46, v20
	s_wait_alu 0xf1ff
	v_subrev_co_ci_u32_e64 v16, null, 0, v16, s2
	s_wait_alu 0xfffd
	v_cndmask_b32_e64 v14, 0, -1, vcc_lo
	s_delay_alu instid0(VALU_DEP_2)
	v_cmp_le_u32_e32 vcc_lo, s47, v16
	s_wait_alu 0xfffd
	v_cndmask_b32_e64 v20, 0, -1, vcc_lo
	v_cmp_le_u32_e32 vcc_lo, s46, v5
	s_wait_alu 0xfffd
	v_cndmask_b32_e64 v5, 0, -1, vcc_lo
	v_cmp_le_u32_e32 vcc_lo, s47, v8
	s_wait_alu 0xfffd
	v_cndmask_b32_e64 v21, 0, -1, vcc_lo
	v_cmp_eq_u32_e32 vcc_lo, s47, v16
	s_wait_alu 0xfffd
	v_cndmask_b32_e32 v14, v20, v14, vcc_lo
	v_add_co_u32 v16, vcc_lo, v10, 1
	s_wait_alu 0xfffd
	v_add_co_ci_u32_e64 v20, null, 0, v12, vcc_lo
	v_cmp_eq_u32_e32 vcc_lo, s47, v8
	s_wait_alu 0xfffd
	v_cndmask_b32_e32 v5, v21, v5, vcc_lo
	v_cmp_ne_u32_e32 vcc_lo, 0, v14
	s_delay_alu instid0(VALU_DEP_2) | instskip(SKIP_4) | instid1(VALU_DEP_2)
	v_cmp_ne_u32_e64 s2, 0, v5
	s_wait_alu 0xfffd
	v_cndmask_b32_e32 v5, v16, v18, vcc_lo
	v_cndmask_b32_e32 v8, v20, v19, vcc_lo
	s_wait_alu 0xf1ff
	v_cndmask_b32_e64 v5, v10, v5, s2
	s_delay_alu instid0(VALU_DEP_2) | instskip(NEXT) | instid1(VALU_DEP_2)
	v_cndmask_b32_e64 v8, v12, v8, s2
	v_xor_b32_e32 v5, v5, v3
	s_delay_alu instid0(VALU_DEP_2) | instskip(NEXT) | instid1(VALU_DEP_2)
	v_xor_b32_e32 v8, v8, v3
	v_sub_co_u32 v19, vcc_lo, v5, v3
	s_wait_alu 0xfffd
	s_delay_alu instid0(VALU_DEP_2)
	v_sub_co_ci_u32_e64 v20, null, v8, v3, vcc_lo
.LBB36_44:                              ;   in Loop: Header=BB36_22 Depth=2
	s_wait_alu 0xfffe
	s_and_not1_saveexec_b32 s2, s27
	s_cbranch_execz .LBB36_46
; %bb.45:                               ;   in Loop: Header=BB36_22 Depth=2
	v_cvt_f32_u32_e32 v3, s40
	s_sub_co_i32 s18, 0, s40
	v_mov_b32_e32 v20, v2
	s_delay_alu instid0(VALU_DEP_2) | instskip(NEXT) | instid1(TRANS32_DEP_1)
	v_rcp_iflag_f32_e32 v3, v3
	v_mul_f32_e32 v3, 0x4f7ffffe, v3
	s_delay_alu instid0(VALU_DEP_1) | instskip(SKIP_1) | instid1(VALU_DEP_1)
	v_cvt_u32_f32_e32 v3, v3
	s_wait_alu 0xfffe
	v_mul_lo_u32 v5, s18, v3
	s_delay_alu instid0(VALU_DEP_1) | instskip(NEXT) | instid1(VALU_DEP_1)
	v_mul_hi_u32 v5, v3, v5
	v_add_nc_u32_e32 v3, v3, v5
	s_delay_alu instid0(VALU_DEP_1) | instskip(NEXT) | instid1(VALU_DEP_1)
	v_mul_hi_u32 v3, v17, v3
	v_mul_lo_u32 v5, v3, s40
	s_delay_alu instid0(VALU_DEP_1) | instskip(NEXT) | instid1(VALU_DEP_1)
	v_sub_nc_u32_e32 v5, v17, v5
	v_subrev_nc_u32_e32 v10, s40, v5
	v_cmp_le_u32_e32 vcc_lo, s40, v5
	s_wait_alu 0xfffd
	s_delay_alu instid0(VALU_DEP_2) | instskip(NEXT) | instid1(VALU_DEP_1)
	v_dual_cndmask_b32 v5, v5, v10 :: v_dual_add_nc_u32 v8, 1, v3
	v_cndmask_b32_e32 v3, v3, v8, vcc_lo
	s_delay_alu instid0(VALU_DEP_2) | instskip(NEXT) | instid1(VALU_DEP_2)
	v_cmp_le_u32_e32 vcc_lo, s40, v5
	v_add_nc_u32_e32 v8, 1, v3
	s_wait_alu 0xfffd
	s_delay_alu instid0(VALU_DEP_1)
	v_cndmask_b32_e32 v19, v3, v8, vcc_lo
.LBB36_46:                              ;   in Loop: Header=BB36_22 Depth=2
	s_wait_alu 0xfffe
	s_or_b32 exec_lo, exec_lo, s2
	s_add_co_i32 s18, s26, 1
	s_add_nc_u64 s[44:45], s[0:1], s[44:45]
	s_wait_alu 0xfffe
	s_lshl_b64 s[48:49], s[18:19], 2
                                        ; implicit-def: $vgpr21_vgpr22
	s_mov_b32 s2, exec_lo
	s_wait_alu 0xfffe
	s_add_nc_u64 s[42:43], s[10:11], s[48:49]
	s_clause 0x1
	s_load_b32 s39, s[44:45], 0x6c
	s_load_b32 s42, s[42:43], 0x8
	s_wait_kmcnt 0x0
	s_ashr_i32 s43, s42, 31
	s_wait_alu 0xfffe
	v_or_b32_e32 v3, s43, v20
	s_delay_alu instid0(VALU_DEP_1)
	v_cmpx_ne_u64_e32 0, v[2:3]
	s_xor_b32 s27, exec_lo, s2
	s_cbranch_execz .LBB36_48
; %bb.47:                               ;   in Loop: Header=BB36_22 Depth=2
	s_ashr_i32 s44, s43, 31
	v_ashrrev_i32_e32 v3, 31, v20
	s_wait_alu 0xfffe
	s_mov_b32 s45, s44
	s_wait_alu 0xfffe
	s_add_nc_u64 s[46:47], s[42:43], s[44:45]
	v_add_co_u32 v5, vcc_lo, v19, v3
	s_wait_alu 0xfffe
	s_xor_b64 s[46:47], s[46:47], s[44:45]
	s_wait_alu 0xfffd
	v_add_co_ci_u32_e64 v8, null, v20, v3, vcc_lo
	s_wait_alu 0xfffe
	s_cvt_f32_u32 s2, s46
	s_cvt_f32_u32 s18, s47
	s_sub_nc_u64 s[58:59], 0, s[46:47]
	v_xor_b32_e32 v5, v5, v3
	v_xor_b32_e32 v8, v8, v3
	s_wait_alu 0xfffe
	s_fmamk_f32 s2, s18, 0x4f800000, s2
	v_xor_b32_e32 v3, s44, v3
	s_wait_alu 0xfffe
	s_delay_alu instid0(SALU_CYCLE_1) | instskip(NEXT) | instid1(TRANS32_DEP_1)
	v_s_rcp_f32 s2, s2
	s_mul_f32 s2, s2, 0x5f7ffffc
	s_wait_alu 0xfffe
	s_delay_alu instid0(SALU_CYCLE_2) | instskip(SKIP_1) | instid1(SALU_CYCLE_2)
	s_mul_f32 s18, s2, 0x2f800000
	s_wait_alu 0xfffe
	s_trunc_f32 s18, s18
	s_wait_alu 0xfffe
	s_delay_alu instid0(SALU_CYCLE_2) | instskip(SKIP_2) | instid1(SALU_CYCLE_1)
	s_fmamk_f32 s2, s18, 0xcf800000, s2
	s_cvt_u32_f32 s51, s18
	s_wait_alu 0xfffe
	s_cvt_u32_f32 s50, s2
	s_wait_alu 0xfffe
	s_delay_alu instid0(SALU_CYCLE_2) | instskip(NEXT) | instid1(SALU_CYCLE_1)
	s_mul_u64 s[60:61], s[58:59], s[50:51]
	s_mul_hi_u32 s63, s50, s61
	s_mul_i32 s62, s50, s61
	s_mul_hi_u32 s18, s50, s60
	s_mul_i32 s41, s51, s60
	s_wait_alu 0xfffe
	s_add_nc_u64 s[62:63], s[18:19], s[62:63]
	s_mul_hi_u32 s2, s51, s60
	s_mul_hi_u32 s43, s51, s61
	s_add_co_u32 s18, s62, s41
	s_wait_alu 0xfffe
	s_add_co_ci_u32 s18, s63, s2
	s_mul_i32 s60, s51, s61
	s_add_co_ci_u32 s61, s43, 0
	s_wait_alu 0xfffe
	s_add_nc_u64 s[60:61], s[18:19], s[60:61]
	s_delay_alu instid0(SALU_CYCLE_1)
	s_add_co_u32 s50, s50, s60
	s_cselect_b32 s2, -1, 0
	s_wait_alu 0xfffe
	s_cmp_lg_u32 s2, 0
	s_add_co_ci_u32 s51, s51, s61
	s_wait_alu 0xfffe
	s_mul_u64 s[58:59], s[58:59], s[50:51]
	s_delay_alu instid0(SALU_CYCLE_1)
	s_mul_hi_u32 s61, s50, s59
	s_mul_i32 s60, s50, s59
	s_mul_hi_u32 s18, s50, s58
	s_mul_i32 s41, s51, s58
	s_wait_alu 0xfffe
	s_add_nc_u64 s[60:61], s[18:19], s[60:61]
	s_mul_hi_u32 s2, s51, s58
	s_mul_hi_u32 s43, s51, s59
	s_add_co_u32 s18, s60, s41
	s_wait_alu 0xfffe
	s_add_co_ci_u32 s18, s61, s2
	s_mul_i32 s58, s51, s59
	s_add_co_ci_u32 s59, s43, 0
	s_wait_alu 0xfffe
	s_add_nc_u64 s[58:59], s[18:19], s[58:59]
	s_delay_alu instid0(SALU_CYCLE_1)
	s_add_co_u32 s2, s50, s58
	s_cselect_b32 s18, -1, 0
	s_wait_alu 0xfffe
	v_mul_hi_u32 v10, v5, s2
	s_cmp_lg_u32 s18, 0
	v_mad_co_u64_u32 v[22:23], null, v8, s2, 0
	s_add_co_ci_u32 s18, s51, s59
	s_wait_alu 0xfffe
	v_mad_co_u64_u32 v[20:21], null, v5, s18, 0
	v_mad_co_u64_u32 v[29:30], null, v8, s18, 0
	s_delay_alu instid0(VALU_DEP_2) | instskip(SKIP_1) | instid1(VALU_DEP_3)
	v_add_co_u32 v10, vcc_lo, v10, v20
	s_wait_alu 0xfffd
	v_add_co_ci_u32_e64 v12, null, 0, v21, vcc_lo
	s_delay_alu instid0(VALU_DEP_2) | instskip(SKIP_1) | instid1(VALU_DEP_2)
	v_add_co_u32 v10, vcc_lo, v10, v22
	s_wait_alu 0xfffd
	v_add_co_ci_u32_e32 v10, vcc_lo, v12, v23, vcc_lo
	s_wait_alu 0xfffd
	v_add_co_ci_u32_e32 v12, vcc_lo, 0, v30, vcc_lo
	s_delay_alu instid0(VALU_DEP_2) | instskip(SKIP_1) | instid1(VALU_DEP_2)
	v_add_co_u32 v10, vcc_lo, v10, v29
	s_wait_alu 0xfffd
	v_add_co_ci_u32_e64 v12, null, 0, v12, vcc_lo
	s_delay_alu instid0(VALU_DEP_2) | instskip(SKIP_1) | instid1(VALU_DEP_3)
	v_mul_lo_u32 v14, s47, v10
	v_mad_co_u64_u32 v[20:21], null, s46, v10, 0
	v_mul_lo_u32 v16, s46, v12
	v_add_co_u32 v18, s2, v10, 2
	s_delay_alu instid0(VALU_DEP_3) | instskip(NEXT) | instid1(VALU_DEP_3)
	v_sub_co_u32 v5, vcc_lo, v5, v20
	v_add3_u32 v14, v21, v16, v14
	s_wait_alu 0xf1ff
	v_add_co_ci_u32_e64 v20, null, 0, v12, s2
	s_delay_alu instid0(VALU_DEP_3) | instskip(NEXT) | instid1(VALU_DEP_3)
	v_sub_co_u32 v21, s2, v5, s46
	v_sub_nc_u32_e32 v16, v8, v14
	s_wait_alu 0xfffd
	v_sub_co_ci_u32_e64 v8, null, v8, v14, vcc_lo
	s_delay_alu instid0(VALU_DEP_2) | instskip(SKIP_2) | instid1(VALU_DEP_2)
	v_subrev_co_ci_u32_e64 v16, null, s47, v16, vcc_lo
	v_cmp_le_u32_e32 vcc_lo, s46, v21
	s_wait_alu 0xf1ff
	v_subrev_co_ci_u32_e64 v16, null, 0, v16, s2
	s_wait_alu 0xfffd
	v_cndmask_b32_e64 v14, 0, -1, vcc_lo
	s_delay_alu instid0(VALU_DEP_2)
	v_cmp_le_u32_e32 vcc_lo, s47, v16
	s_wait_alu 0xfffd
	v_cndmask_b32_e64 v21, 0, -1, vcc_lo
	v_cmp_le_u32_e32 vcc_lo, s46, v5
	s_wait_alu 0xfffd
	v_cndmask_b32_e64 v5, 0, -1, vcc_lo
	;; [unrolled: 3-line block ×3, first 2 shown]
	v_cmp_eq_u32_e32 vcc_lo, s47, v16
	s_wait_alu 0xfffd
	v_cndmask_b32_e32 v14, v21, v14, vcc_lo
	v_add_co_u32 v16, vcc_lo, v10, 1
	s_wait_alu 0xfffd
	v_add_co_ci_u32_e64 v21, null, 0, v12, vcc_lo
	v_cmp_eq_u32_e32 vcc_lo, s47, v8
	s_wait_alu 0xfffd
	v_cndmask_b32_e32 v5, v22, v5, vcc_lo
	v_cmp_ne_u32_e32 vcc_lo, 0, v14
	s_delay_alu instid0(VALU_DEP_2) | instskip(SKIP_3) | instid1(VALU_DEP_1)
	v_cmp_ne_u32_e64 s2, 0, v5
	s_wait_alu 0xfffd
	v_dual_cndmask_b32 v8, v21, v20 :: v_dual_cndmask_b32 v5, v16, v18
	s_wait_alu 0xf1ff
	v_cndmask_b32_e64 v8, v12, v8, s2
	s_delay_alu instid0(VALU_DEP_2) | instskip(NEXT) | instid1(VALU_DEP_2)
	v_cndmask_b32_e64 v5, v10, v5, s2
	v_xor_b32_e32 v8, v8, v3
	s_delay_alu instid0(VALU_DEP_2) | instskip(NEXT) | instid1(VALU_DEP_1)
	v_xor_b32_e32 v5, v5, v3
	v_sub_co_u32 v21, vcc_lo, v5, v3
	s_wait_alu 0xfffd
	s_delay_alu instid0(VALU_DEP_3)
	v_sub_co_ci_u32_e64 v22, null, v8, v3, vcc_lo
.LBB36_48:                              ;   in Loop: Header=BB36_22 Depth=2
	s_wait_alu 0xfffe
	s_and_not1_saveexec_b32 s2, s27
	s_cbranch_execz .LBB36_50
; %bb.49:                               ;   in Loop: Header=BB36_22 Depth=2
	v_cvt_f32_u32_e32 v3, s42
	s_sub_co_i32 s18, 0, s42
	v_mov_b32_e32 v22, v2
	s_delay_alu instid0(VALU_DEP_2) | instskip(NEXT) | instid1(TRANS32_DEP_1)
	v_rcp_iflag_f32_e32 v3, v3
	v_mul_f32_e32 v3, 0x4f7ffffe, v3
	s_delay_alu instid0(VALU_DEP_1) | instskip(SKIP_1) | instid1(VALU_DEP_1)
	v_cvt_u32_f32_e32 v3, v3
	s_wait_alu 0xfffe
	v_mul_lo_u32 v5, s18, v3
	s_delay_alu instid0(VALU_DEP_1) | instskip(NEXT) | instid1(VALU_DEP_1)
	v_mul_hi_u32 v5, v3, v5
	v_add_nc_u32_e32 v3, v3, v5
	s_delay_alu instid0(VALU_DEP_1) | instskip(NEXT) | instid1(VALU_DEP_1)
	v_mul_hi_u32 v3, v19, v3
	v_mul_lo_u32 v5, v3, s42
	s_delay_alu instid0(VALU_DEP_1) | instskip(NEXT) | instid1(VALU_DEP_1)
	v_sub_nc_u32_e32 v5, v19, v5
	v_subrev_nc_u32_e32 v10, s42, v5
	v_cmp_le_u32_e32 vcc_lo, s42, v5
	s_wait_alu 0xfffd
	s_delay_alu instid0(VALU_DEP_2) | instskip(NEXT) | instid1(VALU_DEP_1)
	v_dual_cndmask_b32 v5, v5, v10 :: v_dual_add_nc_u32 v8, 1, v3
	v_cndmask_b32_e32 v3, v3, v8, vcc_lo
	s_delay_alu instid0(VALU_DEP_2) | instskip(NEXT) | instid1(VALU_DEP_2)
	v_cmp_le_u32_e32 vcc_lo, s42, v5
	v_add_nc_u32_e32 v8, 1, v3
	s_wait_alu 0xfffd
	s_delay_alu instid0(VALU_DEP_1)
	v_cndmask_b32_e32 v21, v3, v8, vcc_lo
.LBB36_50:                              ;   in Loop: Header=BB36_22 Depth=2
	s_wait_alu 0xfffe
	s_or_b32 exec_lo, exec_lo, s2
	s_mov_b32 s27, s19
	s_add_nc_u64 s[48:49], s[0:1], s[48:49]
	s_wait_alu 0xfffe
	s_lshl_b64 s[46:47], s[26:27], 2
                                        ; implicit-def: $vgpr23_vgpr24
	s_mov_b32 s2, exec_lo
	s_wait_alu 0xfffe
	s_add_nc_u64 s[44:45], s[10:11], s[46:47]
	s_clause 0x1
	s_load_b32 s27, s[48:49], 0x6c
	s_load_b32 s44, s[44:45], 0x8
	s_wait_kmcnt 0x0
	s_ashr_i32 s45, s44, 31
	s_wait_alu 0xfffe
	v_or_b32_e32 v3, s45, v22
	s_delay_alu instid0(VALU_DEP_1)
	v_cmpx_ne_u64_e32 0, v[2:3]
	s_xor_b32 s41, exec_lo, s2
	s_cbranch_execz .LBB36_52
; %bb.51:                               ;   in Loop: Header=BB36_22 Depth=2
	s_ashr_i32 s48, s45, 31
	v_ashrrev_i32_e32 v3, 31, v22
	s_wait_alu 0xfffe
	s_mov_b32 s49, s48
	s_wait_alu 0xfffe
	s_add_nc_u64 s[50:51], s[44:45], s[48:49]
	v_add_co_u32 v5, vcc_lo, v21, v3
	s_wait_alu 0xfffe
	s_xor_b64 s[50:51], s[50:51], s[48:49]
	s_wait_alu 0xfffd
	v_add_co_ci_u32_e64 v8, null, v22, v3, vcc_lo
	s_wait_alu 0xfffe
	s_cvt_f32_u32 s2, s50
	s_cvt_f32_u32 s18, s51
	s_sub_nc_u64 s[60:61], 0, s[50:51]
	v_xor_b32_e32 v5, v5, v3
	v_xor_b32_e32 v8, v8, v3
	s_wait_alu 0xfffe
	s_fmamk_f32 s2, s18, 0x4f800000, s2
	v_xor_b32_e32 v3, s48, v3
	s_wait_alu 0xfffe
	s_delay_alu instid0(SALU_CYCLE_1) | instskip(NEXT) | instid1(TRANS32_DEP_1)
	v_s_rcp_f32 s2, s2
	s_mul_f32 s2, s2, 0x5f7ffffc
	s_wait_alu 0xfffe
	s_delay_alu instid0(SALU_CYCLE_2) | instskip(SKIP_1) | instid1(SALU_CYCLE_2)
	s_mul_f32 s18, s2, 0x2f800000
	s_wait_alu 0xfffe
	s_trunc_f32 s18, s18
	s_wait_alu 0xfffe
	s_delay_alu instid0(SALU_CYCLE_2) | instskip(SKIP_2) | instid1(SALU_CYCLE_1)
	s_fmamk_f32 s2, s18, 0xcf800000, s2
	s_cvt_u32_f32 s59, s18
	s_wait_alu 0xfffe
	s_cvt_u32_f32 s58, s2
	s_delay_alu instid0(SALU_CYCLE_3) | instskip(NEXT) | instid1(SALU_CYCLE_1)
	s_mul_u64 s[62:63], s[60:61], s[58:59]
	s_mul_hi_u32 s65, s58, s63
	s_mul_i32 s64, s58, s63
	s_mul_hi_u32 s18, s58, s62
	s_mul_i32 s43, s59, s62
	s_wait_alu 0xfffe
	s_add_nc_u64 s[64:65], s[18:19], s[64:65]
	s_mul_hi_u32 s2, s59, s62
	s_mul_hi_u32 s45, s59, s63
	s_add_co_u32 s18, s64, s43
	s_wait_alu 0xfffe
	s_add_co_ci_u32 s18, s65, s2
	s_mul_i32 s62, s59, s63
	s_add_co_ci_u32 s63, s45, 0
	s_wait_alu 0xfffe
	s_add_nc_u64 s[62:63], s[18:19], s[62:63]
	s_delay_alu instid0(SALU_CYCLE_1) | instskip(SKIP_4) | instid1(SALU_CYCLE_1)
	s_add_co_u32 s58, s58, s62
	s_cselect_b32 s2, -1, 0
	s_wait_alu 0xfffe
	s_cmp_lg_u32 s2, 0
	s_add_co_ci_u32 s59, s59, s63
	s_mul_u64 s[60:61], s[60:61], s[58:59]
	s_delay_alu instid0(SALU_CYCLE_1)
	s_mul_hi_u32 s63, s58, s61
	s_mul_i32 s62, s58, s61
	s_mul_hi_u32 s18, s58, s60
	s_mul_i32 s43, s59, s60
	s_wait_alu 0xfffe
	s_add_nc_u64 s[62:63], s[18:19], s[62:63]
	s_mul_hi_u32 s2, s59, s60
	s_mul_hi_u32 s45, s59, s61
	s_add_co_u32 s18, s62, s43
	s_wait_alu 0xfffe
	s_add_co_ci_u32 s18, s63, s2
	s_mul_i32 s60, s59, s61
	s_add_co_ci_u32 s61, s45, 0
	s_wait_alu 0xfffe
	s_add_nc_u64 s[60:61], s[18:19], s[60:61]
	s_delay_alu instid0(SALU_CYCLE_1)
	s_add_co_u32 s2, s58, s60
	s_cselect_b32 s18, -1, 0
	s_wait_alu 0xfffe
	v_mul_hi_u32 v10, v5, s2
	s_cmp_lg_u32 s18, 0
	v_mad_co_u64_u32 v[29:30], null, v8, s2, 0
	s_add_co_ci_u32 s18, s59, s61
	s_wait_alu 0xfffe
	v_mad_co_u64_u32 v[22:23], null, v5, s18, 0
	v_mad_co_u64_u32 v[31:32], null, v8, s18, 0
	s_delay_alu instid0(VALU_DEP_2) | instskip(SKIP_1) | instid1(VALU_DEP_3)
	v_add_co_u32 v10, vcc_lo, v10, v22
	s_wait_alu 0xfffd
	v_add_co_ci_u32_e64 v12, null, 0, v23, vcc_lo
	s_delay_alu instid0(VALU_DEP_2) | instskip(SKIP_1) | instid1(VALU_DEP_2)
	v_add_co_u32 v10, vcc_lo, v10, v29
	s_wait_alu 0xfffd
	v_add_co_ci_u32_e32 v10, vcc_lo, v12, v30, vcc_lo
	s_wait_alu 0xfffd
	v_add_co_ci_u32_e32 v12, vcc_lo, 0, v32, vcc_lo
	s_delay_alu instid0(VALU_DEP_2) | instskip(SKIP_1) | instid1(VALU_DEP_2)
	v_add_co_u32 v10, vcc_lo, v10, v31
	s_wait_alu 0xfffd
	v_add_co_ci_u32_e64 v12, null, 0, v12, vcc_lo
	s_delay_alu instid0(VALU_DEP_2) | instskip(SKIP_1) | instid1(VALU_DEP_3)
	v_mul_lo_u32 v14, s51, v10
	v_mad_co_u64_u32 v[22:23], null, s50, v10, 0
	v_mul_lo_u32 v16, s50, v12
	v_add_co_u32 v18, s2, v10, 2
	s_wait_alu 0xf1ff
	v_add_co_ci_u32_e64 v20, null, 0, v12, s2
	s_delay_alu instid0(VALU_DEP_4) | instskip(NEXT) | instid1(VALU_DEP_4)
	v_sub_co_u32 v5, vcc_lo, v5, v22
	v_add3_u32 v14, v23, v16, v14
	s_delay_alu instid0(VALU_DEP_2) | instskip(NEXT) | instid1(VALU_DEP_2)
	v_sub_co_u32 v22, s2, v5, s50
	v_sub_nc_u32_e32 v16, v8, v14
	s_wait_alu 0xfffd
	v_sub_co_ci_u32_e64 v8, null, v8, v14, vcc_lo
	s_delay_alu instid0(VALU_DEP_2) | instskip(SKIP_2) | instid1(VALU_DEP_2)
	v_subrev_co_ci_u32_e64 v16, null, s51, v16, vcc_lo
	v_cmp_le_u32_e32 vcc_lo, s50, v22
	s_wait_alu 0xf1ff
	v_subrev_co_ci_u32_e64 v16, null, 0, v16, s2
	s_wait_alu 0xfffd
	v_cndmask_b32_e64 v14, 0, -1, vcc_lo
	s_delay_alu instid0(VALU_DEP_2)
	v_cmp_le_u32_e32 vcc_lo, s51, v16
	s_wait_alu 0xfffd
	v_cndmask_b32_e64 v22, 0, -1, vcc_lo
	v_cmp_le_u32_e32 vcc_lo, s50, v5
	s_wait_alu 0xfffd
	v_cndmask_b32_e64 v5, 0, -1, vcc_lo
	;; [unrolled: 3-line block ×3, first 2 shown]
	v_cmp_eq_u32_e32 vcc_lo, s51, v16
	s_wait_alu 0xfffd
	v_cndmask_b32_e32 v14, v22, v14, vcc_lo
	v_add_co_u32 v16, vcc_lo, v10, 1
	s_wait_alu 0xfffd
	v_add_co_ci_u32_e64 v22, null, 0, v12, vcc_lo
	v_cmp_eq_u32_e32 vcc_lo, s51, v8
	s_wait_alu 0xfffd
	v_cndmask_b32_e32 v5, v23, v5, vcc_lo
	v_cmp_ne_u32_e32 vcc_lo, 0, v14
	s_delay_alu instid0(VALU_DEP_2) | instskip(SKIP_3) | instid1(VALU_DEP_1)
	v_cmp_ne_u32_e64 s2, 0, v5
	s_wait_alu 0xfffd
	v_dual_cndmask_b32 v8, v22, v20 :: v_dual_cndmask_b32 v5, v16, v18
	s_wait_alu 0xf1ff
	v_cndmask_b32_e64 v8, v12, v8, s2
	s_delay_alu instid0(VALU_DEP_2) | instskip(NEXT) | instid1(VALU_DEP_2)
	v_cndmask_b32_e64 v5, v10, v5, s2
	v_xor_b32_e32 v8, v8, v3
	s_delay_alu instid0(VALU_DEP_2) | instskip(NEXT) | instid1(VALU_DEP_1)
	v_xor_b32_e32 v5, v5, v3
	v_sub_co_u32 v23, vcc_lo, v5, v3
	s_wait_alu 0xfffd
	s_delay_alu instid0(VALU_DEP_3)
	v_sub_co_ci_u32_e64 v24, null, v8, v3, vcc_lo
.LBB36_52:                              ;   in Loop: Header=BB36_22 Depth=2
	s_wait_alu 0xfffe
	s_and_not1_saveexec_b32 s2, s41
	s_cbranch_execz .LBB36_54
; %bb.53:                               ;   in Loop: Header=BB36_22 Depth=2
	v_cvt_f32_u32_e32 v3, s44
	s_sub_co_i32 s18, 0, s44
	v_mov_b32_e32 v24, v2
	s_delay_alu instid0(VALU_DEP_2) | instskip(NEXT) | instid1(TRANS32_DEP_1)
	v_rcp_iflag_f32_e32 v3, v3
	v_mul_f32_e32 v3, 0x4f7ffffe, v3
	s_delay_alu instid0(VALU_DEP_1) | instskip(SKIP_1) | instid1(VALU_DEP_1)
	v_cvt_u32_f32_e32 v3, v3
	s_wait_alu 0xfffe
	v_mul_lo_u32 v5, s18, v3
	s_delay_alu instid0(VALU_DEP_1) | instskip(NEXT) | instid1(VALU_DEP_1)
	v_mul_hi_u32 v5, v3, v5
	v_add_nc_u32_e32 v3, v3, v5
	s_delay_alu instid0(VALU_DEP_1) | instskip(NEXT) | instid1(VALU_DEP_1)
	v_mul_hi_u32 v3, v21, v3
	v_mul_lo_u32 v5, v3, s44
	s_delay_alu instid0(VALU_DEP_1) | instskip(NEXT) | instid1(VALU_DEP_1)
	v_sub_nc_u32_e32 v5, v21, v5
	v_subrev_nc_u32_e32 v10, s44, v5
	v_cmp_le_u32_e32 vcc_lo, s44, v5
	s_wait_alu 0xfffd
	s_delay_alu instid0(VALU_DEP_2) | instskip(NEXT) | instid1(VALU_DEP_1)
	v_dual_cndmask_b32 v5, v5, v10 :: v_dual_add_nc_u32 v8, 1, v3
	v_cndmask_b32_e32 v3, v3, v8, vcc_lo
	s_delay_alu instid0(VALU_DEP_2) | instskip(NEXT) | instid1(VALU_DEP_2)
	v_cmp_le_u32_e32 vcc_lo, s44, v5
	v_add_nc_u32_e32 v8, 1, v3
	s_wait_alu 0xfffd
	s_delay_alu instid0(VALU_DEP_1)
	v_cndmask_b32_e32 v23, v3, v8, vcc_lo
.LBB36_54:                              ;   in Loop: Header=BB36_22 Depth=2
	s_wait_alu 0xfffe
	s_or_b32 exec_lo, exec_lo, s2
	v_mul_lo_u32 v3, v9, s28
	v_mul_lo_u32 v5, v11, s30
	;; [unrolled: 1-line block ×5, first 2 shown]
	s_add_nc_u64 s[40:41], s[0:1], s[46:47]
	v_mul_lo_u32 v12, v17, s38
	s_load_b32 s2, s[40:41], 0x6c
	v_sub_nc_u32_e32 v3, v7, v3
	v_sub_nc_u32_e32 v5, v9, v5
	;; [unrolled: 1-line block ×4, first 2 shown]
	v_mul_lo_u32 v9, v21, s42
	v_mul_lo_u32 v3, s25, v3
	;; [unrolled: 1-line block ×4, first 2 shown]
	v_sub_nc_u32_e32 v11, v15, v12
	v_sub_nc_u32_e32 v12, v17, v14
	v_mul_lo_u32 v7, s31, v7
	v_mul_lo_u32 v8, s35, v8
	s_add_co_i32 s26, s26, -8
	v_mul_lo_u32 v11, s37, v11
	v_add3_u32 v3, v3, v4, v5
	v_sub_nc_u32_e32 v4, v19, v9
	v_sub_nc_u32_e32 v5, v21, v10
	v_mul_lo_u32 v9, s39, v12
	s_wait_alu 0xfffe
	s_cmp_eq_u32 s26, -8
	v_add3_u32 v3, v7, v3, v8
	v_mul_lo_u32 v4, s27, v4
	s_wait_kmcnt 0x0
	v_mul_lo_u32 v5, s2, v5
	s_delay_alu instid0(VALU_DEP_3) | instskip(NEXT) | instid1(VALU_DEP_1)
	v_add3_u32 v3, v11, v3, v9
	v_add3_u32 v4, v4, v3, v5
	s_cbranch_scc1 .LBB36_56
; %bb.55:                               ;   in Loop: Header=BB36_22 Depth=2
	v_dual_mov_b32 v7, v23 :: v_dual_mov_b32 v8, v24
	s_branch .LBB36_22
.LBB36_56:                              ;   in Loop: Header=BB36_3 Depth=1
	s_load_b32 s2, s[12:13], 0x4
	s_wait_kmcnt 0x0
	v_cmp_gt_i32_e32 vcc_lo, s2, v28
	s_and_b32 exec_lo, exec_lo, vcc_lo
	s_cbranch_execz .LBB36_2
; %bb.57:                               ;   in Loop: Header=BB36_3 Depth=1
	v_ashrrev_i32_e32 v7, 31, v6
	s_mov_b32 s18, exec_lo
	s_delay_alu instid0(VALU_DEP_1)
	v_cmpx_lt_i64_e64 s[4:5], v[6:7]
	s_cbranch_execz .LBB36_59
; %bb.58:                               ;   in Loop: Header=BB36_3 Depth=1
	v_ashrrev_i32_e32 v5, 31, v4
	s_delay_alu instid0(VALU_DEP_1) | instskip(NEXT) | instid1(VALU_DEP_1)
	v_lshlrev_b64_e32 v[5:6], 2, v[4:5]
	v_add_co_u32 v5, vcc_lo, s16, v5
	s_wait_alu 0xfffd
	s_delay_alu instid0(VALU_DEP_2)
	v_add_co_ci_u32_e64 v6, null, s17, v6, vcc_lo
	global_store_b32 v[5:6], v2, off
.LBB36_59:                              ;   in Loop: Header=BB36_3 Depth=1
	s_wait_alu 0xfffe
	s_or_b32 exec_lo, exec_lo, s18
	v_add_nc_u32_e32 v3, 1, v28
	s_delay_alu instid0(VALU_DEP_1)
	v_cmp_gt_i32_e32 vcc_lo, s2, v3
	s_and_b32 exec_lo, exec_lo, vcc_lo
	s_cbranch_execz .LBB36_2
; %bb.60:                               ;   in Loop: Header=BB36_3 Depth=1
	v_sub_nc_u32_e32 v5, v3, v27
	s_delay_alu instid0(VALU_DEP_1) | instskip(NEXT) | instid1(VALU_DEP_1)
	v_ashrrev_i32_e32 v6, 31, v5
	v_cmp_lt_i64_e32 vcc_lo, s[4:5], v[5:6]
	s_and_b32 exec_lo, exec_lo, vcc_lo
	s_cbranch_execz .LBB36_2
; %bb.61:                               ;   in Loop: Header=BB36_3 Depth=1
	v_add_nc_u32_e32 v3, s3, v4
	s_delay_alu instid0(VALU_DEP_1) | instskip(NEXT) | instid1(VALU_DEP_1)
	v_ashrrev_i32_e32 v4, 31, v3
	v_lshlrev_b64_e32 v[3:4], 2, v[3:4]
	s_delay_alu instid0(VALU_DEP_1) | instskip(SKIP_1) | instid1(VALU_DEP_2)
	v_add_co_u32 v3, vcc_lo, s16, v3
	s_wait_alu 0xfffd
	v_add_co_ci_u32_e64 v4, null, s17, v4, vcc_lo
	global_store_b32 v[3:4], v2, off
	s_branch .LBB36_2
.LBB36_62:
	s_endpgm
	.section	.rodata,"a",@progbits
	.p2align	6, 0x0
	.amdhsa_kernel _ZN2at6native16triu_tril_kernelIN3c107complexINS2_4HalfEEEiLb0ELi2ELb1EEEvNS_4cuda6detail10TensorInfoIT_T0_EENS8_IKS9_SA_EEllSA_
		.amdhsa_group_segment_fixed_size 0
		.amdhsa_private_segment_fixed_size 0
		.amdhsa_kernarg_size 712
		.amdhsa_user_sgpr_count 2
		.amdhsa_user_sgpr_dispatch_ptr 0
		.amdhsa_user_sgpr_queue_ptr 0
		.amdhsa_user_sgpr_kernarg_segment_ptr 1
		.amdhsa_user_sgpr_dispatch_id 0
		.amdhsa_user_sgpr_private_segment_size 0
		.amdhsa_wavefront_size32 1
		.amdhsa_uses_dynamic_stack 0
		.amdhsa_enable_private_segment 0
		.amdhsa_system_sgpr_workgroup_id_x 1
		.amdhsa_system_sgpr_workgroup_id_y 0
		.amdhsa_system_sgpr_workgroup_id_z 0
		.amdhsa_system_sgpr_workgroup_info 0
		.amdhsa_system_vgpr_workitem_id 0
		.amdhsa_next_free_vgpr 33
		.amdhsa_next_free_sgpr 66
		.amdhsa_reserve_vcc 1
		.amdhsa_float_round_mode_32 0
		.amdhsa_float_round_mode_16_64 0
		.amdhsa_float_denorm_mode_32 3
		.amdhsa_float_denorm_mode_16_64 3
		.amdhsa_fp16_overflow 0
		.amdhsa_workgroup_processor_mode 1
		.amdhsa_memory_ordered 1
		.amdhsa_forward_progress 1
		.amdhsa_inst_pref_size 96
		.amdhsa_round_robin_scheduling 0
		.amdhsa_exception_fp_ieee_invalid_op 0
		.amdhsa_exception_fp_denorm_src 0
		.amdhsa_exception_fp_ieee_div_zero 0
		.amdhsa_exception_fp_ieee_overflow 0
		.amdhsa_exception_fp_ieee_underflow 0
		.amdhsa_exception_fp_ieee_inexact 0
		.amdhsa_exception_int_div_zero 0
	.end_amdhsa_kernel
	.section	.text._ZN2at6native16triu_tril_kernelIN3c107complexINS2_4HalfEEEiLb0ELi2ELb1EEEvNS_4cuda6detail10TensorInfoIT_T0_EENS8_IKS9_SA_EEllSA_,"axG",@progbits,_ZN2at6native16triu_tril_kernelIN3c107complexINS2_4HalfEEEiLb0ELi2ELb1EEEvNS_4cuda6detail10TensorInfoIT_T0_EENS8_IKS9_SA_EEllSA_,comdat
.Lfunc_end36:
	.size	_ZN2at6native16triu_tril_kernelIN3c107complexINS2_4HalfEEEiLb0ELi2ELb1EEEvNS_4cuda6detail10TensorInfoIT_T0_EENS8_IKS9_SA_EEllSA_, .Lfunc_end36-_ZN2at6native16triu_tril_kernelIN3c107complexINS2_4HalfEEEiLb0ELi2ELb1EEEvNS_4cuda6detail10TensorInfoIT_T0_EENS8_IKS9_SA_EEllSA_
                                        ; -- End function
	.set _ZN2at6native16triu_tril_kernelIN3c107complexINS2_4HalfEEEiLb0ELi2ELb1EEEvNS_4cuda6detail10TensorInfoIT_T0_EENS8_IKS9_SA_EEllSA_.num_vgpr, 33
	.set _ZN2at6native16triu_tril_kernelIN3c107complexINS2_4HalfEEEiLb0ELi2ELb1EEEvNS_4cuda6detail10TensorInfoIT_T0_EENS8_IKS9_SA_EEllSA_.num_agpr, 0
	.set _ZN2at6native16triu_tril_kernelIN3c107complexINS2_4HalfEEEiLb0ELi2ELb1EEEvNS_4cuda6detail10TensorInfoIT_T0_EENS8_IKS9_SA_EEllSA_.numbered_sgpr, 66
	.set _ZN2at6native16triu_tril_kernelIN3c107complexINS2_4HalfEEEiLb0ELi2ELb1EEEvNS_4cuda6detail10TensorInfoIT_T0_EENS8_IKS9_SA_EEllSA_.num_named_barrier, 0
	.set _ZN2at6native16triu_tril_kernelIN3c107complexINS2_4HalfEEEiLb0ELi2ELb1EEEvNS_4cuda6detail10TensorInfoIT_T0_EENS8_IKS9_SA_EEllSA_.private_seg_size, 0
	.set _ZN2at6native16triu_tril_kernelIN3c107complexINS2_4HalfEEEiLb0ELi2ELb1EEEvNS_4cuda6detail10TensorInfoIT_T0_EENS8_IKS9_SA_EEllSA_.uses_vcc, 1
	.set _ZN2at6native16triu_tril_kernelIN3c107complexINS2_4HalfEEEiLb0ELi2ELb1EEEvNS_4cuda6detail10TensorInfoIT_T0_EENS8_IKS9_SA_EEllSA_.uses_flat_scratch, 0
	.set _ZN2at6native16triu_tril_kernelIN3c107complexINS2_4HalfEEEiLb0ELi2ELb1EEEvNS_4cuda6detail10TensorInfoIT_T0_EENS8_IKS9_SA_EEllSA_.has_dyn_sized_stack, 0
	.set _ZN2at6native16triu_tril_kernelIN3c107complexINS2_4HalfEEEiLb0ELi2ELb1EEEvNS_4cuda6detail10TensorInfoIT_T0_EENS8_IKS9_SA_EEllSA_.has_recursion, 0
	.set _ZN2at6native16triu_tril_kernelIN3c107complexINS2_4HalfEEEiLb0ELi2ELb1EEEvNS_4cuda6detail10TensorInfoIT_T0_EENS8_IKS9_SA_EEllSA_.has_indirect_call, 0
	.section	.AMDGPU.csdata,"",@progbits
; Kernel info:
; codeLenInByte = 12228
; TotalNumSgprs: 68
; NumVgprs: 33
; ScratchSize: 0
; MemoryBound: 0
; FloatMode: 240
; IeeeMode: 1
; LDSByteSize: 0 bytes/workgroup (compile time only)
; SGPRBlocks: 0
; VGPRBlocks: 4
; NumSGPRsForWavesPerEU: 68
; NumVGPRsForWavesPerEU: 33
; Occupancy: 16
; WaveLimiterHint : 0
; COMPUTE_PGM_RSRC2:SCRATCH_EN: 0
; COMPUTE_PGM_RSRC2:USER_SGPR: 2
; COMPUTE_PGM_RSRC2:TRAP_HANDLER: 0
; COMPUTE_PGM_RSRC2:TGID_X_EN: 1
; COMPUTE_PGM_RSRC2:TGID_Y_EN: 0
; COMPUTE_PGM_RSRC2:TGID_Z_EN: 0
; COMPUTE_PGM_RSRC2:TIDIG_COMP_CNT: 0
	.section	.text._ZN2at6native16triu_tril_kernelIN3c107complexINS2_4HalfEEEiLb0ELi2ELb0EEEvNS_4cuda6detail10TensorInfoIT_T0_EENS8_IKS9_SA_EEllSA_,"axG",@progbits,_ZN2at6native16triu_tril_kernelIN3c107complexINS2_4HalfEEEiLb0ELi2ELb0EEEvNS_4cuda6detail10TensorInfoIT_T0_EENS8_IKS9_SA_EEllSA_,comdat
	.protected	_ZN2at6native16triu_tril_kernelIN3c107complexINS2_4HalfEEEiLb0ELi2ELb0EEEvNS_4cuda6detail10TensorInfoIT_T0_EENS8_IKS9_SA_EEllSA_ ; -- Begin function _ZN2at6native16triu_tril_kernelIN3c107complexINS2_4HalfEEEiLb0ELi2ELb0EEEvNS_4cuda6detail10TensorInfoIT_T0_EENS8_IKS9_SA_EEllSA_
	.globl	_ZN2at6native16triu_tril_kernelIN3c107complexINS2_4HalfEEEiLb0ELi2ELb0EEEvNS_4cuda6detail10TensorInfoIT_T0_EENS8_IKS9_SA_EEllSA_
	.p2align	8
	.type	_ZN2at6native16triu_tril_kernelIN3c107complexINS2_4HalfEEEiLb0ELi2ELb0EEEvNS_4cuda6detail10TensorInfoIT_T0_EENS8_IKS9_SA_EEllSA_,@function
_ZN2at6native16triu_tril_kernelIN3c107complexINS2_4HalfEEEiLb0ELi2ELb0EEEvNS_4cuda6detail10TensorInfoIT_T0_EENS8_IKS9_SA_EEllSA_: ; @_ZN2at6native16triu_tril_kernelIN3c107complexINS2_4HalfEEEiLb0ELi2ELb0EEEvNS_4cuda6detail10TensorInfoIT_T0_EENS8_IKS9_SA_EEllSA_
; %bb.0:
	s_clause 0x1
	s_load_b32 s2, s[0:1], 0x1d4
	s_load_b128 s[4:7], s[0:1], 0x1b0
	v_mov_b32_e32 v2, 0
	s_delay_alu instid0(VALU_DEP_1) | instskip(SKIP_3) | instid1(VALU_DEP_1)
	v_mov_b32_e32 v1, v2
	s_wait_kmcnt 0x0
	s_and_b32 s21, s2, 0xffff
	s_mov_b32 s2, exec_lo
	v_mad_co_u64_u32 v[0:1], null, s21, ttmp9, v[0:1]
	s_delay_alu instid0(VALU_DEP_1) | instskip(NEXT) | instid1(VALU_DEP_1)
	v_lshlrev_b64_e32 v[0:1], 1, v[0:1]
	v_cmpx_gt_i64_e64 s[6:7], v[0:1]
	s_cbranch_execz .LBB37_47
; %bb.1:
	s_clause 0x2
	s_load_b32 s24, s[0:1], 0x1a8
	s_load_b32 s8, s[0:1], 0x1c0
	s_load_b64 s[10:11], s[0:1], 0xd8
	s_add_nc_u64 s[12:13], s[0:1], 0xd8
	s_add_nc_u64 s[14:15], s[0:1], 0x1c8
	s_load_b32 s26, s[14:15], 0x0
	s_load_b64 s[14:15], s[0:1], 0x0
	s_wait_kmcnt 0x0
	s_ashr_i32 s25, s24, 31
	v_cvt_f32_u32_e32 v3, s8
	s_lshl_b64 s[16:17], s[24:25], 2
	s_and_b32 s48, s24, 3
	s_add_nc_u64 s[18:19], s[12:13], s[16:17]
	s_add_nc_u64 s[22:23], s[0:1], s[16:17]
	s_load_b64 s[2:3], s[18:19], 0x0
	v_rcp_iflag_f32_e32 v3, v3
	s_clause 0x1
	s_load_b64 s[16:17], s[18:19], 0x64
	s_load_b64 s[18:19], s[22:23], 0x64
	s_mul_i32 s26, s26, s21
	s_ashr_i32 s9, s8, 31
	s_add_co_i32 s33, s24, -3
	s_lshl_b32 s50, s26, 1
	v_cmp_gt_i64_e64 s49, s[24:25], 2
	s_mov_b32 s23, 0
	v_mul_f32_e32 v3, 0x4f7ffffe, v3
	s_delay_alu instid0(VALU_DEP_1)
	v_cvt_u32_f32_e32 v18, v3
	s_wait_kmcnt 0x0
	s_mov_b32 s20, s2
	s_ashr_i32 s21, s2, 31
	s_wait_alu 0xfffe
	v_cvt_f32_u32_e32 v4, s20
	s_cmp_lg_u32 s48, 2
	s_mov_b32 s24, s17
	s_cselect_b32 s51, -1, 0
	s_cmp_gt_u32 s33, 2
	v_rcp_iflag_f32_e32 v4, v4
	s_cselect_b32 s52, -1, 0
	s_ashr_i32 s25, s17, 31
	s_ashr_i32 s27, s19, 31
	s_mov_b32 s26, s19
	s_ashr_i32 s28, s9, 31
	s_mov_b32 s17, 0
	s_delay_alu instid0(TRANS32_DEP_1) | instskip(NEXT) | instid1(VALU_DEP_1)
	v_mul_f32_e32 v3, 0x4f7ffffe, v4
	v_cvt_u32_f32_e32 v19, v3
	s_branch .LBB37_3
.LBB37_2:                               ;   in Loop: Header=BB37_3 Depth=1
	s_wait_alu 0xfffe
	s_or_b32 exec_lo, exec_lo, s2
	v_add_co_u32 v0, vcc_lo, v0, s50
	s_wait_alu 0xfffd
	v_add_co_ci_u32_e64 v1, null, 0, v1, vcc_lo
	s_delay_alu instid0(VALU_DEP_1)
	v_cmp_le_i64_e32 vcc_lo, s[6:7], v[0:1]
	s_or_b32 s17, vcc_lo, s17
	s_wait_alu 0xfffe
	s_and_not1_b32 exec_lo, exec_lo, s17
	s_cbranch_execz .LBB37_47
.LBB37_3:                               ; =>This Loop Header: Depth=1
                                        ;     Child Loop BB37_15 Depth 2
                                        ;     Child Loop BB37_20 Depth 2
	v_or_b32_e32 v3, s9, v1
                                        ; implicit-def: $vgpr4_vgpr5
	s_mov_b32 s2, exec_lo
	s_delay_alu instid0(VALU_DEP_1)
	v_cmpx_ne_u64_e32 0, v[2:3]
	s_wait_alu 0xfffe
	s_xor_b32 s19, exec_lo, s2
	s_cbranch_execz .LBB37_5
; %bb.4:                                ;   in Loop: Header=BB37_3 Depth=1
	s_mov_b32 s29, s28
	v_ashrrev_i32_e32 v9, 31, v1
	s_wait_alu 0xfffe
	s_add_nc_u64 s[30:31], s[8:9], s[28:29]
	s_wait_alu 0xfffe
	s_xor_b64 s[30:31], s[30:31], s[28:29]
	v_add_co_u32 v3, vcc_lo, v0, v9
	s_wait_alu 0xfffe
	s_cvt_f32_u32 s2, s30
	s_cvt_f32_u32 s22, s31
	s_sub_nc_u64 s[36:37], 0, s[30:31]
	s_wait_alu 0xfffd
	v_add_co_ci_u32_e64 v4, null, v1, v9, vcc_lo
	s_wait_alu 0xfffe
	s_fmamk_f32 s2, s22, 0x4f800000, s2
	v_xor_b32_e32 v10, v3, v9
	s_delay_alu instid0(VALU_DEP_2) | instskip(SKIP_2) | instid1(TRANS32_DEP_1)
	v_xor_b32_e32 v11, v4, v9
	s_wait_alu 0xfffe
	v_s_rcp_f32 s2, s2
	s_mul_f32 s2, s2, 0x5f7ffffc
	s_wait_alu 0xfffe
	s_delay_alu instid0(SALU_CYCLE_2) | instskip(SKIP_1) | instid1(SALU_CYCLE_2)
	s_mul_f32 s22, s2, 0x2f800000
	s_wait_alu 0xfffe
	s_trunc_f32 s22, s22
	s_wait_alu 0xfffe
	s_delay_alu instid0(SALU_CYCLE_2) | instskip(SKIP_2) | instid1(SALU_CYCLE_1)
	s_fmamk_f32 s2, s22, 0xcf800000, s2
	s_cvt_u32_f32 s35, s22
	s_wait_alu 0xfffe
	s_cvt_u32_f32 s34, s2
	s_wait_alu 0xfffe
	s_delay_alu instid0(SALU_CYCLE_2)
	s_mul_u64 s[38:39], s[36:37], s[34:35]
	s_wait_alu 0xfffe
	s_mul_hi_u32 s41, s34, s39
	s_mul_i32 s40, s34, s39
	s_mul_hi_u32 s22, s34, s38
	s_mul_i32 s29, s35, s38
	s_wait_alu 0xfffe
	s_add_nc_u64 s[40:41], s[22:23], s[40:41]
	s_mul_hi_u32 s2, s35, s38
	s_mul_hi_u32 s42, s35, s39
	s_wait_alu 0xfffe
	s_add_co_u32 s22, s40, s29
	s_add_co_ci_u32 s22, s41, s2
	s_mul_i32 s38, s35, s39
	s_add_co_ci_u32 s39, s42, 0
	s_wait_alu 0xfffe
	s_add_nc_u64 s[38:39], s[22:23], s[38:39]
	s_wait_alu 0xfffe
	s_add_co_u32 s34, s34, s38
	s_cselect_b32 s2, -1, 0
	s_wait_alu 0xfffe
	s_cmp_lg_u32 s2, 0
	s_add_co_ci_u32 s35, s35, s39
	s_wait_alu 0xfffe
	s_mul_u64 s[36:37], s[36:37], s[34:35]
	s_wait_alu 0xfffe
	s_mul_hi_u32 s39, s34, s37
	s_mul_i32 s38, s34, s37
	s_mul_hi_u32 s22, s34, s36
	s_mul_i32 s29, s35, s36
	s_wait_alu 0xfffe
	s_add_nc_u64 s[38:39], s[22:23], s[38:39]
	s_mul_hi_u32 s2, s35, s36
	s_mul_hi_u32 s40, s35, s37
	s_wait_alu 0xfffe
	s_add_co_u32 s22, s38, s29
	s_add_co_ci_u32 s22, s39, s2
	s_mul_i32 s36, s35, s37
	s_add_co_ci_u32 s37, s40, 0
	s_wait_alu 0xfffe
	s_add_nc_u64 s[36:37], s[22:23], s[36:37]
	s_wait_alu 0xfffe
	s_add_co_u32 s2, s34, s36
	s_cselect_b32 s22, -1, 0
	s_wait_alu 0xfffe
	v_mul_hi_u32 v12, v10, s2
	s_cmp_lg_u32 s22, 0
	v_mad_co_u64_u32 v[5:6], null, v11, s2, 0
	s_add_co_ci_u32 s22, s35, s37
	s_wait_alu 0xfffe
	v_mad_co_u64_u32 v[3:4], null, v10, s22, 0
	v_mad_co_u64_u32 v[7:8], null, v11, s22, 0
	s_delay_alu instid0(VALU_DEP_2) | instskip(SKIP_1) | instid1(VALU_DEP_3)
	v_add_co_u32 v3, vcc_lo, v12, v3
	s_wait_alu 0xfffd
	v_add_co_ci_u32_e64 v4, null, 0, v4, vcc_lo
	s_delay_alu instid0(VALU_DEP_2) | instskip(SKIP_1) | instid1(VALU_DEP_2)
	v_add_co_u32 v3, vcc_lo, v3, v5
	s_wait_alu 0xfffd
	v_add_co_ci_u32_e32 v3, vcc_lo, v4, v6, vcc_lo
	s_wait_alu 0xfffd
	v_add_co_ci_u32_e32 v4, vcc_lo, 0, v8, vcc_lo
	s_delay_alu instid0(VALU_DEP_2) | instskip(SKIP_1) | instid1(VALU_DEP_2)
	v_add_co_u32 v5, vcc_lo, v3, v7
	s_wait_alu 0xfffd
	v_add_co_ci_u32_e64 v6, null, 0, v4, vcc_lo
	s_delay_alu instid0(VALU_DEP_2) | instskip(SKIP_1) | instid1(VALU_DEP_3)
	v_mul_lo_u32 v7, s31, v5
	v_mad_co_u64_u32 v[3:4], null, s30, v5, 0
	v_mul_lo_u32 v8, s30, v6
	s_delay_alu instid0(VALU_DEP_2) | instskip(NEXT) | instid1(VALU_DEP_2)
	v_sub_co_u32 v3, vcc_lo, v10, v3
	v_add3_u32 v4, v4, v8, v7
	v_add_co_u32 v8, s2, v5, 2
	s_wait_alu 0xf1ff
	v_add_co_ci_u32_e64 v10, null, 0, v6, s2
	s_delay_alu instid0(VALU_DEP_3) | instskip(SKIP_3) | instid1(VALU_DEP_3)
	v_sub_nc_u32_e32 v7, v11, v4
	v_sub_co_u32 v12, s2, v3, s30
	s_wait_alu 0xfffd
	v_sub_co_ci_u32_e64 v4, null, v11, v4, vcc_lo
	v_subrev_co_ci_u32_e64 v7, null, s31, v7, vcc_lo
	s_delay_alu instid0(VALU_DEP_3) | instskip(SKIP_1) | instid1(VALU_DEP_2)
	v_cmp_le_u32_e32 vcc_lo, s30, v12
	s_wait_alu 0xf1ff
	v_subrev_co_ci_u32_e64 v7, null, 0, v7, s2
	s_wait_alu 0xfffd
	v_cndmask_b32_e64 v11, 0, -1, vcc_lo
	s_delay_alu instid0(VALU_DEP_2)
	v_cmp_le_u32_e32 vcc_lo, s31, v7
	s_wait_alu 0xfffd
	v_cndmask_b32_e64 v12, 0, -1, vcc_lo
	v_cmp_le_u32_e32 vcc_lo, s30, v3
	s_wait_alu 0xfffd
	v_cndmask_b32_e64 v3, 0, -1, vcc_lo
	;; [unrolled: 3-line block ×3, first 2 shown]
	v_cmp_eq_u32_e32 vcc_lo, s31, v7
	s_wait_alu 0xfffd
	v_cndmask_b32_e32 v7, v12, v11, vcc_lo
	v_add_co_u32 v11, vcc_lo, v5, 1
	s_wait_alu 0xfffd
	v_add_co_ci_u32_e64 v12, null, 0, v6, vcc_lo
	v_cmp_eq_u32_e32 vcc_lo, s31, v4
	s_wait_alu 0xfffd
	v_cndmask_b32_e32 v3, v13, v3, vcc_lo
	v_cmp_ne_u32_e32 vcc_lo, 0, v7
	v_xor_b32_e32 v7, s28, v9
	s_wait_alu 0xfffd
	v_cndmask_b32_e32 v4, v12, v10, vcc_lo
	v_cmp_ne_u32_e64 s2, 0, v3
	v_cndmask_b32_e32 v3, v11, v8, vcc_lo
	s_wait_alu 0xf1ff
	s_delay_alu instid0(VALU_DEP_2) | instskip(NEXT) | instid1(VALU_DEP_2)
	v_cndmask_b32_e64 v4, v6, v4, s2
	v_cndmask_b32_e64 v3, v5, v3, s2
	s_delay_alu instid0(VALU_DEP_2) | instskip(NEXT) | instid1(VALU_DEP_2)
	v_xor_b32_e32 v5, v4, v7
	v_xor_b32_e32 v3, v3, v7
	s_delay_alu instid0(VALU_DEP_1) | instskip(SKIP_1) | instid1(VALU_DEP_3)
	v_sub_co_u32 v4, vcc_lo, v3, v7
	s_wait_alu 0xfffd
	v_sub_co_ci_u32_e64 v5, null, v5, v7, vcc_lo
.LBB37_5:                               ;   in Loop: Header=BB37_3 Depth=1
	s_wait_alu 0xfffe
	s_and_not1_saveexec_b32 s2, s19
	s_cbranch_execz .LBB37_7
; %bb.6:                                ;   in Loop: Header=BB37_3 Depth=1
	s_sub_co_i32 s19, 0, s8
	s_wait_alu 0xfffe
	v_mul_lo_u32 v3, s19, v18
	s_delay_alu instid0(VALU_DEP_1) | instskip(NEXT) | instid1(VALU_DEP_1)
	v_mul_hi_u32 v3, v18, v3
	v_add_nc_u32_e32 v3, v18, v3
	s_delay_alu instid0(VALU_DEP_1) | instskip(NEXT) | instid1(VALU_DEP_1)
	v_mul_hi_u32 v3, v0, v3
	v_mul_lo_u32 v4, v3, s8
	v_add_nc_u32_e32 v5, 1, v3
	s_delay_alu instid0(VALU_DEP_2) | instskip(NEXT) | instid1(VALU_DEP_1)
	v_sub_nc_u32_e32 v4, v0, v4
	v_subrev_nc_u32_e32 v6, s8, v4
	v_cmp_le_u32_e32 vcc_lo, s8, v4
	s_wait_alu 0xfffd
	s_delay_alu instid0(VALU_DEP_2) | instskip(NEXT) | instid1(VALU_DEP_1)
	v_dual_cndmask_b32 v4, v4, v6 :: v_dual_cndmask_b32 v3, v3, v5
	v_cmp_le_u32_e32 vcc_lo, s8, v4
	s_delay_alu instid0(VALU_DEP_2) | instskip(SKIP_1) | instid1(VALU_DEP_1)
	v_add_nc_u32_e32 v5, 1, v3
	s_wait_alu 0xfffd
	v_dual_cndmask_b32 v4, v3, v5 :: v_dual_mov_b32 v5, v2
.LBB37_7:                               ;   in Loop: Header=BB37_3 Depth=1
	s_wait_alu 0xfffe
	s_or_b32 exec_lo, exec_lo, s2
	s_delay_alu instid0(VALU_DEP_1) | instskip(SKIP_1) | instid1(VALU_DEP_1)
	v_or_b32_e32 v3, s21, v5
                                        ; implicit-def: $vgpr8_vgpr9
	s_mov_b32 s2, exec_lo
	v_cmpx_ne_u64_e32 0, v[2:3]
	s_wait_alu 0xfffe
	s_xor_b32 s19, exec_lo, s2
	s_cbranch_execz .LBB37_9
; %bb.8:                                ;   in Loop: Header=BB37_3 Depth=1
	s_ashr_i32 s30, s21, 31
	v_ashrrev_i32_e32 v3, 31, v5
	s_wait_alu 0xfffe
	s_mov_b32 s31, s30
	s_wait_alu 0xfffe
	s_add_nc_u64 s[34:35], s[20:21], s[30:31]
	v_add_co_u32 v6, vcc_lo, v4, v3
	s_wait_alu 0xfffe
	s_xor_b64 s[34:35], s[34:35], s[30:31]
	s_wait_alu 0xfffd
	v_add_co_ci_u32_e64 v5, null, v5, v3, vcc_lo
	s_wait_alu 0xfffe
	s_cvt_f32_u32 s2, s34
	s_cvt_f32_u32 s22, s35
	s_sub_nc_u64 s[38:39], 0, s[34:35]
	v_xor_b32_e32 v11, v6, v3
	v_xor_b32_e32 v12, v5, v3
	s_wait_alu 0xfffe
	s_fmamk_f32 s2, s22, 0x4f800000, s2
	v_xor_b32_e32 v3, s30, v3
	s_wait_alu 0xfffe
	s_delay_alu instid0(SALU_CYCLE_1) | instskip(NEXT) | instid1(TRANS32_DEP_1)
	v_s_rcp_f32 s2, s2
	s_mul_f32 s2, s2, 0x5f7ffffc
	s_wait_alu 0xfffe
	s_delay_alu instid0(SALU_CYCLE_2) | instskip(SKIP_1) | instid1(SALU_CYCLE_2)
	s_mul_f32 s22, s2, 0x2f800000
	s_wait_alu 0xfffe
	s_trunc_f32 s22, s22
	s_wait_alu 0xfffe
	s_delay_alu instid0(SALU_CYCLE_2) | instskip(SKIP_2) | instid1(SALU_CYCLE_1)
	s_fmamk_f32 s2, s22, 0xcf800000, s2
	s_cvt_u32_f32 s37, s22
	s_wait_alu 0xfffe
	s_cvt_u32_f32 s36, s2
	s_wait_alu 0xfffe
	s_delay_alu instid0(SALU_CYCLE_2)
	s_mul_u64 s[40:41], s[38:39], s[36:37]
	s_wait_alu 0xfffe
	s_mul_hi_u32 s43, s36, s41
	s_mul_i32 s42, s36, s41
	s_mul_hi_u32 s22, s36, s40
	s_mul_i32 s29, s37, s40
	s_wait_alu 0xfffe
	s_add_nc_u64 s[42:43], s[22:23], s[42:43]
	s_mul_hi_u32 s2, s37, s40
	s_mul_hi_u32 s31, s37, s41
	s_wait_alu 0xfffe
	s_add_co_u32 s22, s42, s29
	s_add_co_ci_u32 s22, s43, s2
	s_mul_i32 s40, s37, s41
	s_add_co_ci_u32 s41, s31, 0
	s_wait_alu 0xfffe
	s_add_nc_u64 s[40:41], s[22:23], s[40:41]
	s_wait_alu 0xfffe
	s_add_co_u32 s36, s36, s40
	s_cselect_b32 s2, -1, 0
	s_wait_alu 0xfffe
	s_cmp_lg_u32 s2, 0
	s_add_co_ci_u32 s37, s37, s41
	s_wait_alu 0xfffe
	s_mul_u64 s[38:39], s[38:39], s[36:37]
	s_wait_alu 0xfffe
	s_mul_hi_u32 s41, s36, s39
	s_mul_i32 s40, s36, s39
	s_mul_hi_u32 s22, s36, s38
	s_mul_i32 s29, s37, s38
	s_wait_alu 0xfffe
	s_add_nc_u64 s[40:41], s[22:23], s[40:41]
	s_mul_hi_u32 s2, s37, s38
	s_mul_hi_u32 s31, s37, s39
	s_wait_alu 0xfffe
	s_add_co_u32 s22, s40, s29
	s_add_co_ci_u32 s22, s41, s2
	s_mul_i32 s38, s37, s39
	s_add_co_ci_u32 s39, s31, 0
	s_wait_alu 0xfffe
	s_add_nc_u64 s[38:39], s[22:23], s[38:39]
	s_wait_alu 0xfffe
	s_add_co_u32 s2, s36, s38
	s_cselect_b32 s22, -1, 0
	s_wait_alu 0xfffe
	v_mul_hi_u32 v13, v11, s2
	s_cmp_lg_u32 s22, 0
	v_mad_co_u64_u32 v[7:8], null, v12, s2, 0
	s_add_co_ci_u32 s22, s37, s39
	s_wait_alu 0xfffe
	v_mad_co_u64_u32 v[5:6], null, v11, s22, 0
	v_mad_co_u64_u32 v[9:10], null, v12, s22, 0
	s_delay_alu instid0(VALU_DEP_2) | instskip(SKIP_1) | instid1(VALU_DEP_3)
	v_add_co_u32 v5, vcc_lo, v13, v5
	s_wait_alu 0xfffd
	v_add_co_ci_u32_e64 v6, null, 0, v6, vcc_lo
	s_delay_alu instid0(VALU_DEP_2) | instskip(SKIP_1) | instid1(VALU_DEP_2)
	v_add_co_u32 v5, vcc_lo, v5, v7
	s_wait_alu 0xfffd
	v_add_co_ci_u32_e32 v5, vcc_lo, v6, v8, vcc_lo
	s_wait_alu 0xfffd
	v_add_co_ci_u32_e32 v6, vcc_lo, 0, v10, vcc_lo
	s_delay_alu instid0(VALU_DEP_2) | instskip(SKIP_1) | instid1(VALU_DEP_2)
	v_add_co_u32 v7, vcc_lo, v5, v9
	s_wait_alu 0xfffd
	v_add_co_ci_u32_e64 v8, null, 0, v6, vcc_lo
	s_delay_alu instid0(VALU_DEP_2) | instskip(SKIP_1) | instid1(VALU_DEP_3)
	v_mul_lo_u32 v9, s35, v7
	v_mad_co_u64_u32 v[5:6], null, s34, v7, 0
	v_mul_lo_u32 v10, s34, v8
	s_delay_alu instid0(VALU_DEP_2) | instskip(NEXT) | instid1(VALU_DEP_2)
	v_sub_co_u32 v5, vcc_lo, v11, v5
	v_add3_u32 v6, v6, v10, v9
	v_add_co_u32 v10, s2, v7, 2
	s_wait_alu 0xf1ff
	v_add_co_ci_u32_e64 v11, null, 0, v8, s2
	s_delay_alu instid0(VALU_DEP_3) | instskip(SKIP_3) | instid1(VALU_DEP_3)
	v_sub_nc_u32_e32 v9, v12, v6
	v_sub_co_u32 v13, s2, v5, s34
	s_wait_alu 0xfffd
	v_sub_co_ci_u32_e64 v6, null, v12, v6, vcc_lo
	v_subrev_co_ci_u32_e64 v9, null, s35, v9, vcc_lo
	s_delay_alu instid0(VALU_DEP_3) | instskip(SKIP_1) | instid1(VALU_DEP_2)
	v_cmp_le_u32_e32 vcc_lo, s34, v13
	s_wait_alu 0xf1ff
	v_subrev_co_ci_u32_e64 v9, null, 0, v9, s2
	s_wait_alu 0xfffd
	v_cndmask_b32_e64 v12, 0, -1, vcc_lo
	s_delay_alu instid0(VALU_DEP_2)
	v_cmp_le_u32_e32 vcc_lo, s35, v9
	s_wait_alu 0xfffd
	v_cndmask_b32_e64 v13, 0, -1, vcc_lo
	v_cmp_le_u32_e32 vcc_lo, s34, v5
	s_wait_alu 0xfffd
	v_cndmask_b32_e64 v5, 0, -1, vcc_lo
	;; [unrolled: 3-line block ×3, first 2 shown]
	v_cmp_eq_u32_e32 vcc_lo, s35, v9
	s_wait_alu 0xfffd
	v_cndmask_b32_e32 v9, v13, v12, vcc_lo
	v_add_co_u32 v12, vcc_lo, v7, 1
	s_wait_alu 0xfffd
	v_add_co_ci_u32_e64 v13, null, 0, v8, vcc_lo
	v_cmp_eq_u32_e32 vcc_lo, s35, v6
	s_wait_alu 0xfffd
	v_cndmask_b32_e32 v5, v14, v5, vcc_lo
	v_cmp_ne_u32_e32 vcc_lo, 0, v9
	s_wait_alu 0xfffd
	v_cndmask_b32_e32 v6, v13, v11, vcc_lo
	s_delay_alu instid0(VALU_DEP_3) | instskip(SKIP_2) | instid1(VALU_DEP_2)
	v_cmp_ne_u32_e64 s2, 0, v5
	v_cndmask_b32_e32 v5, v12, v10, vcc_lo
	s_wait_alu 0xf1ff
	v_cndmask_b32_e64 v6, v8, v6, s2
	s_delay_alu instid0(VALU_DEP_2) | instskip(NEXT) | instid1(VALU_DEP_2)
	v_cndmask_b32_e64 v5, v7, v5, s2
	v_xor_b32_e32 v6, v6, v3
	s_delay_alu instid0(VALU_DEP_2) | instskip(NEXT) | instid1(VALU_DEP_1)
	v_xor_b32_e32 v5, v5, v3
	v_sub_co_u32 v8, vcc_lo, v5, v3
	s_wait_alu 0xfffd
	s_delay_alu instid0(VALU_DEP_3)
	v_sub_co_ci_u32_e64 v9, null, v6, v3, vcc_lo
.LBB37_9:                               ;   in Loop: Header=BB37_3 Depth=1
	s_wait_alu 0xfffe
	s_and_not1_saveexec_b32 s2, s19
	s_cbranch_execz .LBB37_11
; %bb.10:                               ;   in Loop: Header=BB37_3 Depth=1
	s_sub_co_i32 s19, 0, s20
	v_mov_b32_e32 v9, v2
	s_wait_alu 0xfffe
	v_mul_lo_u32 v3, s19, v19
	s_delay_alu instid0(VALU_DEP_1) | instskip(NEXT) | instid1(VALU_DEP_1)
	v_mul_hi_u32 v3, v19, v3
	v_add_nc_u32_e32 v3, v19, v3
	s_delay_alu instid0(VALU_DEP_1) | instskip(NEXT) | instid1(VALU_DEP_1)
	v_mul_hi_u32 v3, v4, v3
	v_mul_lo_u32 v5, v3, s20
	v_add_nc_u32_e32 v6, 1, v3
	s_delay_alu instid0(VALU_DEP_2) | instskip(NEXT) | instid1(VALU_DEP_1)
	v_sub_nc_u32_e32 v5, v4, v5
	v_cmp_le_u32_e32 vcc_lo, s20, v5
	v_subrev_nc_u32_e32 v7, s20, v5
	s_wait_alu 0xfffd
	v_cndmask_b32_e32 v3, v3, v6, vcc_lo
	s_delay_alu instid0(VALU_DEP_1) | instskip(NEXT) | instid1(VALU_DEP_3)
	v_add_nc_u32_e32 v6, 1, v3
	v_cndmask_b32_e32 v5, v5, v7, vcc_lo
	s_delay_alu instid0(VALU_DEP_1) | instskip(SKIP_1) | instid1(VALU_DEP_3)
	v_cmp_le_u32_e32 vcc_lo, s20, v5
	s_wait_alu 0xfffd
	v_cndmask_b32_e32 v8, v3, v6, vcc_lo
.LBB37_11:                              ;   in Loop: Header=BB37_3 Depth=1
	s_wait_alu 0xfffe
	s_or_b32 exec_lo, exec_lo, s2
	v_mad_co_u64_u32 v[5:6], null, v4, s8, 0
	s_delay_alu instid0(VALU_DEP_2) | instskip(SKIP_3) | instid1(VALU_DEP_2)
	v_mad_co_u64_u32 v[6:7], null, v8, s20, 0
	s_and_not1_b32 vcc_lo, exec_lo, s49
	v_sub_co_u32 v20, null, v0, v5
	v_sub_co_u32 v21, null, v4, v6
	v_mul_lo_u32 v3, s24, v20
	v_mul_lo_u32 v5, s26, v20
	s_delay_alu instid0(VALU_DEP_2) | instskip(NEXT) | instid1(VALU_DEP_1)
	v_mad_co_u64_u32 v[6:7], null, s16, v21, v[3:4]
	v_mad_co_u64_u32 v[4:5], null, s18, v21, v[5:6]
	s_wait_alu 0xfffe
	s_cbranch_vccnz .LBB37_38
; %bb.12:                               ;   in Loop: Header=BB37_3 Depth=1
	s_mov_b32 s19, 1
	s_and_not1_b32 vcc_lo, exec_lo, s51
	s_mov_b32 s22, s33
	s_mov_b32 s2, s33
	s_wait_alu 0xfffe
	s_cbranch_vccz .LBB37_15
; %bb.13:                               ;   in Loop: Header=BB37_3 Depth=1
	s_and_b32 vcc_lo, exec_lo, s52
	s_mov_b32 s22, s2
	s_wait_alu 0xfffe
	s_cbranch_vccnz .LBB37_20
	s_branch .LBB37_38
.LBB37_14:                              ;   in Loop: Header=BB37_15 Depth=2
	s_wait_alu 0xfffe
	s_or_b32 exec_lo, exec_lo, s2
	s_add_nc_u64 s[36:37], s[0:1], s[36:37]
	s_clause 0x1
	s_load_b32 s2, s[34:35], 0x6c
	s_load_b32 s29, s[36:37], 0x6c
	v_mul_lo_u32 v3, v10, s30
	s_add_co_i32 s22, s22, -1
	s_delay_alu instid0(VALU_DEP_1) | instskip(SKIP_2) | instid1(VALU_DEP_2)
	v_sub_nc_u32_e32 v3, v8, v3
	v_dual_mov_b32 v8, v10 :: v_dual_mov_b32 v9, v11
	s_wait_kmcnt 0x0
	v_mad_co_u64_u32 v[6:7], null, s2, v3, v[6:7]
	v_mad_co_u64_u32 v[4:5], null, s29, v3, v[4:5]
	s_xor_b32 s2, s48, s19
	s_add_co_i32 s19, s19, 1
	s_wait_alu 0xfffe
	s_cmp_lg_u32 s2, 2
	s_cbranch_scc0 .LBB37_19
.LBB37_15:                              ;   Parent Loop BB37_3 Depth=1
                                        ; =>  This Inner Loop Header: Depth=2
	s_lshl_b64 s[36:37], s[22:23], 2
                                        ; implicit-def: $vgpr10_vgpr11
	s_mov_b32 s2, exec_lo
	s_wait_alu 0xfffe
	s_add_nc_u64 s[34:35], s[12:13], s[36:37]
	s_load_b32 s30, s[34:35], 0x8
	s_wait_kmcnt 0x0
	s_ashr_i32 s31, s30, 31
	s_wait_alu 0xfffe
	v_or_b32_e32 v3, s31, v9
	s_delay_alu instid0(VALU_DEP_1)
	v_cmpx_ne_u64_e32 0, v[2:3]
	s_xor_b32 s29, exec_lo, s2
	s_cbranch_execz .LBB37_17
; %bb.16:                               ;   in Loop: Header=BB37_15 Depth=2
	s_ashr_i32 s38, s31, 31
	s_mov_b32 s47, s23
	s_wait_alu 0xfffe
	s_mov_b32 s39, s38
	s_mov_b32 s57, s23
	s_wait_alu 0xfffe
	s_add_nc_u64 s[40:41], s[30:31], s[38:39]
	v_ashrrev_i32_e32 v3, 31, v9
	s_wait_alu 0xfffe
	s_xor_b64 s[40:41], s[40:41], s[38:39]
	s_wait_alu 0xfffe
	s_cvt_f32_u32 s2, s40
	s_cvt_f32_u32 s31, s41
	s_sub_nc_u64 s[44:45], 0, s[40:41]
	v_add_co_u32 v5, vcc_lo, v8, v3
	s_wait_alu 0xfffe
	s_fmamk_f32 s2, s31, 0x4f800000, s2
	s_wait_alu 0xfffd
	v_add_co_ci_u32_e64 v7, null, v9, v3, vcc_lo
	v_xor_b32_e32 v5, v5, v3
	s_wait_alu 0xfffe
	v_s_rcp_f32 s2, s2
	s_delay_alu instid0(VALU_DEP_2) | instskip(SKIP_1) | instid1(TRANS32_DEP_1)
	v_xor_b32_e32 v7, v7, v3
	v_xor_b32_e32 v3, s38, v3
	s_mul_f32 s2, s2, 0x5f7ffffc
	s_wait_alu 0xfffe
	s_delay_alu instid0(SALU_CYCLE_2) | instskip(SKIP_1) | instid1(SALU_CYCLE_2)
	s_mul_f32 s31, s2, 0x2f800000
	s_wait_alu 0xfffe
	s_trunc_f32 s31, s31
	s_wait_alu 0xfffe
	s_delay_alu instid0(SALU_CYCLE_2) | instskip(SKIP_2) | instid1(SALU_CYCLE_1)
	s_fmamk_f32 s2, s31, 0xcf800000, s2
	s_cvt_u32_f32 s43, s31
	s_wait_alu 0xfffe
	s_cvt_u32_f32 s42, s2
	s_wait_alu 0xfffe
	s_delay_alu instid0(SALU_CYCLE_2) | instskip(NEXT) | instid1(SALU_CYCLE_1)
	s_mul_u64 s[54:55], s[44:45], s[42:43]
	s_mul_hi_u32 s59, s42, s55
	s_mul_i32 s58, s42, s55
	s_mul_hi_u32 s46, s42, s54
	s_mul_i32 s31, s43, s54
	s_wait_alu 0xfffe
	s_add_nc_u64 s[46:47], s[46:47], s[58:59]
	s_mul_hi_u32 s2, s43, s54
	s_mul_hi_u32 s39, s43, s55
	s_wait_alu 0xfffe
	s_add_co_u32 s31, s46, s31
	s_add_co_ci_u32 s56, s47, s2
	s_mul_i32 s54, s43, s55
	s_add_co_ci_u32 s55, s39, 0
	s_delay_alu instid0(SALU_CYCLE_1)
	s_add_nc_u64 s[46:47], s[56:57], s[54:55]
	s_mov_b32 s55, s23
	s_wait_alu 0xfffe
	s_add_co_u32 s42, s42, s46
	s_cselect_b32 s2, -1, 0
	s_wait_alu 0xfffe
	s_cmp_lg_u32 s2, 0
	s_add_co_ci_u32 s43, s43, s47
	s_mov_b32 s47, s23
	s_wait_alu 0xfffe
	s_mul_u64 s[44:45], s[44:45], s[42:43]
	s_wait_alu 0xfffe
	s_mul_hi_u32 s57, s42, s45
	s_mul_i32 s56, s42, s45
	s_mul_hi_u32 s54, s42, s44
	s_mul_i32 s31, s43, s44
	s_add_nc_u64 s[54:55], s[54:55], s[56:57]
	s_mul_hi_u32 s2, s43, s44
	s_mul_hi_u32 s39, s43, s45
	s_wait_alu 0xfffe
	s_add_co_u32 s31, s54, s31
	s_add_co_ci_u32 s46, s55, s2
	s_mul_i32 s44, s43, s45
	s_add_co_ci_u32 s45, s39, 0
	s_wait_alu 0xfffe
	s_add_nc_u64 s[44:45], s[46:47], s[44:45]
	s_wait_alu 0xfffe
	s_add_co_u32 s2, s42, s44
	s_cselect_b32 s31, -1, 0
	s_wait_alu 0xfffe
	v_mul_hi_u32 v15, v5, s2
	s_cmp_lg_u32 s31, 0
	v_mad_co_u64_u32 v[11:12], null, v7, s2, 0
	s_add_co_ci_u32 s31, s43, s45
	s_wait_alu 0xfffe
	v_mad_co_u64_u32 v[9:10], null, v5, s31, 0
	v_mad_co_u64_u32 v[13:14], null, v7, s31, 0
	s_delay_alu instid0(VALU_DEP_2) | instskip(SKIP_1) | instid1(VALU_DEP_3)
	v_add_co_u32 v9, vcc_lo, v15, v9
	s_wait_alu 0xfffd
	v_add_co_ci_u32_e64 v10, null, 0, v10, vcc_lo
	s_delay_alu instid0(VALU_DEP_2) | instskip(SKIP_1) | instid1(VALU_DEP_2)
	v_add_co_u32 v9, vcc_lo, v9, v11
	s_wait_alu 0xfffd
	v_add_co_ci_u32_e32 v9, vcc_lo, v10, v12, vcc_lo
	s_wait_alu 0xfffd
	v_add_co_ci_u32_e32 v10, vcc_lo, 0, v14, vcc_lo
	s_delay_alu instid0(VALU_DEP_2) | instskip(SKIP_1) | instid1(VALU_DEP_2)
	v_add_co_u32 v11, vcc_lo, v9, v13
	s_wait_alu 0xfffd
	v_add_co_ci_u32_e64 v12, null, 0, v10, vcc_lo
	s_delay_alu instid0(VALU_DEP_2) | instskip(SKIP_1) | instid1(VALU_DEP_3)
	v_mul_lo_u32 v13, s41, v11
	v_mad_co_u64_u32 v[9:10], null, s40, v11, 0
	v_mul_lo_u32 v14, s40, v12
	s_delay_alu instid0(VALU_DEP_2) | instskip(NEXT) | instid1(VALU_DEP_2)
	v_sub_co_u32 v5, vcc_lo, v5, v9
	v_add3_u32 v10, v10, v14, v13
	s_delay_alu instid0(VALU_DEP_1) | instskip(SKIP_2) | instid1(VALU_DEP_2)
	v_sub_nc_u32_e32 v13, v7, v10
	s_wait_alu 0xfffd
	v_sub_co_ci_u32_e64 v7, null, v7, v10, vcc_lo
	v_subrev_co_ci_u32_e64 v9, null, s41, v13, vcc_lo
	v_add_co_u32 v13, s2, v11, 2
	s_wait_alu 0xf1ff
	v_add_co_ci_u32_e64 v14, null, 0, v12, s2
	v_sub_co_u32 v15, s2, v5, s40
	s_wait_alu 0xf1ff
	v_subrev_co_ci_u32_e64 v9, null, 0, v9, s2
	s_delay_alu instid0(VALU_DEP_2) | instskip(SKIP_2) | instid1(VALU_DEP_3)
	v_cmp_le_u32_e32 vcc_lo, s40, v15
	s_wait_alu 0xfffd
	v_cndmask_b32_e64 v10, 0, -1, vcc_lo
	v_cmp_le_u32_e32 vcc_lo, s41, v9
	s_wait_alu 0xfffd
	v_cndmask_b32_e64 v15, 0, -1, vcc_lo
	;; [unrolled: 3-line block ×4, first 2 shown]
	v_cmp_eq_u32_e32 vcc_lo, s41, v9
	s_wait_alu 0xfffd
	v_cndmask_b32_e32 v9, v15, v10, vcc_lo
	v_add_co_u32 v10, vcc_lo, v11, 1
	s_wait_alu 0xfffd
	v_add_co_ci_u32_e64 v15, null, 0, v12, vcc_lo
	v_cmp_eq_u32_e32 vcc_lo, s41, v7
	s_wait_alu 0xfffd
	v_cndmask_b32_e32 v5, v16, v5, vcc_lo
	v_cmp_ne_u32_e32 vcc_lo, 0, v9
	s_delay_alu instid0(VALU_DEP_2) | instskip(SKIP_4) | instid1(VALU_DEP_2)
	v_cmp_ne_u32_e64 s2, 0, v5
	s_wait_alu 0xfffd
	v_cndmask_b32_e32 v5, v10, v13, vcc_lo
	v_cndmask_b32_e32 v7, v15, v14, vcc_lo
	s_wait_alu 0xf1ff
	v_cndmask_b32_e64 v5, v11, v5, s2
	s_delay_alu instid0(VALU_DEP_2) | instskip(NEXT) | instid1(VALU_DEP_2)
	v_cndmask_b32_e64 v7, v12, v7, s2
	v_xor_b32_e32 v5, v5, v3
	s_delay_alu instid0(VALU_DEP_2) | instskip(NEXT) | instid1(VALU_DEP_2)
	v_xor_b32_e32 v7, v7, v3
	v_sub_co_u32 v10, vcc_lo, v5, v3
	s_wait_alu 0xfffd
	s_delay_alu instid0(VALU_DEP_2)
	v_sub_co_ci_u32_e64 v11, null, v7, v3, vcc_lo
.LBB37_17:                              ;   in Loop: Header=BB37_15 Depth=2
	s_wait_alu 0xfffe
	s_and_not1_saveexec_b32 s2, s29
	s_cbranch_execz .LBB37_14
; %bb.18:                               ;   in Loop: Header=BB37_15 Depth=2
	v_cvt_f32_u32_e32 v3, s30
	s_sub_co_i32 s29, 0, s30
	v_mov_b32_e32 v11, v2
	s_delay_alu instid0(VALU_DEP_2) | instskip(NEXT) | instid1(TRANS32_DEP_1)
	v_rcp_iflag_f32_e32 v3, v3
	v_mul_f32_e32 v3, 0x4f7ffffe, v3
	s_delay_alu instid0(VALU_DEP_1) | instskip(SKIP_1) | instid1(VALU_DEP_1)
	v_cvt_u32_f32_e32 v3, v3
	s_wait_alu 0xfffe
	v_mul_lo_u32 v5, s29, v3
	s_delay_alu instid0(VALU_DEP_1) | instskip(NEXT) | instid1(VALU_DEP_1)
	v_mul_hi_u32 v5, v3, v5
	v_add_nc_u32_e32 v3, v3, v5
	s_delay_alu instid0(VALU_DEP_1) | instskip(NEXT) | instid1(VALU_DEP_1)
	v_mul_hi_u32 v3, v8, v3
	v_mul_lo_u32 v5, v3, s30
	v_add_nc_u32_e32 v7, 1, v3
	s_delay_alu instid0(VALU_DEP_2) | instskip(NEXT) | instid1(VALU_DEP_1)
	v_sub_nc_u32_e32 v5, v8, v5
	v_cmp_le_u32_e32 vcc_lo, s30, v5
	v_subrev_nc_u32_e32 v9, s30, v5
	s_wait_alu 0xfffd
	v_cndmask_b32_e32 v3, v3, v7, vcc_lo
	s_delay_alu instid0(VALU_DEP_1) | instskip(NEXT) | instid1(VALU_DEP_3)
	v_add_nc_u32_e32 v7, 1, v3
	v_cndmask_b32_e32 v5, v5, v9, vcc_lo
	s_delay_alu instid0(VALU_DEP_1) | instskip(SKIP_1) | instid1(VALU_DEP_3)
	v_cmp_le_u32_e32 vcc_lo, s30, v5
	s_wait_alu 0xfffd
	v_cndmask_b32_e32 v10, v3, v7, vcc_lo
	s_branch .LBB37_14
.LBB37_19:                              ;   in Loop: Header=BB37_3 Depth=1
	s_mov_b32 s2, s22
	s_and_b32 vcc_lo, exec_lo, s52
	s_wait_alu 0xfffe
	s_mov_b32 s22, s2
	s_cbranch_vccz .LBB37_38
.LBB37_20:                              ;   Parent Loop BB37_3 Depth=1
                                        ; =>  This Inner Loop Header: Depth=2
	s_wait_alu 0xfffe
	s_lshl_b64 s[42:43], s[22:23], 2
                                        ; implicit-def: $vgpr10_vgpr11
	s_mov_b32 s2, exec_lo
	s_wait_alu 0xfffe
	s_add_nc_u64 s[36:37], s[12:13], s[42:43]
	s_load_b32 s30, s[36:37], 0x8
	s_wait_kmcnt 0x0
	s_ashr_i32 s31, s30, 31
	s_wait_alu 0xfffe
	v_or_b32_e32 v3, s31, v9
	s_delay_alu instid0(VALU_DEP_1)
	v_cmpx_ne_u64_e32 0, v[2:3]
	s_xor_b32 s19, exec_lo, s2
	s_cbranch_execz .LBB37_22
; %bb.21:                               ;   in Loop: Header=BB37_20 Depth=2
	s_ashr_i32 s34, s31, 31
	s_mov_b32 s47, s23
	s_wait_alu 0xfffe
	s_mov_b32 s35, s34
	s_mov_b32 s57, s23
	s_wait_alu 0xfffe
	s_add_nc_u64 s[38:39], s[30:31], s[34:35]
	v_ashrrev_i32_e32 v3, 31, v9
	s_wait_alu 0xfffe
	s_xor_b64 s[38:39], s[38:39], s[34:35]
	s_wait_alu 0xfffe
	s_cvt_f32_u32 s2, s38
	s_cvt_f32_u32 s29, s39
	s_sub_nc_u64 s[44:45], 0, s[38:39]
	v_add_co_u32 v5, vcc_lo, v8, v3
	s_wait_alu 0xfffe
	s_fmamk_f32 s2, s29, 0x4f800000, s2
	s_wait_alu 0xfffd
	v_add_co_ci_u32_e64 v7, null, v9, v3, vcc_lo
	v_xor_b32_e32 v5, v5, v3
	s_wait_alu 0xfffe
	v_s_rcp_f32 s2, s2
	s_delay_alu instid0(VALU_DEP_2) | instskip(SKIP_1) | instid1(TRANS32_DEP_1)
	v_xor_b32_e32 v7, v7, v3
	v_xor_b32_e32 v3, s34, v3
	s_mul_f32 s2, s2, 0x5f7ffffc
	s_wait_alu 0xfffe
	s_delay_alu instid0(SALU_CYCLE_2) | instskip(SKIP_1) | instid1(SALU_CYCLE_2)
	s_mul_f32 s29, s2, 0x2f800000
	s_wait_alu 0xfffe
	s_trunc_f32 s29, s29
	s_wait_alu 0xfffe
	s_delay_alu instid0(SALU_CYCLE_2) | instskip(SKIP_2) | instid1(SALU_CYCLE_1)
	s_fmamk_f32 s2, s29, 0xcf800000, s2
	s_cvt_u32_f32 s41, s29
	s_wait_alu 0xfffe
	s_cvt_u32_f32 s40, s2
	s_wait_alu 0xfffe
	s_delay_alu instid0(SALU_CYCLE_2) | instskip(NEXT) | instid1(SALU_CYCLE_1)
	s_mul_u64 s[54:55], s[44:45], s[40:41]
	s_mul_hi_u32 s59, s40, s55
	s_mul_i32 s58, s40, s55
	s_mul_hi_u32 s46, s40, s54
	s_mul_i32 s29, s41, s54
	s_wait_alu 0xfffe
	s_add_nc_u64 s[46:47], s[46:47], s[58:59]
	s_mul_hi_u32 s2, s41, s54
	s_mul_hi_u32 s31, s41, s55
	s_wait_alu 0xfffe
	s_add_co_u32 s29, s46, s29
	s_add_co_ci_u32 s56, s47, s2
	s_mul_i32 s54, s41, s55
	s_add_co_ci_u32 s55, s31, 0
	s_delay_alu instid0(SALU_CYCLE_1)
	s_add_nc_u64 s[46:47], s[56:57], s[54:55]
	s_mov_b32 s55, s23
	s_wait_alu 0xfffe
	s_add_co_u32 s40, s40, s46
	s_cselect_b32 s2, -1, 0
	s_wait_alu 0xfffe
	s_cmp_lg_u32 s2, 0
	s_add_co_ci_u32 s41, s41, s47
	s_mov_b32 s47, s23
	s_wait_alu 0xfffe
	s_mul_u64 s[44:45], s[44:45], s[40:41]
	s_wait_alu 0xfffe
	s_mul_hi_u32 s57, s40, s45
	s_mul_i32 s56, s40, s45
	s_mul_hi_u32 s54, s40, s44
	s_mul_i32 s29, s41, s44
	s_add_nc_u64 s[54:55], s[54:55], s[56:57]
	s_mul_hi_u32 s2, s41, s44
	s_mul_hi_u32 s31, s41, s45
	s_wait_alu 0xfffe
	s_add_co_u32 s29, s54, s29
	s_add_co_ci_u32 s46, s55, s2
	s_mul_i32 s44, s41, s45
	s_add_co_ci_u32 s45, s31, 0
	s_wait_alu 0xfffe
	s_add_nc_u64 s[44:45], s[46:47], s[44:45]
	s_wait_alu 0xfffe
	s_add_co_u32 s2, s40, s44
	s_cselect_b32 s29, -1, 0
	s_wait_alu 0xfffe
	v_mul_hi_u32 v15, v5, s2
	s_cmp_lg_u32 s29, 0
	v_mad_co_u64_u32 v[11:12], null, v7, s2, 0
	s_add_co_ci_u32 s29, s41, s45
	s_wait_alu 0xfffe
	v_mad_co_u64_u32 v[9:10], null, v5, s29, 0
	v_mad_co_u64_u32 v[13:14], null, v7, s29, 0
	s_delay_alu instid0(VALU_DEP_2) | instskip(SKIP_1) | instid1(VALU_DEP_3)
	v_add_co_u32 v9, vcc_lo, v15, v9
	s_wait_alu 0xfffd
	v_add_co_ci_u32_e64 v10, null, 0, v10, vcc_lo
	s_delay_alu instid0(VALU_DEP_2) | instskip(SKIP_1) | instid1(VALU_DEP_2)
	v_add_co_u32 v9, vcc_lo, v9, v11
	s_wait_alu 0xfffd
	v_add_co_ci_u32_e32 v9, vcc_lo, v10, v12, vcc_lo
	s_wait_alu 0xfffd
	v_add_co_ci_u32_e32 v10, vcc_lo, 0, v14, vcc_lo
	s_delay_alu instid0(VALU_DEP_2) | instskip(SKIP_1) | instid1(VALU_DEP_2)
	v_add_co_u32 v11, vcc_lo, v9, v13
	s_wait_alu 0xfffd
	v_add_co_ci_u32_e64 v12, null, 0, v10, vcc_lo
	s_delay_alu instid0(VALU_DEP_2) | instskip(SKIP_1) | instid1(VALU_DEP_3)
	v_mul_lo_u32 v13, s39, v11
	v_mad_co_u64_u32 v[9:10], null, s38, v11, 0
	v_mul_lo_u32 v14, s38, v12
	s_delay_alu instid0(VALU_DEP_2) | instskip(NEXT) | instid1(VALU_DEP_2)
	v_sub_co_u32 v5, vcc_lo, v5, v9
	v_add3_u32 v10, v10, v14, v13
	s_delay_alu instid0(VALU_DEP_1) | instskip(SKIP_2) | instid1(VALU_DEP_2)
	v_sub_nc_u32_e32 v13, v7, v10
	s_wait_alu 0xfffd
	v_sub_co_ci_u32_e64 v7, null, v7, v10, vcc_lo
	v_subrev_co_ci_u32_e64 v9, null, s39, v13, vcc_lo
	v_add_co_u32 v13, s2, v11, 2
	s_wait_alu 0xf1ff
	v_add_co_ci_u32_e64 v14, null, 0, v12, s2
	v_sub_co_u32 v15, s2, v5, s38
	s_wait_alu 0xf1ff
	v_subrev_co_ci_u32_e64 v9, null, 0, v9, s2
	s_delay_alu instid0(VALU_DEP_2) | instskip(SKIP_2) | instid1(VALU_DEP_3)
	v_cmp_le_u32_e32 vcc_lo, s38, v15
	s_wait_alu 0xfffd
	v_cndmask_b32_e64 v10, 0, -1, vcc_lo
	v_cmp_le_u32_e32 vcc_lo, s39, v9
	s_wait_alu 0xfffd
	v_cndmask_b32_e64 v15, 0, -1, vcc_lo
	;; [unrolled: 3-line block ×4, first 2 shown]
	v_cmp_eq_u32_e32 vcc_lo, s39, v9
	s_wait_alu 0xfffd
	v_cndmask_b32_e32 v9, v15, v10, vcc_lo
	v_add_co_u32 v10, vcc_lo, v11, 1
	s_wait_alu 0xfffd
	v_add_co_ci_u32_e64 v15, null, 0, v12, vcc_lo
	v_cmp_eq_u32_e32 vcc_lo, s39, v7
	s_wait_alu 0xfffd
	v_cndmask_b32_e32 v5, v16, v5, vcc_lo
	v_cmp_ne_u32_e32 vcc_lo, 0, v9
	s_delay_alu instid0(VALU_DEP_2) | instskip(SKIP_4) | instid1(VALU_DEP_2)
	v_cmp_ne_u32_e64 s2, 0, v5
	s_wait_alu 0xfffd
	v_cndmask_b32_e32 v5, v10, v13, vcc_lo
	v_cndmask_b32_e32 v7, v15, v14, vcc_lo
	s_wait_alu 0xf1ff
	v_cndmask_b32_e64 v5, v11, v5, s2
	s_delay_alu instid0(VALU_DEP_2) | instskip(NEXT) | instid1(VALU_DEP_2)
	v_cndmask_b32_e64 v7, v12, v7, s2
	v_xor_b32_e32 v5, v5, v3
	s_delay_alu instid0(VALU_DEP_2) | instskip(NEXT) | instid1(VALU_DEP_2)
	v_xor_b32_e32 v7, v7, v3
	v_sub_co_u32 v10, vcc_lo, v5, v3
	s_wait_alu 0xfffd
	s_delay_alu instid0(VALU_DEP_2)
	v_sub_co_ci_u32_e64 v11, null, v7, v3, vcc_lo
.LBB37_22:                              ;   in Loop: Header=BB37_20 Depth=2
	s_wait_alu 0xfffe
	s_and_not1_saveexec_b32 s2, s19
	s_cbranch_execz .LBB37_24
; %bb.23:                               ;   in Loop: Header=BB37_20 Depth=2
	v_cvt_f32_u32_e32 v3, s30
	s_sub_co_i32 s19, 0, s30
	v_mov_b32_e32 v11, v2
	s_delay_alu instid0(VALU_DEP_2) | instskip(NEXT) | instid1(TRANS32_DEP_1)
	v_rcp_iflag_f32_e32 v3, v3
	v_mul_f32_e32 v3, 0x4f7ffffe, v3
	s_delay_alu instid0(VALU_DEP_1) | instskip(SKIP_1) | instid1(VALU_DEP_1)
	v_cvt_u32_f32_e32 v3, v3
	s_wait_alu 0xfffe
	v_mul_lo_u32 v5, s19, v3
	s_delay_alu instid0(VALU_DEP_1) | instskip(NEXT) | instid1(VALU_DEP_1)
	v_mul_hi_u32 v5, v3, v5
	v_add_nc_u32_e32 v3, v3, v5
	s_delay_alu instid0(VALU_DEP_1) | instskip(NEXT) | instid1(VALU_DEP_1)
	v_mul_hi_u32 v3, v8, v3
	v_mul_lo_u32 v5, v3, s30
	v_add_nc_u32_e32 v7, 1, v3
	s_delay_alu instid0(VALU_DEP_2) | instskip(NEXT) | instid1(VALU_DEP_1)
	v_sub_nc_u32_e32 v5, v8, v5
	v_cmp_le_u32_e32 vcc_lo, s30, v5
	v_subrev_nc_u32_e32 v9, s30, v5
	s_wait_alu 0xfffd
	v_cndmask_b32_e32 v3, v3, v7, vcc_lo
	s_delay_alu instid0(VALU_DEP_1) | instskip(NEXT) | instid1(VALU_DEP_3)
	v_add_nc_u32_e32 v7, 1, v3
	v_cndmask_b32_e32 v5, v5, v9, vcc_lo
	s_delay_alu instid0(VALU_DEP_1) | instskip(SKIP_1) | instid1(VALU_DEP_3)
	v_cmp_le_u32_e32 vcc_lo, s30, v5
	s_wait_alu 0xfffd
	v_cndmask_b32_e32 v10, v3, v7, vcc_lo
.LBB37_24:                              ;   in Loop: Header=BB37_20 Depth=2
	s_wait_alu 0xfffe
	s_or_b32 exec_lo, exec_lo, s2
	s_add_co_i32 s34, s22, -1
	s_mov_b32 s35, s23
	s_add_nc_u64 s[42:43], s[0:1], s[42:43]
	s_wait_alu 0xfffe
	s_lshl_b64 s[40:41], s[34:35], 2
                                        ; implicit-def: $vgpr12_vgpr13
	s_mov_b32 s2, exec_lo
	s_wait_alu 0xfffe
	s_add_nc_u64 s[38:39], s[12:13], s[40:41]
	s_clause 0x2
	s_load_b32 s34, s[38:39], 0x8
	s_load_b32 s19, s[36:37], 0x6c
	;; [unrolled: 1-line block ×3, first 2 shown]
	s_wait_kmcnt 0x0
	s_ashr_i32 s35, s34, 31
	s_wait_alu 0xfffe
	v_or_b32_e32 v3, s35, v11
	s_delay_alu instid0(VALU_DEP_1)
	v_cmpx_ne_u64_e32 0, v[2:3]
	s_xor_b32 s31, exec_lo, s2
	s_cbranch_execz .LBB37_26
; %bb.25:                               ;   in Loop: Header=BB37_20 Depth=2
	s_ashr_i32 s36, s35, 31
	s_mov_b32 s55, s23
	s_wait_alu 0xfffe
	s_mov_b32 s37, s36
	s_mov_b32 s59, s23
	s_wait_alu 0xfffe
	s_add_nc_u64 s[42:43], s[34:35], s[36:37]
	v_ashrrev_i32_e32 v3, 31, v11
	s_wait_alu 0xfffe
	s_xor_b64 s[42:43], s[42:43], s[36:37]
	s_wait_alu 0xfffe
	s_cvt_f32_u32 s2, s42
	s_cvt_f32_u32 s35, s43
	s_sub_nc_u64 s[46:47], 0, s[42:43]
	v_add_co_u32 v5, vcc_lo, v10, v3
	s_wait_alu 0xfffe
	s_fmamk_f32 s2, s35, 0x4f800000, s2
	s_wait_alu 0xfffd
	v_add_co_ci_u32_e64 v7, null, v11, v3, vcc_lo
	v_xor_b32_e32 v5, v5, v3
	s_wait_alu 0xfffe
	v_s_rcp_f32 s2, s2
	s_delay_alu instid0(VALU_DEP_2) | instskip(SKIP_1) | instid1(TRANS32_DEP_1)
	v_xor_b32_e32 v7, v7, v3
	v_xor_b32_e32 v3, s36, v3
	s_mul_f32 s2, s2, 0x5f7ffffc
	s_wait_alu 0xfffe
	s_delay_alu instid0(SALU_CYCLE_2) | instskip(SKIP_1) | instid1(SALU_CYCLE_2)
	s_mul_f32 s35, s2, 0x2f800000
	s_wait_alu 0xfffe
	s_trunc_f32 s35, s35
	s_wait_alu 0xfffe
	s_delay_alu instid0(SALU_CYCLE_2) | instskip(SKIP_2) | instid1(SALU_CYCLE_1)
	s_fmamk_f32 s2, s35, 0xcf800000, s2
	s_cvt_u32_f32 s45, s35
	s_wait_alu 0xfffe
	s_cvt_u32_f32 s44, s2
	s_wait_alu 0xfffe
	s_delay_alu instid0(SALU_CYCLE_2) | instskip(NEXT) | instid1(SALU_CYCLE_1)
	s_mul_u64 s[56:57], s[46:47], s[44:45]
	s_mul_hi_u32 s61, s44, s57
	s_mul_i32 s60, s44, s57
	s_mul_hi_u32 s54, s44, s56
	s_mul_i32 s35, s45, s56
	s_add_nc_u64 s[54:55], s[54:55], s[60:61]
	s_mul_hi_u32 s2, s45, s56
	s_mul_hi_u32 s37, s45, s57
	s_wait_alu 0xfffe
	s_add_co_u32 s35, s54, s35
	s_add_co_ci_u32 s58, s55, s2
	s_mul_i32 s56, s45, s57
	s_add_co_ci_u32 s57, s37, 0
	s_delay_alu instid0(SALU_CYCLE_1)
	s_add_nc_u64 s[54:55], s[58:59], s[56:57]
	s_mov_b32 s57, s23
	s_add_co_u32 s44, s44, s54
	s_cselect_b32 s2, -1, 0
	s_wait_alu 0xfffe
	s_cmp_lg_u32 s2, 0
	s_add_co_ci_u32 s45, s45, s55
	s_mov_b32 s55, s23
	s_wait_alu 0xfffe
	s_mul_u64 s[46:47], s[46:47], s[44:45]
	s_wait_alu 0xfffe
	s_mul_hi_u32 s59, s44, s47
	s_mul_i32 s58, s44, s47
	s_mul_hi_u32 s56, s44, s46
	s_mul_i32 s35, s45, s46
	s_add_nc_u64 s[56:57], s[56:57], s[58:59]
	s_mul_hi_u32 s2, s45, s46
	s_mul_hi_u32 s37, s45, s47
	s_wait_alu 0xfffe
	s_add_co_u32 s35, s56, s35
	s_add_co_ci_u32 s54, s57, s2
	s_mul_i32 s46, s45, s47
	s_add_co_ci_u32 s47, s37, 0
	s_wait_alu 0xfffe
	s_add_nc_u64 s[46:47], s[54:55], s[46:47]
	s_wait_alu 0xfffe
	s_add_co_u32 s2, s44, s46
	s_cselect_b32 s35, -1, 0
	s_wait_alu 0xfffe
	v_mul_hi_u32 v9, v5, s2
	s_cmp_lg_u32 s35, 0
	v_mad_co_u64_u32 v[13:14], null, v7, s2, 0
	s_add_co_ci_u32 s35, s45, s47
	s_wait_alu 0xfffe
	v_mad_co_u64_u32 v[11:12], null, v5, s35, 0
	v_mad_co_u64_u32 v[15:16], null, v7, s35, 0
	s_delay_alu instid0(VALU_DEP_2) | instskip(SKIP_1) | instid1(VALU_DEP_3)
	v_add_co_u32 v9, vcc_lo, v9, v11
	s_wait_alu 0xfffd
	v_add_co_ci_u32_e64 v11, null, 0, v12, vcc_lo
	s_delay_alu instid0(VALU_DEP_2) | instskip(SKIP_1) | instid1(VALU_DEP_2)
	v_add_co_u32 v9, vcc_lo, v9, v13
	s_wait_alu 0xfffd
	v_add_co_ci_u32_e32 v9, vcc_lo, v11, v14, vcc_lo
	s_wait_alu 0xfffd
	v_add_co_ci_u32_e32 v11, vcc_lo, 0, v16, vcc_lo
	s_delay_alu instid0(VALU_DEP_2) | instskip(SKIP_1) | instid1(VALU_DEP_2)
	v_add_co_u32 v9, vcc_lo, v9, v15
	s_wait_alu 0xfffd
	v_add_co_ci_u32_e64 v13, null, 0, v11, vcc_lo
	s_delay_alu instid0(VALU_DEP_2) | instskip(SKIP_1) | instid1(VALU_DEP_3)
	v_mul_lo_u32 v14, s43, v9
	v_mad_co_u64_u32 v[11:12], null, s42, v9, 0
	v_mul_lo_u32 v15, s42, v13
	s_delay_alu instid0(VALU_DEP_2) | instskip(NEXT) | instid1(VALU_DEP_2)
	v_sub_co_u32 v5, vcc_lo, v5, v11
	v_add3_u32 v12, v12, v15, v14
	s_delay_alu instid0(VALU_DEP_1) | instskip(SKIP_2) | instid1(VALU_DEP_2)
	v_sub_nc_u32_e32 v14, v7, v12
	s_wait_alu 0xfffd
	v_sub_co_ci_u32_e64 v7, null, v7, v12, vcc_lo
	v_subrev_co_ci_u32_e64 v11, null, s43, v14, vcc_lo
	v_add_co_u32 v14, s2, v9, 2
	s_wait_alu 0xf1ff
	v_add_co_ci_u32_e64 v15, null, 0, v13, s2
	v_sub_co_u32 v16, s2, v5, s42
	s_wait_alu 0xf1ff
	v_subrev_co_ci_u32_e64 v11, null, 0, v11, s2
	s_delay_alu instid0(VALU_DEP_2) | instskip(SKIP_2) | instid1(VALU_DEP_3)
	v_cmp_le_u32_e32 vcc_lo, s42, v16
	s_wait_alu 0xfffd
	v_cndmask_b32_e64 v12, 0, -1, vcc_lo
	v_cmp_le_u32_e32 vcc_lo, s43, v11
	s_wait_alu 0xfffd
	v_cndmask_b32_e64 v16, 0, -1, vcc_lo
	;; [unrolled: 3-line block ×4, first 2 shown]
	v_cmp_eq_u32_e32 vcc_lo, s43, v11
	s_wait_alu 0xfffd
	v_cndmask_b32_e32 v11, v16, v12, vcc_lo
	v_add_co_u32 v12, vcc_lo, v9, 1
	s_wait_alu 0xfffd
	v_add_co_ci_u32_e64 v16, null, 0, v13, vcc_lo
	v_cmp_eq_u32_e32 vcc_lo, s43, v7
	s_wait_alu 0xfffd
	v_cndmask_b32_e32 v5, v17, v5, vcc_lo
	v_cmp_ne_u32_e32 vcc_lo, 0, v11
	s_delay_alu instid0(VALU_DEP_2) | instskip(SKIP_4) | instid1(VALU_DEP_2)
	v_cmp_ne_u32_e64 s2, 0, v5
	s_wait_alu 0xfffd
	v_cndmask_b32_e32 v5, v12, v14, vcc_lo
	v_cndmask_b32_e32 v7, v16, v15, vcc_lo
	s_wait_alu 0xf1ff
	v_cndmask_b32_e64 v5, v9, v5, s2
	s_delay_alu instid0(VALU_DEP_2) | instskip(NEXT) | instid1(VALU_DEP_2)
	v_cndmask_b32_e64 v7, v13, v7, s2
	v_xor_b32_e32 v5, v5, v3
	s_delay_alu instid0(VALU_DEP_2) | instskip(NEXT) | instid1(VALU_DEP_2)
	v_xor_b32_e32 v7, v7, v3
	v_sub_co_u32 v12, vcc_lo, v5, v3
	s_wait_alu 0xfffd
	s_delay_alu instid0(VALU_DEP_2)
	v_sub_co_ci_u32_e64 v13, null, v7, v3, vcc_lo
.LBB37_26:                              ;   in Loop: Header=BB37_20 Depth=2
	s_wait_alu 0xfffe
	s_and_not1_saveexec_b32 s2, s31
	s_cbranch_execz .LBB37_28
; %bb.27:                               ;   in Loop: Header=BB37_20 Depth=2
	v_cvt_f32_u32_e32 v3, s34
	s_sub_co_i32 s31, 0, s34
	v_mov_b32_e32 v13, v2
	s_delay_alu instid0(VALU_DEP_2) | instskip(NEXT) | instid1(TRANS32_DEP_1)
	v_rcp_iflag_f32_e32 v3, v3
	v_mul_f32_e32 v3, 0x4f7ffffe, v3
	s_delay_alu instid0(VALU_DEP_1) | instskip(SKIP_1) | instid1(VALU_DEP_1)
	v_cvt_u32_f32_e32 v3, v3
	s_wait_alu 0xfffe
	v_mul_lo_u32 v5, s31, v3
	s_delay_alu instid0(VALU_DEP_1) | instskip(NEXT) | instid1(VALU_DEP_1)
	v_mul_hi_u32 v5, v3, v5
	v_add_nc_u32_e32 v3, v3, v5
	s_delay_alu instid0(VALU_DEP_1) | instskip(NEXT) | instid1(VALU_DEP_1)
	v_mul_hi_u32 v3, v10, v3
	v_mul_lo_u32 v5, v3, s34
	v_add_nc_u32_e32 v7, 1, v3
	s_delay_alu instid0(VALU_DEP_2) | instskip(NEXT) | instid1(VALU_DEP_1)
	v_sub_nc_u32_e32 v5, v10, v5
	v_cmp_le_u32_e32 vcc_lo, s34, v5
	v_subrev_nc_u32_e32 v9, s34, v5
	s_wait_alu 0xfffd
	v_cndmask_b32_e32 v3, v3, v7, vcc_lo
	s_delay_alu instid0(VALU_DEP_1) | instskip(NEXT) | instid1(VALU_DEP_3)
	v_add_nc_u32_e32 v7, 1, v3
	v_cndmask_b32_e32 v5, v5, v9, vcc_lo
	s_delay_alu instid0(VALU_DEP_1) | instskip(SKIP_1) | instid1(VALU_DEP_3)
	v_cmp_le_u32_e32 vcc_lo, s34, v5
	s_wait_alu 0xfffd
	v_cndmask_b32_e32 v12, v3, v7, vcc_lo
.LBB37_28:                              ;   in Loop: Header=BB37_20 Depth=2
	s_wait_alu 0xfffe
	s_or_b32 exec_lo, exec_lo, s2
	s_add_co_i32 s36, s22, -2
	s_mov_b32 s37, s23
	s_add_nc_u64 s[40:41], s[0:1], s[40:41]
	s_wait_alu 0xfffe
	s_lshl_b64 s[46:47], s[36:37], 2
                                        ; implicit-def: $vgpr14_vgpr15
	s_mov_b32 s2, exec_lo
	s_wait_alu 0xfffe
	s_add_nc_u64 s[44:45], s[12:13], s[46:47]
	s_clause 0x2
	s_load_b32 s36, s[44:45], 0x8
	s_load_b32 s31, s[38:39], 0x6c
	;; [unrolled: 1-line block ×3, first 2 shown]
	s_wait_kmcnt 0x0
	s_ashr_i32 s37, s36, 31
	s_wait_alu 0xfffe
	v_or_b32_e32 v3, s37, v13
	s_delay_alu instid0(VALU_DEP_1)
	v_cmpx_ne_u64_e32 0, v[2:3]
	s_xor_b32 s42, exec_lo, s2
	s_cbranch_execz .LBB37_30
; %bb.29:                               ;   in Loop: Header=BB37_20 Depth=2
	s_ashr_i32 s38, s37, 31
	s_mov_b32 s59, s23
	s_wait_alu 0xfffe
	s_mov_b32 s39, s38
	s_mov_b32 s63, s23
	s_wait_alu 0xfffe
	s_add_nc_u64 s[40:41], s[36:37], s[38:39]
	v_ashrrev_i32_e32 v3, 31, v13
	s_wait_alu 0xfffe
	s_xor_b64 s[40:41], s[40:41], s[38:39]
	s_wait_alu 0xfffe
	s_cvt_f32_u32 s2, s40
	s_cvt_f32_u32 s37, s41
	s_sub_nc_u64 s[56:57], 0, s[40:41]
	v_add_co_u32 v5, vcc_lo, v12, v3
	s_wait_alu 0xfffe
	s_fmamk_f32 s2, s37, 0x4f800000, s2
	s_wait_alu 0xfffd
	v_add_co_ci_u32_e64 v7, null, v13, v3, vcc_lo
	v_xor_b32_e32 v5, v5, v3
	s_wait_alu 0xfffe
	v_s_rcp_f32 s2, s2
	s_delay_alu instid0(VALU_DEP_2) | instskip(SKIP_1) | instid1(TRANS32_DEP_1)
	v_xor_b32_e32 v7, v7, v3
	v_xor_b32_e32 v3, s38, v3
	s_mul_f32 s2, s2, 0x5f7ffffc
	s_wait_alu 0xfffe
	s_delay_alu instid0(SALU_CYCLE_2) | instskip(SKIP_1) | instid1(SALU_CYCLE_2)
	s_mul_f32 s37, s2, 0x2f800000
	s_wait_alu 0xfffe
	s_trunc_f32 s37, s37
	s_wait_alu 0xfffe
	s_delay_alu instid0(SALU_CYCLE_2) | instskip(SKIP_2) | instid1(SALU_CYCLE_1)
	s_fmamk_f32 s2, s37, 0xcf800000, s2
	s_cvt_u32_f32 s55, s37
	s_wait_alu 0xfffe
	s_cvt_u32_f32 s54, s2
	s_delay_alu instid0(SALU_CYCLE_3) | instskip(NEXT) | instid1(SALU_CYCLE_1)
	s_mul_u64 s[60:61], s[56:57], s[54:55]
	s_mul_hi_u32 s65, s54, s61
	s_mul_i32 s64, s54, s61
	s_mul_hi_u32 s58, s54, s60
	s_mul_i32 s37, s55, s60
	s_add_nc_u64 s[58:59], s[58:59], s[64:65]
	s_mul_hi_u32 s2, s55, s60
	s_mul_hi_u32 s39, s55, s61
	s_wait_alu 0xfffe
	s_add_co_u32 s37, s58, s37
	s_add_co_ci_u32 s62, s59, s2
	s_mul_i32 s60, s55, s61
	s_add_co_ci_u32 s61, s39, 0
	s_delay_alu instid0(SALU_CYCLE_1)
	s_add_nc_u64 s[58:59], s[62:63], s[60:61]
	s_mov_b32 s61, s23
	s_add_co_u32 s54, s54, s58
	s_cselect_b32 s2, -1, 0
	s_wait_alu 0xfffe
	s_cmp_lg_u32 s2, 0
	s_add_co_ci_u32 s55, s55, s59
	s_mov_b32 s59, s23
	s_mul_u64 s[56:57], s[56:57], s[54:55]
	s_delay_alu instid0(SALU_CYCLE_1)
	s_mul_hi_u32 s63, s54, s57
	s_mul_i32 s62, s54, s57
	s_mul_hi_u32 s60, s54, s56
	s_mul_i32 s37, s55, s56
	s_add_nc_u64 s[60:61], s[60:61], s[62:63]
	s_mul_hi_u32 s2, s55, s56
	s_mul_hi_u32 s39, s55, s57
	s_wait_alu 0xfffe
	s_add_co_u32 s37, s60, s37
	s_add_co_ci_u32 s58, s61, s2
	s_mul_i32 s56, s55, s57
	s_add_co_ci_u32 s57, s39, 0
	s_delay_alu instid0(SALU_CYCLE_1) | instskip(NEXT) | instid1(SALU_CYCLE_1)
	s_add_nc_u64 s[56:57], s[58:59], s[56:57]
	s_add_co_u32 s2, s54, s56
	s_cselect_b32 s37, -1, 0
	s_wait_alu 0xfffe
	v_mul_hi_u32 v9, v5, s2
	s_cmp_lg_u32 s37, 0
	v_mad_co_u64_u32 v[15:16], null, v7, s2, 0
	s_add_co_ci_u32 s37, s55, s57
	s_wait_alu 0xfffe
	v_mad_co_u64_u32 v[13:14], null, v5, s37, 0
	v_mad_co_u64_u32 v[22:23], null, v7, s37, 0
	s_delay_alu instid0(VALU_DEP_2) | instskip(SKIP_1) | instid1(VALU_DEP_3)
	v_add_co_u32 v9, vcc_lo, v9, v13
	s_wait_alu 0xfffd
	v_add_co_ci_u32_e64 v11, null, 0, v14, vcc_lo
	s_delay_alu instid0(VALU_DEP_2) | instskip(SKIP_1) | instid1(VALU_DEP_2)
	v_add_co_u32 v9, vcc_lo, v9, v15
	s_wait_alu 0xfffd
	v_add_co_ci_u32_e32 v9, vcc_lo, v11, v16, vcc_lo
	s_wait_alu 0xfffd
	v_add_co_ci_u32_e32 v11, vcc_lo, 0, v23, vcc_lo
	s_delay_alu instid0(VALU_DEP_2) | instskip(SKIP_1) | instid1(VALU_DEP_2)
	v_add_co_u32 v9, vcc_lo, v9, v22
	s_wait_alu 0xfffd
	v_add_co_ci_u32_e64 v11, null, 0, v11, vcc_lo
	s_delay_alu instid0(VALU_DEP_2) | instskip(SKIP_1) | instid1(VALU_DEP_3)
	v_mul_lo_u32 v15, s41, v9
	v_mad_co_u64_u32 v[13:14], null, s40, v9, 0
	v_mul_lo_u32 v16, s40, v11
	s_delay_alu instid0(VALU_DEP_2) | instskip(NEXT) | instid1(VALU_DEP_2)
	v_sub_co_u32 v5, vcc_lo, v5, v13
	v_add3_u32 v14, v14, v16, v15
	s_delay_alu instid0(VALU_DEP_1) | instskip(SKIP_2) | instid1(VALU_DEP_2)
	v_sub_nc_u32_e32 v15, v7, v14
	s_wait_alu 0xfffd
	v_sub_co_ci_u32_e64 v7, null, v7, v14, vcc_lo
	v_subrev_co_ci_u32_e64 v13, null, s41, v15, vcc_lo
	v_add_co_u32 v15, s2, v9, 2
	s_wait_alu 0xf1ff
	v_add_co_ci_u32_e64 v16, null, 0, v11, s2
	v_sub_co_u32 v17, s2, v5, s40
	s_wait_alu 0xf1ff
	v_subrev_co_ci_u32_e64 v13, null, 0, v13, s2
	s_delay_alu instid0(VALU_DEP_2) | instskip(SKIP_2) | instid1(VALU_DEP_3)
	v_cmp_le_u32_e32 vcc_lo, s40, v17
	s_wait_alu 0xfffd
	v_cndmask_b32_e64 v14, 0, -1, vcc_lo
	v_cmp_le_u32_e32 vcc_lo, s41, v13
	s_wait_alu 0xfffd
	v_cndmask_b32_e64 v17, 0, -1, vcc_lo
	;; [unrolled: 3-line block ×4, first 2 shown]
	v_cmp_eq_u32_e32 vcc_lo, s41, v13
	s_wait_alu 0xfffd
	v_cndmask_b32_e32 v13, v17, v14, vcc_lo
	v_add_co_u32 v14, vcc_lo, v9, 1
	s_wait_alu 0xfffd
	v_add_co_ci_u32_e64 v17, null, 0, v11, vcc_lo
	v_cmp_eq_u32_e32 vcc_lo, s41, v7
	s_wait_alu 0xfffd
	v_cndmask_b32_e32 v5, v22, v5, vcc_lo
	v_cmp_ne_u32_e32 vcc_lo, 0, v13
	s_delay_alu instid0(VALU_DEP_2) | instskip(SKIP_4) | instid1(VALU_DEP_2)
	v_cmp_ne_u32_e64 s2, 0, v5
	s_wait_alu 0xfffd
	v_cndmask_b32_e32 v5, v14, v15, vcc_lo
	v_cndmask_b32_e32 v7, v17, v16, vcc_lo
	s_wait_alu 0xf1ff
	v_cndmask_b32_e64 v5, v9, v5, s2
	s_delay_alu instid0(VALU_DEP_2) | instskip(NEXT) | instid1(VALU_DEP_2)
	v_cndmask_b32_e64 v7, v11, v7, s2
	v_xor_b32_e32 v5, v5, v3
	s_delay_alu instid0(VALU_DEP_2) | instskip(NEXT) | instid1(VALU_DEP_2)
	v_xor_b32_e32 v7, v7, v3
	v_sub_co_u32 v14, vcc_lo, v5, v3
	s_wait_alu 0xfffd
	s_delay_alu instid0(VALU_DEP_2)
	v_sub_co_ci_u32_e64 v15, null, v7, v3, vcc_lo
.LBB37_30:                              ;   in Loop: Header=BB37_20 Depth=2
	s_wait_alu 0xfffe
	s_and_not1_saveexec_b32 s2, s42
	s_cbranch_execz .LBB37_32
; %bb.31:                               ;   in Loop: Header=BB37_20 Depth=2
	v_cvt_f32_u32_e32 v3, s36
	s_sub_co_i32 s37, 0, s36
	v_mov_b32_e32 v15, v2
	s_delay_alu instid0(VALU_DEP_2) | instskip(NEXT) | instid1(TRANS32_DEP_1)
	v_rcp_iflag_f32_e32 v3, v3
	v_mul_f32_e32 v3, 0x4f7ffffe, v3
	s_delay_alu instid0(VALU_DEP_1) | instskip(SKIP_1) | instid1(VALU_DEP_1)
	v_cvt_u32_f32_e32 v3, v3
	s_wait_alu 0xfffe
	v_mul_lo_u32 v5, s37, v3
	s_delay_alu instid0(VALU_DEP_1) | instskip(NEXT) | instid1(VALU_DEP_1)
	v_mul_hi_u32 v5, v3, v5
	v_add_nc_u32_e32 v3, v3, v5
	s_delay_alu instid0(VALU_DEP_1) | instskip(NEXT) | instid1(VALU_DEP_1)
	v_mul_hi_u32 v3, v12, v3
	v_mul_lo_u32 v5, v3, s36
	v_add_nc_u32_e32 v7, 1, v3
	s_delay_alu instid0(VALU_DEP_2) | instskip(NEXT) | instid1(VALU_DEP_1)
	v_sub_nc_u32_e32 v5, v12, v5
	v_cmp_le_u32_e32 vcc_lo, s36, v5
	v_subrev_nc_u32_e32 v9, s36, v5
	s_wait_alu 0xfffd
	v_cndmask_b32_e32 v3, v3, v7, vcc_lo
	s_delay_alu instid0(VALU_DEP_1) | instskip(NEXT) | instid1(VALU_DEP_3)
	v_add_nc_u32_e32 v7, 1, v3
	v_cndmask_b32_e32 v5, v5, v9, vcc_lo
	s_delay_alu instid0(VALU_DEP_1) | instskip(SKIP_1) | instid1(VALU_DEP_3)
	v_cmp_le_u32_e32 vcc_lo, s36, v5
	s_wait_alu 0xfffd
	v_cndmask_b32_e32 v14, v3, v7, vcc_lo
.LBB37_32:                              ;   in Loop: Header=BB37_20 Depth=2
	s_wait_alu 0xfffe
	s_or_b32 exec_lo, exec_lo, s2
	s_add_co_i32 s38, s22, -3
	s_mov_b32 s39, s23
	s_add_nc_u64 s[46:47], s[0:1], s[46:47]
	s_wait_alu 0xfffe
	s_lshl_b64 s[42:43], s[38:39], 2
                                        ; implicit-def: $vgpr16_vgpr17
	s_mov_b32 s2, exec_lo
	s_wait_alu 0xfffe
	s_add_nc_u64 s[40:41], s[12:13], s[42:43]
	s_clause 0x2
	s_load_b32 s38, s[40:41], 0x8
	s_load_b32 s37, s[44:45], 0x6c
	;; [unrolled: 1-line block ×3, first 2 shown]
	s_wait_kmcnt 0x0
	s_ashr_i32 s39, s38, 31
	s_wait_alu 0xfffe
	v_or_b32_e32 v3, s39, v15
	s_delay_alu instid0(VALU_DEP_1)
	v_cmpx_ne_u64_e32 0, v[2:3]
	s_xor_b32 s54, exec_lo, s2
	s_cbranch_execz .LBB37_34
; %bb.33:                               ;   in Loop: Header=BB37_20 Depth=2
	s_ashr_i32 s44, s39, 31
	s_mov_b32 s61, s23
	s_wait_alu 0xfffe
	s_mov_b32 s45, s44
	s_mov_b32 s65, s23
	s_wait_alu 0xfffe
	s_add_nc_u64 s[46:47], s[38:39], s[44:45]
	v_ashrrev_i32_e32 v3, 31, v15
	s_wait_alu 0xfffe
	s_xor_b64 s[46:47], s[46:47], s[44:45]
	s_wait_alu 0xfffe
	s_cvt_f32_u32 s2, s46
	s_cvt_f32_u32 s39, s47
	s_sub_nc_u64 s[58:59], 0, s[46:47]
	v_add_co_u32 v5, vcc_lo, v14, v3
	s_wait_alu 0xfffe
	s_fmamk_f32 s2, s39, 0x4f800000, s2
	s_wait_alu 0xfffd
	v_add_co_ci_u32_e64 v7, null, v15, v3, vcc_lo
	v_xor_b32_e32 v5, v5, v3
	s_wait_alu 0xfffe
	v_s_rcp_f32 s2, s2
	s_delay_alu instid0(VALU_DEP_2) | instskip(SKIP_1) | instid1(TRANS32_DEP_1)
	v_xor_b32_e32 v7, v7, v3
	v_xor_b32_e32 v3, s44, v3
	s_mul_f32 s2, s2, 0x5f7ffffc
	s_wait_alu 0xfffe
	s_delay_alu instid0(SALU_CYCLE_2) | instskip(SKIP_1) | instid1(SALU_CYCLE_2)
	s_mul_f32 s39, s2, 0x2f800000
	s_wait_alu 0xfffe
	s_trunc_f32 s39, s39
	s_wait_alu 0xfffe
	s_delay_alu instid0(SALU_CYCLE_2) | instskip(SKIP_2) | instid1(SALU_CYCLE_1)
	s_fmamk_f32 s2, s39, 0xcf800000, s2
	s_cvt_u32_f32 s57, s39
	s_wait_alu 0xfffe
	s_cvt_u32_f32 s56, s2
	s_delay_alu instid0(SALU_CYCLE_3) | instskip(NEXT) | instid1(SALU_CYCLE_1)
	s_mul_u64 s[62:63], s[58:59], s[56:57]
	s_mul_hi_u32 s67, s56, s63
	s_mul_i32 s66, s56, s63
	s_mul_hi_u32 s60, s56, s62
	s_mul_i32 s39, s57, s62
	s_add_nc_u64 s[60:61], s[60:61], s[66:67]
	s_mul_hi_u32 s2, s57, s62
	s_mul_hi_u32 s45, s57, s63
	s_wait_alu 0xfffe
	s_add_co_u32 s39, s60, s39
	s_add_co_ci_u32 s64, s61, s2
	s_mul_i32 s62, s57, s63
	s_add_co_ci_u32 s63, s45, 0
	s_delay_alu instid0(SALU_CYCLE_1)
	s_add_nc_u64 s[60:61], s[64:65], s[62:63]
	s_mov_b32 s63, s23
	s_add_co_u32 s56, s56, s60
	s_cselect_b32 s2, -1, 0
	s_wait_alu 0xfffe
	s_cmp_lg_u32 s2, 0
	s_add_co_ci_u32 s57, s57, s61
	s_mov_b32 s61, s23
	s_mul_u64 s[58:59], s[58:59], s[56:57]
	s_delay_alu instid0(SALU_CYCLE_1)
	s_mul_hi_u32 s65, s56, s59
	s_mul_i32 s64, s56, s59
	s_mul_hi_u32 s62, s56, s58
	s_mul_i32 s39, s57, s58
	s_add_nc_u64 s[62:63], s[62:63], s[64:65]
	s_mul_hi_u32 s2, s57, s58
	s_mul_hi_u32 s45, s57, s59
	s_wait_alu 0xfffe
	s_add_co_u32 s39, s62, s39
	s_add_co_ci_u32 s60, s63, s2
	s_mul_i32 s58, s57, s59
	s_add_co_ci_u32 s59, s45, 0
	s_delay_alu instid0(SALU_CYCLE_1) | instskip(NEXT) | instid1(SALU_CYCLE_1)
	s_add_nc_u64 s[58:59], s[60:61], s[58:59]
	s_add_co_u32 s2, s56, s58
	s_cselect_b32 s39, -1, 0
	s_wait_alu 0xfffe
	v_mul_hi_u32 v9, v5, s2
	s_cmp_lg_u32 s39, 0
	v_mad_co_u64_u32 v[22:23], null, v7, s2, 0
	s_add_co_ci_u32 s39, s57, s59
	s_wait_alu 0xfffe
	v_mad_co_u64_u32 v[15:16], null, v5, s39, 0
	v_mad_co_u64_u32 v[24:25], null, v7, s39, 0
	s_delay_alu instid0(VALU_DEP_2) | instskip(SKIP_1) | instid1(VALU_DEP_3)
	v_add_co_u32 v9, vcc_lo, v9, v15
	s_wait_alu 0xfffd
	v_add_co_ci_u32_e64 v11, null, 0, v16, vcc_lo
	s_delay_alu instid0(VALU_DEP_2) | instskip(SKIP_1) | instid1(VALU_DEP_2)
	v_add_co_u32 v9, vcc_lo, v9, v22
	s_wait_alu 0xfffd
	v_add_co_ci_u32_e32 v9, vcc_lo, v11, v23, vcc_lo
	s_wait_alu 0xfffd
	v_add_co_ci_u32_e32 v11, vcc_lo, 0, v25, vcc_lo
	s_delay_alu instid0(VALU_DEP_2) | instskip(SKIP_1) | instid1(VALU_DEP_2)
	v_add_co_u32 v9, vcc_lo, v9, v24
	s_wait_alu 0xfffd
	v_add_co_ci_u32_e64 v11, null, 0, v11, vcc_lo
	s_delay_alu instid0(VALU_DEP_2) | instskip(SKIP_1) | instid1(VALU_DEP_3)
	v_mul_lo_u32 v13, s47, v9
	v_mad_co_u64_u32 v[15:16], null, s46, v9, 0
	v_mul_lo_u32 v17, s46, v11
	s_delay_alu instid0(VALU_DEP_2) | instskip(NEXT) | instid1(VALU_DEP_2)
	v_sub_co_u32 v5, vcc_lo, v5, v15
	v_add3_u32 v13, v16, v17, v13
	s_delay_alu instid0(VALU_DEP_1) | instskip(SKIP_2) | instid1(VALU_DEP_2)
	v_sub_nc_u32_e32 v16, v7, v13
	s_wait_alu 0xfffd
	v_sub_co_ci_u32_e64 v7, null, v7, v13, vcc_lo
	v_subrev_co_ci_u32_e64 v15, null, s47, v16, vcc_lo
	v_add_co_u32 v16, s2, v9, 2
	s_wait_alu 0xf1ff
	v_add_co_ci_u32_e64 v17, null, 0, v11, s2
	v_sub_co_u32 v22, s2, v5, s46
	s_wait_alu 0xf1ff
	v_subrev_co_ci_u32_e64 v15, null, 0, v15, s2
	s_delay_alu instid0(VALU_DEP_2) | instskip(SKIP_2) | instid1(VALU_DEP_3)
	v_cmp_le_u32_e32 vcc_lo, s46, v22
	s_wait_alu 0xfffd
	v_cndmask_b32_e64 v13, 0, -1, vcc_lo
	v_cmp_le_u32_e32 vcc_lo, s47, v15
	s_wait_alu 0xfffd
	v_cndmask_b32_e64 v22, 0, -1, vcc_lo
	;; [unrolled: 3-line block ×4, first 2 shown]
	v_cmp_eq_u32_e32 vcc_lo, s47, v15
	s_wait_alu 0xfffd
	v_cndmask_b32_e32 v13, v22, v13, vcc_lo
	v_add_co_u32 v15, vcc_lo, v9, 1
	s_wait_alu 0xfffd
	v_add_co_ci_u32_e64 v22, null, 0, v11, vcc_lo
	v_cmp_eq_u32_e32 vcc_lo, s47, v7
	s_wait_alu 0xfffd
	v_cndmask_b32_e32 v5, v23, v5, vcc_lo
	v_cmp_ne_u32_e32 vcc_lo, 0, v13
	s_delay_alu instid0(VALU_DEP_2) | instskip(SKIP_4) | instid1(VALU_DEP_2)
	v_cmp_ne_u32_e64 s2, 0, v5
	s_wait_alu 0xfffd
	v_cndmask_b32_e32 v5, v15, v16, vcc_lo
	v_cndmask_b32_e32 v7, v22, v17, vcc_lo
	s_wait_alu 0xf1ff
	v_cndmask_b32_e64 v5, v9, v5, s2
	s_delay_alu instid0(VALU_DEP_2) | instskip(NEXT) | instid1(VALU_DEP_2)
	v_cndmask_b32_e64 v7, v11, v7, s2
	v_xor_b32_e32 v5, v5, v3
	s_delay_alu instid0(VALU_DEP_2) | instskip(NEXT) | instid1(VALU_DEP_2)
	v_xor_b32_e32 v7, v7, v3
	v_sub_co_u32 v16, vcc_lo, v5, v3
	s_wait_alu 0xfffd
	s_delay_alu instid0(VALU_DEP_2)
	v_sub_co_ci_u32_e64 v17, null, v7, v3, vcc_lo
.LBB37_34:                              ;   in Loop: Header=BB37_20 Depth=2
	s_and_not1_saveexec_b32 s2, s54
	s_cbranch_execz .LBB37_36
; %bb.35:                               ;   in Loop: Header=BB37_20 Depth=2
	v_cvt_f32_u32_e32 v3, s38
	s_sub_co_i32 s39, 0, s38
	v_mov_b32_e32 v17, v2
	s_delay_alu instid0(VALU_DEP_2) | instskip(NEXT) | instid1(TRANS32_DEP_1)
	v_rcp_iflag_f32_e32 v3, v3
	v_mul_f32_e32 v3, 0x4f7ffffe, v3
	s_delay_alu instid0(VALU_DEP_1) | instskip(SKIP_1) | instid1(VALU_DEP_1)
	v_cvt_u32_f32_e32 v3, v3
	s_wait_alu 0xfffe
	v_mul_lo_u32 v5, s39, v3
	s_delay_alu instid0(VALU_DEP_1) | instskip(NEXT) | instid1(VALU_DEP_1)
	v_mul_hi_u32 v5, v3, v5
	v_add_nc_u32_e32 v3, v3, v5
	s_delay_alu instid0(VALU_DEP_1) | instskip(NEXT) | instid1(VALU_DEP_1)
	v_mul_hi_u32 v3, v14, v3
	v_mul_lo_u32 v5, v3, s38
	v_add_nc_u32_e32 v7, 1, v3
	s_delay_alu instid0(VALU_DEP_2) | instskip(NEXT) | instid1(VALU_DEP_1)
	v_sub_nc_u32_e32 v5, v14, v5
	v_cmp_le_u32_e32 vcc_lo, s38, v5
	v_subrev_nc_u32_e32 v9, s38, v5
	s_wait_alu 0xfffd
	v_cndmask_b32_e32 v3, v3, v7, vcc_lo
	s_delay_alu instid0(VALU_DEP_1) | instskip(NEXT) | instid1(VALU_DEP_3)
	v_add_nc_u32_e32 v7, 1, v3
	v_cndmask_b32_e32 v5, v5, v9, vcc_lo
	s_delay_alu instid0(VALU_DEP_1) | instskip(SKIP_1) | instid1(VALU_DEP_3)
	v_cmp_le_u32_e32 vcc_lo, s38, v5
	s_wait_alu 0xfffd
	v_cndmask_b32_e32 v16, v3, v7, vcc_lo
.LBB37_36:                              ;   in Loop: Header=BB37_20 Depth=2
	s_wait_alu 0xfffe
	s_or_b32 exec_lo, exec_lo, s2
	s_add_nc_u64 s[42:43], s[0:1], s[42:43]
	v_mul_lo_u32 v3, v10, s30
	s_clause 0x1
	s_load_b32 s2, s[40:41], 0x6c
	s_load_b32 s30, s[42:43], 0x6c
	v_mul_lo_u32 v5, v12, s34
	v_mul_lo_u32 v7, v14, s36
	;; [unrolled: 1-line block ×3, first 2 shown]
	s_add_co_i32 s22, s22, -4
	s_wait_alu 0xfffe
	s_cmp_eq_u32 s22, -1
	v_sub_nc_u32_e32 v3, v8, v3
	s_delay_alu instid0(VALU_DEP_4) | instskip(NEXT) | instid1(VALU_DEP_4)
	v_sub_nc_u32_e32 v5, v10, v5
	v_sub_nc_u32_e32 v7, v12, v7
	s_delay_alu instid0(VALU_DEP_4) | instskip(NEXT) | instid1(VALU_DEP_4)
	v_sub_nc_u32_e32 v8, v14, v9
	v_mul_lo_u32 v9, s19, v3
	v_mul_lo_u32 v3, s29, v3
	;; [unrolled: 1-line block ×6, first 2 shown]
	s_wait_kmcnt 0x0
	v_mul_lo_u32 v12, s2, v8
	v_mul_lo_u32 v8, s30, v8
	v_add3_u32 v6, v9, v6, v10
	v_add3_u32 v3, v3, v4, v5
	s_delay_alu instid0(VALU_DEP_2) | instskip(NEXT) | instid1(VALU_DEP_2)
	v_add3_u32 v6, v11, v6, v12
	v_add3_u32 v4, v7, v3, v8
	s_cbranch_scc1 .LBB37_38
; %bb.37:                               ;   in Loop: Header=BB37_20 Depth=2
	v_dual_mov_b32 v8, v16 :: v_dual_mov_b32 v9, v17
	s_branch .LBB37_20
.LBB37_38:                              ;   in Loop: Header=BB37_3 Depth=1
	v_sub_nc_u32_e32 v8, v20, v21
	v_dual_mov_b32 v7, 0 :: v_dual_mov_b32 v10, 0
	v_dual_mov_b32 v11, 0 :: v_dual_mov_b32 v12, 0
	s_delay_alu instid0(VALU_DEP_3) | instskip(SKIP_1) | instid1(VALU_DEP_1)
	v_ashrrev_i32_e32 v9, 31, v8
	s_mov_b32 s19, exec_lo
	v_cmpx_ge_i64_e64 s[4:5], v[8:9]
	s_cbranch_execz .LBB37_44
; %bb.39:                               ;   in Loop: Header=BB37_3 Depth=1
	v_dual_mov_b32 v5, 0 :: v_dual_mov_b32 v10, 0
	v_mov_b32_e32 v3, 0
	v_mov_b32_e32 v7, 0
	s_mov_b32 s2, exec_lo
	v_cmpx_gt_i32_e64 s3, v20
	s_cbranch_execz .LBB37_43
; %bb.40:                               ;   in Loop: Header=BB37_3 Depth=1
	v_ashrrev_i32_e32 v7, 31, v6
	v_mov_b32_e32 v10, 0
	s_delay_alu instid0(VALU_DEP_2) | instskip(SKIP_1) | instid1(VALU_DEP_2)
	v_lshlrev_b64_e32 v[5:6], 2, v[6:7]
	v_add_nc_u32_e32 v7, 1, v20
	v_add_co_u32 v5, vcc_lo, s10, v5
	s_wait_alu 0xfffd
	s_delay_alu instid0(VALU_DEP_3) | instskip(NEXT) | instid1(VALU_DEP_3)
	v_add_co_ci_u32_e64 v6, null, s11, v6, vcc_lo
	v_cmp_gt_i32_e32 vcc_lo, s3, v7
	v_mov_b32_e32 v7, 0
	global_load_b32 v3, v[5:6], off
	s_and_saveexec_b32 s22, vcc_lo
	s_wait_alu 0xfffe
	s_xor_b32 s22, exec_lo, s22
	s_cbranch_execz .LBB37_42
; %bb.41:                               ;   in Loop: Header=BB37_3 Depth=1
	s_lshl_b64 s[30:31], s[24:25], 2
	s_wait_alu 0xfffe
	v_add_co_u32 v5, vcc_lo, v5, s30
	s_wait_alu 0xfffd
	v_add_co_ci_u32_e64 v6, null, s31, v6, vcc_lo
	global_load_b32 v5, v[5:6], off
	s_wait_loadcnt 0x0
	v_and_b32_e32 v10, 0xffff0000, v5
	v_and_b32_e32 v7, 0xffff, v5
.LBB37_42:                              ;   in Loop: Header=BB37_3 Depth=1
	s_wait_alu 0xfffe
	s_or_b32 exec_lo, exec_lo, s22
	s_wait_loadcnt 0x0
	v_lshrrev_b32_e32 v5, 16, v3
.LBB37_43:                              ;   in Loop: Header=BB37_3 Depth=1
	s_wait_alu 0xfffe
	s_or_b32 exec_lo, exec_lo, s2
	v_add_nc_u32_e32 v11, 1, v8
	v_cmp_lt_i64_e32 vcc_lo, s[4:5], v[8:9]
	v_and_b32_e32 v3, 0xffff, v3
	v_lshlrev_b32_e32 v5, 16, v5
	s_delay_alu instid0(VALU_DEP_4) | instskip(NEXT) | instid1(VALU_DEP_1)
	v_ashrrev_i32_e32 v12, 31, v11
	v_cmp_lt_i64_e64 s2, s[4:5], v[11:12]
	s_wait_alu 0xfffd
	v_cndmask_b32_e64 v11, v3, 0, vcc_lo
	v_cndmask_b32_e64 v12, v5, 0, vcc_lo
	s_wait_alu 0xf1ff
	s_delay_alu instid0(VALU_DEP_3)
	v_cndmask_b32_e64 v7, v7, 0, s2
	v_cndmask_b32_e64 v10, v10, 0, s2
.LBB37_44:                              ;   in Loop: Header=BB37_3 Depth=1
	s_wait_alu 0xfffe
	s_or_b32 exec_lo, exec_lo, s19
	s_delay_alu instid0(SALU_CYCLE_1)
	s_mov_b32 s2, exec_lo
	v_cmpx_gt_i32_e64 s3, v20
	s_cbranch_execz .LBB37_2
; %bb.45:                               ;   in Loop: Header=BB37_3 Depth=1
	v_ashrrev_i32_e32 v5, 31, v4
	v_or_b32_e32 v6, v12, v11
	s_mov_b32 s19, exec_lo
	s_delay_alu instid0(VALU_DEP_2) | instskip(SKIP_1) | instid1(VALU_DEP_2)
	v_lshlrev_b64_e32 v[3:4], 2, v[4:5]
	v_add_nc_u32_e32 v5, 1, v20
	v_add_co_u32 v3, vcc_lo, s14, v3
	s_wait_alu 0xfffd
	s_delay_alu instid0(VALU_DEP_3)
	v_add_co_ci_u32_e64 v4, null, s15, v4, vcc_lo
	global_store_b32 v[3:4], v6, off
	v_cmpx_gt_i32_e64 s3, v5
	s_wait_alu 0xfffe
	s_xor_b32 s19, exec_lo, s19
	s_cbranch_execz .LBB37_2
; %bb.46:                               ;   in Loop: Header=BB37_3 Depth=1
	s_lshl_b64 s[30:31], s[26:27], 2
	v_or_b32_e32 v5, v10, v7
	s_wait_alu 0xfffe
	v_add_co_u32 v3, vcc_lo, v3, s30
	s_wait_alu 0xfffd
	v_add_co_ci_u32_e64 v4, null, s31, v4, vcc_lo
	global_store_b32 v[3:4], v5, off
	s_branch .LBB37_2
.LBB37_47:
	s_endpgm
	.section	.rodata,"a",@progbits
	.p2align	6, 0x0
	.amdhsa_kernel _ZN2at6native16triu_tril_kernelIN3c107complexINS2_4HalfEEEiLb0ELi2ELb0EEEvNS_4cuda6detail10TensorInfoIT_T0_EENS8_IKS9_SA_EEllSA_
		.amdhsa_group_segment_fixed_size 0
		.amdhsa_private_segment_fixed_size 0
		.amdhsa_kernarg_size 712
		.amdhsa_user_sgpr_count 2
		.amdhsa_user_sgpr_dispatch_ptr 0
		.amdhsa_user_sgpr_queue_ptr 0
		.amdhsa_user_sgpr_kernarg_segment_ptr 1
		.amdhsa_user_sgpr_dispatch_id 0
		.amdhsa_user_sgpr_private_segment_size 0
		.amdhsa_wavefront_size32 1
		.amdhsa_uses_dynamic_stack 0
		.amdhsa_enable_private_segment 0
		.amdhsa_system_sgpr_workgroup_id_x 1
		.amdhsa_system_sgpr_workgroup_id_y 0
		.amdhsa_system_sgpr_workgroup_id_z 0
		.amdhsa_system_sgpr_workgroup_info 0
		.amdhsa_system_vgpr_workitem_id 0
		.amdhsa_next_free_vgpr 26
		.amdhsa_next_free_sgpr 68
		.amdhsa_reserve_vcc 1
		.amdhsa_float_round_mode_32 0
		.amdhsa_float_round_mode_16_64 0
		.amdhsa_float_denorm_mode_32 3
		.amdhsa_float_denorm_mode_16_64 3
		.amdhsa_fp16_overflow 0
		.amdhsa_workgroup_processor_mode 1
		.amdhsa_memory_ordered 1
		.amdhsa_forward_progress 1
		.amdhsa_inst_pref_size 66
		.amdhsa_round_robin_scheduling 0
		.amdhsa_exception_fp_ieee_invalid_op 0
		.amdhsa_exception_fp_denorm_src 0
		.amdhsa_exception_fp_ieee_div_zero 0
		.amdhsa_exception_fp_ieee_overflow 0
		.amdhsa_exception_fp_ieee_underflow 0
		.amdhsa_exception_fp_ieee_inexact 0
		.amdhsa_exception_int_div_zero 0
	.end_amdhsa_kernel
	.section	.text._ZN2at6native16triu_tril_kernelIN3c107complexINS2_4HalfEEEiLb0ELi2ELb0EEEvNS_4cuda6detail10TensorInfoIT_T0_EENS8_IKS9_SA_EEllSA_,"axG",@progbits,_ZN2at6native16triu_tril_kernelIN3c107complexINS2_4HalfEEEiLb0ELi2ELb0EEEvNS_4cuda6detail10TensorInfoIT_T0_EENS8_IKS9_SA_EEllSA_,comdat
.Lfunc_end37:
	.size	_ZN2at6native16triu_tril_kernelIN3c107complexINS2_4HalfEEEiLb0ELi2ELb0EEEvNS_4cuda6detail10TensorInfoIT_T0_EENS8_IKS9_SA_EEllSA_, .Lfunc_end37-_ZN2at6native16triu_tril_kernelIN3c107complexINS2_4HalfEEEiLb0ELi2ELb0EEEvNS_4cuda6detail10TensorInfoIT_T0_EENS8_IKS9_SA_EEllSA_
                                        ; -- End function
	.set _ZN2at6native16triu_tril_kernelIN3c107complexINS2_4HalfEEEiLb0ELi2ELb0EEEvNS_4cuda6detail10TensorInfoIT_T0_EENS8_IKS9_SA_EEllSA_.num_vgpr, 26
	.set _ZN2at6native16triu_tril_kernelIN3c107complexINS2_4HalfEEEiLb0ELi2ELb0EEEvNS_4cuda6detail10TensorInfoIT_T0_EENS8_IKS9_SA_EEllSA_.num_agpr, 0
	.set _ZN2at6native16triu_tril_kernelIN3c107complexINS2_4HalfEEEiLb0ELi2ELb0EEEvNS_4cuda6detail10TensorInfoIT_T0_EENS8_IKS9_SA_EEllSA_.numbered_sgpr, 68
	.set _ZN2at6native16triu_tril_kernelIN3c107complexINS2_4HalfEEEiLb0ELi2ELb0EEEvNS_4cuda6detail10TensorInfoIT_T0_EENS8_IKS9_SA_EEllSA_.num_named_barrier, 0
	.set _ZN2at6native16triu_tril_kernelIN3c107complexINS2_4HalfEEEiLb0ELi2ELb0EEEvNS_4cuda6detail10TensorInfoIT_T0_EENS8_IKS9_SA_EEllSA_.private_seg_size, 0
	.set _ZN2at6native16triu_tril_kernelIN3c107complexINS2_4HalfEEEiLb0ELi2ELb0EEEvNS_4cuda6detail10TensorInfoIT_T0_EENS8_IKS9_SA_EEllSA_.uses_vcc, 1
	.set _ZN2at6native16triu_tril_kernelIN3c107complexINS2_4HalfEEEiLb0ELi2ELb0EEEvNS_4cuda6detail10TensorInfoIT_T0_EENS8_IKS9_SA_EEllSA_.uses_flat_scratch, 0
	.set _ZN2at6native16triu_tril_kernelIN3c107complexINS2_4HalfEEEiLb0ELi2ELb0EEEvNS_4cuda6detail10TensorInfoIT_T0_EENS8_IKS9_SA_EEllSA_.has_dyn_sized_stack, 0
	.set _ZN2at6native16triu_tril_kernelIN3c107complexINS2_4HalfEEEiLb0ELi2ELb0EEEvNS_4cuda6detail10TensorInfoIT_T0_EENS8_IKS9_SA_EEllSA_.has_recursion, 0
	.set _ZN2at6native16triu_tril_kernelIN3c107complexINS2_4HalfEEEiLb0ELi2ELb0EEEvNS_4cuda6detail10TensorInfoIT_T0_EENS8_IKS9_SA_EEllSA_.has_indirect_call, 0
	.section	.AMDGPU.csdata,"",@progbits
; Kernel info:
; codeLenInByte = 8352
; TotalNumSgprs: 70
; NumVgprs: 26
; ScratchSize: 0
; MemoryBound: 0
; FloatMode: 240
; IeeeMode: 1
; LDSByteSize: 0 bytes/workgroup (compile time only)
; SGPRBlocks: 0
; VGPRBlocks: 3
; NumSGPRsForWavesPerEU: 70
; NumVGPRsForWavesPerEU: 26
; Occupancy: 16
; WaveLimiterHint : 1
; COMPUTE_PGM_RSRC2:SCRATCH_EN: 0
; COMPUTE_PGM_RSRC2:USER_SGPR: 2
; COMPUTE_PGM_RSRC2:TRAP_HANDLER: 0
; COMPUTE_PGM_RSRC2:TGID_X_EN: 1
; COMPUTE_PGM_RSRC2:TGID_Y_EN: 0
; COMPUTE_PGM_RSRC2:TGID_Z_EN: 0
; COMPUTE_PGM_RSRC2:TIDIG_COMP_CNT: 0
	.section	.text._ZN2at6native16triu_tril_kernelIN3c107complexINS2_4HalfEEElLb0ELi2ELb1EEEvNS_4cuda6detail10TensorInfoIT_T0_EENS8_IKS9_SA_EEllSA_,"axG",@progbits,_ZN2at6native16triu_tril_kernelIN3c107complexINS2_4HalfEEElLb0ELi2ELb1EEEvNS_4cuda6detail10TensorInfoIT_T0_EENS8_IKS9_SA_EEllSA_,comdat
	.protected	_ZN2at6native16triu_tril_kernelIN3c107complexINS2_4HalfEEElLb0ELi2ELb1EEEvNS_4cuda6detail10TensorInfoIT_T0_EENS8_IKS9_SA_EEllSA_ ; -- Begin function _ZN2at6native16triu_tril_kernelIN3c107complexINS2_4HalfEEElLb0ELi2ELb1EEEvNS_4cuda6detail10TensorInfoIT_T0_EENS8_IKS9_SA_EEllSA_
	.globl	_ZN2at6native16triu_tril_kernelIN3c107complexINS2_4HalfEEElLb0ELi2ELb1EEEvNS_4cuda6detail10TensorInfoIT_T0_EENS8_IKS9_SA_EEllSA_
	.p2align	8
	.type	_ZN2at6native16triu_tril_kernelIN3c107complexINS2_4HalfEEElLb0ELi2ELb1EEEvNS_4cuda6detail10TensorInfoIT_T0_EENS8_IKS9_SA_EEllSA_,@function
_ZN2at6native16triu_tril_kernelIN3c107complexINS2_4HalfEEElLb0ELi2ELb1EEEvNS_4cuda6detail10TensorInfoIT_T0_EENS8_IKS9_SA_EEllSA_: ; @_ZN2at6native16triu_tril_kernelIN3c107complexINS2_4HalfEEElLb0ELi2ELb1EEEvNS_4cuda6detail10TensorInfoIT_T0_EENS8_IKS9_SA_EEllSA_
; %bb.0:
	s_clause 0x1
	s_load_b32 s2, s[0:1], 0x364
	s_load_b128 s[4:7], s[0:1], 0x340
	v_mov_b32_e32 v2, 0
	s_mov_b32 s3, exec_lo
	s_delay_alu instid0(VALU_DEP_1)
	v_mov_b32_e32 v1, v2
	s_wait_kmcnt 0x0
	s_and_b32 s2, s2, 0xffff
	s_delay_alu instid0(VALU_DEP_1) | instid1(SALU_CYCLE_1)
	v_mad_co_u64_u32 v[0:1], null, s2, ttmp9, v[0:1]
	s_delay_alu instid0(VALU_DEP_1) | instskip(NEXT) | instid1(VALU_DEP_1)
	v_lshlrev_b64_e32 v[0:1], 1, v[0:1]
	v_cmpx_gt_i64_e64 s[6:7], v[0:1]
	s_cbranch_execz .LBB38_43
; %bb.1:
	s_load_b32 s22, s[0:1], 0x338
	s_add_nc_u64 s[12:13], s[0:1], 0x358
	s_clause 0x1
	s_load_b64 s[8:9], s[0:1], 0x350
	s_load_b64 s[10:11], s[0:1], 0x0
	s_add_nc_u64 s[28:29], s[0:1], 0x1a0
	s_load_b32 s3, s[12:13], 0x0
	s_movk_i32 s18, 0xffe0
	s_add_nc_u64 s[16:17], s[0:1], 0xb8
	s_mov_b32 s19, -1
	s_add_nc_u64 s[34:35], s[0:1], 0x190
	s_mov_b32 s65, 0
	s_wait_kmcnt 0x0
	s_add_co_i32 s14, s22, -2
	v_cvt_f32_u32_e32 v3, s8
	s_ashr_i32 s15, s14, 31
	s_add_co_i32 s20, s22, -3
	s_lshl_b64 s[12:13], s[14:15], 3
	s_ashr_i32 s23, s22, 31
	s_add_nc_u64 s[12:13], s[28:29], s[12:13]
	v_rcp_iflag_f32_e32 v3, v3
	s_load_b64 s[12:13], s[12:13], 0x8
	s_mul_i32 s24, s3, s2
	s_and_b32 s25, s20, 3
	s_lshl_b64 s[2:3], s[22:23], 3
	s_ashr_i32 s21, s20, 31
	s_and_b32 s14, s14, 3
	s_lshl_b32 s62, s24, 1
	s_cmp_lg_u32 s25, 3
	v_cmp_gt_i64_e64 s33, s[22:23], 2
	s_cselect_b32 s63, -1, 0
	s_cmp_gt_u32 s20, 2
	s_wait_alu 0xfffe
	s_add_nc_u64 s[22:23], s[0:1], s[2:3]
	s_add_nc_u64 s[24:25], s[28:29], s[2:3]
	s_cselect_b32 s64, -1, 0
	s_lshl_b64 s[2:3], s[20:21], 3
	s_mov_b32 s15, 0
	s_wait_alu 0xfffe
	s_add_nc_u64 s[30:31], s[0:1], s[2:3]
	s_add_nc_u64 s[2:3], s[28:29], s[2:3]
	s_mov_b64 s[26:27], s[14:15]
	s_add_nc_u64 s[28:29], s[30:31], 0xd0
	s_wait_kmcnt 0x0
	v_cvt_f32_u32_e32 v4, s12
	s_wait_alu 0xfffe
	s_add_nc_u64 s[30:31], s[2:3], 8
	s_ashr_i32 s36, s9, 31
	s_delay_alu instid0(VALU_DEP_1) | instskip(NEXT) | instid1(TRANS32_DEP_1)
	v_rcp_iflag_f32_e32 v4, v4
	v_dual_mul_f32 v3, 0x4f7ffffe, v3 :: v_dual_mul_f32 v4, 0x4f7ffffe, v4
	s_delay_alu instid0(VALU_DEP_1) | instskip(NEXT) | instid1(VALU_DEP_2)
	v_cvt_u32_f32_e32 v20, v3
	v_cvt_u32_f32_e32 v21, v4
	s_branch .LBB38_3
.LBB38_2:                               ;   in Loop: Header=BB38_3 Depth=1
	s_wait_alu 0xfffe
	s_or_b32 exec_lo, exec_lo, s37
	v_add_co_u32 v0, vcc_lo, v0, s62
	s_wait_alu 0xfffd
	v_add_co_ci_u32_e64 v1, null, 0, v1, vcc_lo
	s_delay_alu instid0(VALU_DEP_1) | instskip(SKIP_1) | instid1(SALU_CYCLE_1)
	v_cmp_le_i64_e32 vcc_lo, s[6:7], v[0:1]
	s_or_b32 s65, vcc_lo, s65
	s_and_not1_b32 exec_lo, exec_lo, s65
	s_cbranch_execz .LBB38_43
.LBB38_3:                               ; =>This Loop Header: Depth=1
                                        ;     Child Loop BB38_17 Depth 2
                                        ;     Child Loop BB38_22 Depth 2
	v_or_b32_e32 v3, s9, v1
                                        ; implicit-def: $vgpr6_vgpr7
	s_mov_b32 s0, exec_lo
	s_delay_alu instid0(VALU_DEP_1)
	v_cmpx_ne_u64_e32 0, v[2:3]
	s_wait_alu 0xfffe
	s_xor_b32 s1, exec_lo, s0
	s_cbranch_execz .LBB38_5
; %bb.4:                                ;   in Loop: Header=BB38_3 Depth=1
	s_mov_b32 s37, s36
	v_ashrrev_i32_e32 v9, 31, v1
	s_wait_alu 0xfffe
	s_add_nc_u64 s[2:3], s[8:9], s[36:37]
	s_wait_alu 0xfffe
	s_xor_b64 s[2:3], s[2:3], s[36:37]
	v_add_co_u32 v3, vcc_lo, v0, v9
	s_wait_alu 0xfffe
	s_cvt_f32_u32 s0, s2
	s_cvt_f32_u32 s14, s3
	s_sub_nc_u64 s[40:41], 0, s[2:3]
	s_wait_alu 0xfffd
	v_add_co_ci_u32_e64 v4, null, v1, v9, vcc_lo
	s_wait_alu 0xfffe
	s_fmamk_f32 s0, s14, 0x4f800000, s0
	v_xor_b32_e32 v10, v3, v9
	s_delay_alu instid0(VALU_DEP_2) | instskip(SKIP_2) | instid1(TRANS32_DEP_1)
	v_xor_b32_e32 v11, v4, v9
	s_wait_alu 0xfffe
	v_s_rcp_f32 s0, s0
	s_mul_f32 s0, s0, 0x5f7ffffc
	s_wait_alu 0xfffe
	s_delay_alu instid0(SALU_CYCLE_2) | instskip(SKIP_1) | instid1(SALU_CYCLE_2)
	s_mul_f32 s14, s0, 0x2f800000
	s_wait_alu 0xfffe
	s_trunc_f32 s14, s14
	s_wait_alu 0xfffe
	s_delay_alu instid0(SALU_CYCLE_2) | instskip(SKIP_2) | instid1(SALU_CYCLE_1)
	s_fmamk_f32 s0, s14, 0xcf800000, s0
	s_cvt_u32_f32 s39, s14
	s_wait_alu 0xfffe
	s_cvt_u32_f32 s38, s0
	s_wait_alu 0xfffe
	s_delay_alu instid0(SALU_CYCLE_2) | instskip(NEXT) | instid1(SALU_CYCLE_1)
	s_mul_u64 s[42:43], s[40:41], s[38:39]
	s_mul_hi_u32 s45, s38, s43
	s_mul_i32 s44, s38, s43
	s_mul_hi_u32 s14, s38, s42
	s_mul_i32 s37, s39, s42
	s_wait_alu 0xfffe
	s_add_nc_u64 s[44:45], s[14:15], s[44:45]
	s_mul_hi_u32 s0, s39, s42
	s_mul_hi_u32 s46, s39, s43
	s_wait_alu 0xfffe
	s_add_co_u32 s14, s44, s37
	s_add_co_ci_u32 s14, s45, s0
	s_mul_i32 s42, s39, s43
	s_add_co_ci_u32 s43, s46, 0
	s_wait_alu 0xfffe
	s_add_nc_u64 s[42:43], s[14:15], s[42:43]
	s_delay_alu instid0(SALU_CYCLE_1)
	s_add_co_u32 s38, s38, s42
	s_cselect_b32 s0, -1, 0
	s_wait_alu 0xfffe
	s_cmp_lg_u32 s0, 0
	s_add_co_ci_u32 s39, s39, s43
	s_wait_alu 0xfffe
	s_mul_u64 s[40:41], s[40:41], s[38:39]
	s_delay_alu instid0(SALU_CYCLE_1)
	s_mul_hi_u32 s43, s38, s41
	s_mul_i32 s42, s38, s41
	s_mul_hi_u32 s14, s38, s40
	s_mul_i32 s37, s39, s40
	s_wait_alu 0xfffe
	s_add_nc_u64 s[42:43], s[14:15], s[42:43]
	s_mul_hi_u32 s0, s39, s40
	s_mul_hi_u32 s44, s39, s41
	s_add_co_u32 s14, s42, s37
	s_wait_alu 0xfffe
	s_add_co_ci_u32 s14, s43, s0
	s_mul_i32 s40, s39, s41
	s_add_co_ci_u32 s41, s44, 0
	s_wait_alu 0xfffe
	s_add_nc_u64 s[40:41], s[14:15], s[40:41]
	s_delay_alu instid0(SALU_CYCLE_1)
	s_add_co_u32 s0, s38, s40
	s_cselect_b32 s14, -1, 0
	s_wait_alu 0xfffe
	v_mul_hi_u32 v12, v10, s0
	s_cmp_lg_u32 s14, 0
	v_mad_co_u64_u32 v[5:6], null, v11, s0, 0
	s_add_co_ci_u32 s14, s39, s41
	s_wait_alu 0xfffe
	v_mad_co_u64_u32 v[3:4], null, v10, s14, 0
	v_mad_co_u64_u32 v[7:8], null, v11, s14, 0
	s_delay_alu instid0(VALU_DEP_2) | instskip(SKIP_1) | instid1(VALU_DEP_3)
	v_add_co_u32 v3, vcc_lo, v12, v3
	s_wait_alu 0xfffd
	v_add_co_ci_u32_e64 v4, null, 0, v4, vcc_lo
	s_delay_alu instid0(VALU_DEP_2) | instskip(SKIP_1) | instid1(VALU_DEP_2)
	v_add_co_u32 v3, vcc_lo, v3, v5
	s_wait_alu 0xfffd
	v_add_co_ci_u32_e32 v3, vcc_lo, v4, v6, vcc_lo
	s_wait_alu 0xfffd
	v_add_co_ci_u32_e32 v4, vcc_lo, 0, v8, vcc_lo
	s_delay_alu instid0(VALU_DEP_2) | instskip(SKIP_1) | instid1(VALU_DEP_2)
	v_add_co_u32 v5, vcc_lo, v3, v7
	s_wait_alu 0xfffd
	v_add_co_ci_u32_e64 v6, null, 0, v4, vcc_lo
	s_delay_alu instid0(VALU_DEP_2) | instskip(SKIP_1) | instid1(VALU_DEP_3)
	v_mul_lo_u32 v7, s3, v5
	v_mad_co_u64_u32 v[3:4], null, s2, v5, 0
	v_mul_lo_u32 v8, s2, v6
	s_delay_alu instid0(VALU_DEP_2) | instskip(NEXT) | instid1(VALU_DEP_2)
	v_sub_co_u32 v3, vcc_lo, v10, v3
	v_add3_u32 v4, v4, v8, v7
	v_add_co_u32 v8, s0, v5, 2
	s_wait_alu 0xf1ff
	v_add_co_ci_u32_e64 v10, null, 0, v6, s0
	s_delay_alu instid0(VALU_DEP_3) | instskip(SKIP_3) | instid1(VALU_DEP_3)
	v_sub_nc_u32_e32 v7, v11, v4
	v_sub_co_u32 v12, s0, v3, s2
	s_wait_alu 0xfffd
	v_sub_co_ci_u32_e64 v4, null, v11, v4, vcc_lo
	v_subrev_co_ci_u32_e64 v7, null, s3, v7, vcc_lo
	s_delay_alu instid0(VALU_DEP_3) | instskip(SKIP_1) | instid1(VALU_DEP_2)
	v_cmp_le_u32_e32 vcc_lo, s2, v12
	s_wait_alu 0xf1ff
	v_subrev_co_ci_u32_e64 v7, null, 0, v7, s0
	s_wait_alu 0xfffd
	v_cndmask_b32_e64 v11, 0, -1, vcc_lo
	s_delay_alu instid0(VALU_DEP_2)
	v_cmp_le_u32_e32 vcc_lo, s3, v7
	s_wait_alu 0xfffd
	v_cndmask_b32_e64 v12, 0, -1, vcc_lo
	v_cmp_le_u32_e32 vcc_lo, s2, v3
	s_wait_alu 0xfffd
	v_cndmask_b32_e64 v3, 0, -1, vcc_lo
	;; [unrolled: 3-line block ×3, first 2 shown]
	v_cmp_eq_u32_e32 vcc_lo, s3, v7
	s_wait_alu 0xfffd
	v_cndmask_b32_e32 v7, v12, v11, vcc_lo
	v_add_co_u32 v11, vcc_lo, v5, 1
	s_wait_alu 0xfffd
	v_add_co_ci_u32_e64 v12, null, 0, v6, vcc_lo
	v_cmp_eq_u32_e32 vcc_lo, s3, v4
	s_wait_alu 0xfffd
	v_cndmask_b32_e32 v3, v13, v3, vcc_lo
	v_cmp_ne_u32_e32 vcc_lo, 0, v7
	v_xor_b32_e32 v7, s36, v9
	s_wait_alu 0xfffd
	v_cndmask_b32_e32 v4, v12, v10, vcc_lo
	v_cmp_ne_u32_e64 s0, 0, v3
	v_cndmask_b32_e32 v3, v11, v8, vcc_lo
	s_wait_alu 0xf1ff
	s_delay_alu instid0(VALU_DEP_2) | instskip(NEXT) | instid1(VALU_DEP_2)
	v_cndmask_b32_e64 v4, v6, v4, s0
	v_cndmask_b32_e64 v3, v5, v3, s0
	s_delay_alu instid0(VALU_DEP_2) | instskip(NEXT) | instid1(VALU_DEP_2)
	v_xor_b32_e32 v4, v4, v7
	v_xor_b32_e32 v3, v3, v7
	s_delay_alu instid0(VALU_DEP_1) | instskip(SKIP_1) | instid1(VALU_DEP_3)
	v_sub_co_u32 v6, vcc_lo, v3, v7
	s_wait_alu 0xfffd
	v_sub_co_ci_u32_e64 v7, null, v4, v7, vcc_lo
.LBB38_5:                               ;   in Loop: Header=BB38_3 Depth=1
	s_wait_alu 0xfffe
	s_and_not1_saveexec_b32 s0, s1
	s_cbranch_execz .LBB38_7
; %bb.6:                                ;   in Loop: Header=BB38_3 Depth=1
	s_sub_co_i32 s1, 0, s8
	v_mov_b32_e32 v7, v2
	s_wait_alu 0xfffe
	v_mul_lo_u32 v3, s1, v20
	s_delay_alu instid0(VALU_DEP_1) | instskip(NEXT) | instid1(VALU_DEP_1)
	v_mul_hi_u32 v3, v20, v3
	v_add_nc_u32_e32 v3, v20, v3
	s_delay_alu instid0(VALU_DEP_1) | instskip(NEXT) | instid1(VALU_DEP_1)
	v_mul_hi_u32 v3, v0, v3
	v_mul_lo_u32 v4, v3, s8
	s_delay_alu instid0(VALU_DEP_1) | instskip(NEXT) | instid1(VALU_DEP_1)
	v_sub_nc_u32_e32 v4, v0, v4
	v_subrev_nc_u32_e32 v6, s8, v4
	v_cmp_le_u32_e32 vcc_lo, s8, v4
	s_wait_alu 0xfffd
	s_delay_alu instid0(VALU_DEP_2) | instskip(NEXT) | instid1(VALU_DEP_1)
	v_dual_cndmask_b32 v4, v4, v6 :: v_dual_add_nc_u32 v5, 1, v3
	v_cndmask_b32_e32 v3, v3, v5, vcc_lo
	s_delay_alu instid0(VALU_DEP_2) | instskip(NEXT) | instid1(VALU_DEP_2)
	v_cmp_le_u32_e32 vcc_lo, s8, v4
	v_add_nc_u32_e32 v5, 1, v3
	s_wait_alu 0xfffd
	s_delay_alu instid0(VALU_DEP_1)
	v_cndmask_b32_e32 v6, v3, v5, vcc_lo
.LBB38_7:                               ;   in Loop: Header=BB38_3 Depth=1
	s_wait_alu 0xfffe
	s_or_b32 exec_lo, exec_lo, s0
	v_or_b32_e32 v3, s13, v7
                                        ; implicit-def: $vgpr8_vgpr9
	s_mov_b32 s0, exec_lo
	s_delay_alu instid0(VALU_DEP_1)
	v_cmpx_ne_u64_e32 0, v[2:3]
	s_wait_alu 0xfffe
	s_xor_b32 s1, exec_lo, s0
	s_cbranch_execz .LBB38_9
; %bb.8:                                ;   in Loop: Header=BB38_3 Depth=1
	s_ashr_i32 s2, s13, 31
	v_ashrrev_i32_e32 v5, 31, v7
	s_wait_alu 0xfffe
	s_mov_b32 s3, s2
	s_wait_alu 0xfffe
	s_add_nc_u64 s[38:39], s[12:13], s[2:3]
	v_add_co_u32 v3, vcc_lo, v6, v5
	s_wait_alu 0xfffe
	s_xor_b64 s[38:39], s[38:39], s[2:3]
	s_wait_alu 0xfffd
	v_add_co_ci_u32_e64 v4, null, v7, v5, vcc_lo
	s_wait_alu 0xfffe
	s_cvt_f32_u32 s0, s38
	s_cvt_f32_u32 s3, s39
	s_sub_nc_u64 s[42:43], 0, s[38:39]
	v_xor_b32_e32 v12, v3, v5
	v_xor_b32_e32 v13, v4, v5
	s_wait_alu 0xfffe
	s_fmamk_f32 s0, s3, 0x4f800000, s0
	v_xor_b32_e32 v5, s2, v5
	s_wait_alu 0xfffe
	s_delay_alu instid0(SALU_CYCLE_1) | instskip(NEXT) | instid1(TRANS32_DEP_1)
	v_s_rcp_f32 s0, s0
	s_mul_f32 s0, s0, 0x5f7ffffc
	s_wait_alu 0xfffe
	s_delay_alu instid0(SALU_CYCLE_2) | instskip(SKIP_1) | instid1(SALU_CYCLE_2)
	s_mul_f32 s3, s0, 0x2f800000
	s_wait_alu 0xfffe
	s_trunc_f32 s3, s3
	s_wait_alu 0xfffe
	s_delay_alu instid0(SALU_CYCLE_2) | instskip(SKIP_2) | instid1(SALU_CYCLE_1)
	s_fmamk_f32 s0, s3, 0xcf800000, s0
	s_cvt_u32_f32 s41, s3
	s_wait_alu 0xfffe
	s_cvt_u32_f32 s40, s0
	s_delay_alu instid0(SALU_CYCLE_3)
	s_mul_u64 s[44:45], s[42:43], s[40:41]
	s_wait_alu 0xfffe
	s_mul_hi_u32 s47, s40, s45
	s_mul_i32 s46, s40, s45
	s_mul_hi_u32 s14, s40, s44
	s_mul_i32 s3, s41, s44
	s_wait_alu 0xfffe
	s_add_nc_u64 s[46:47], s[14:15], s[46:47]
	s_mul_hi_u32 s0, s41, s44
	s_mul_hi_u32 s37, s41, s45
	s_wait_alu 0xfffe
	s_add_co_u32 s3, s46, s3
	s_add_co_ci_u32 s14, s47, s0
	s_mul_i32 s44, s41, s45
	s_add_co_ci_u32 s45, s37, 0
	s_wait_alu 0xfffe
	s_add_nc_u64 s[44:45], s[14:15], s[44:45]
	s_wait_alu 0xfffe
	s_add_co_u32 s40, s40, s44
	s_cselect_b32 s0, -1, 0
	s_wait_alu 0xfffe
	s_cmp_lg_u32 s0, 0
	s_add_co_ci_u32 s41, s41, s45
	s_delay_alu instid0(SALU_CYCLE_1) | instskip(NEXT) | instid1(SALU_CYCLE_1)
	s_mul_u64 s[42:43], s[42:43], s[40:41]
	s_mul_hi_u32 s45, s40, s43
	s_mul_i32 s44, s40, s43
	s_mul_hi_u32 s14, s40, s42
	s_mul_i32 s3, s41, s42
	s_wait_alu 0xfffe
	s_add_nc_u64 s[44:45], s[14:15], s[44:45]
	s_mul_hi_u32 s0, s41, s42
	s_mul_hi_u32 s37, s41, s43
	s_wait_alu 0xfffe
	s_add_co_u32 s3, s44, s3
	s_add_co_ci_u32 s14, s45, s0
	s_mul_i32 s42, s41, s43
	s_add_co_ci_u32 s43, s37, 0
	s_wait_alu 0xfffe
	s_add_nc_u64 s[42:43], s[14:15], s[42:43]
	s_delay_alu instid0(SALU_CYCLE_1)
	s_add_co_u32 s0, s40, s42
	s_cselect_b32 s3, -1, 0
	s_wait_alu 0xfffe
	v_mul_hi_u32 v14, v12, s0
	s_cmp_lg_u32 s3, 0
	v_mad_co_u64_u32 v[8:9], null, v13, s0, 0
	s_add_co_ci_u32 s3, s41, s43
	s_wait_alu 0xfffe
	v_mad_co_u64_u32 v[3:4], null, v12, s3, 0
	v_mad_co_u64_u32 v[10:11], null, v13, s3, 0
	s_delay_alu instid0(VALU_DEP_2) | instskip(SKIP_1) | instid1(VALU_DEP_3)
	v_add_co_u32 v3, vcc_lo, v14, v3
	s_wait_alu 0xfffd
	v_add_co_ci_u32_e64 v4, null, 0, v4, vcc_lo
	s_delay_alu instid0(VALU_DEP_2) | instskip(SKIP_1) | instid1(VALU_DEP_2)
	v_add_co_u32 v3, vcc_lo, v3, v8
	s_wait_alu 0xfffd
	v_add_co_ci_u32_e32 v3, vcc_lo, v4, v9, vcc_lo
	s_wait_alu 0xfffd
	v_add_co_ci_u32_e32 v4, vcc_lo, 0, v11, vcc_lo
	s_delay_alu instid0(VALU_DEP_2) | instskip(SKIP_1) | instid1(VALU_DEP_2)
	v_add_co_u32 v8, vcc_lo, v3, v10
	s_wait_alu 0xfffd
	v_add_co_ci_u32_e64 v9, null, 0, v4, vcc_lo
	s_delay_alu instid0(VALU_DEP_2) | instskip(SKIP_1) | instid1(VALU_DEP_3)
	v_mul_lo_u32 v10, s39, v8
	v_mad_co_u64_u32 v[3:4], null, s38, v8, 0
	v_mul_lo_u32 v11, s38, v9
	s_delay_alu instid0(VALU_DEP_2) | instskip(NEXT) | instid1(VALU_DEP_2)
	v_sub_co_u32 v3, vcc_lo, v12, v3
	v_add3_u32 v4, v4, v11, v10
	v_add_co_u32 v11, s0, v8, 2
	s_wait_alu 0xf1ff
	v_add_co_ci_u32_e64 v12, null, 0, v9, s0
	s_delay_alu instid0(VALU_DEP_3) | instskip(SKIP_3) | instid1(VALU_DEP_3)
	v_sub_nc_u32_e32 v10, v13, v4
	v_sub_co_u32 v14, s0, v3, s38
	s_wait_alu 0xfffd
	v_sub_co_ci_u32_e64 v4, null, v13, v4, vcc_lo
	v_subrev_co_ci_u32_e64 v10, null, s39, v10, vcc_lo
	s_delay_alu instid0(VALU_DEP_3) | instskip(SKIP_1) | instid1(VALU_DEP_2)
	v_cmp_le_u32_e32 vcc_lo, s38, v14
	s_wait_alu 0xf1ff
	v_subrev_co_ci_u32_e64 v10, null, 0, v10, s0
	s_wait_alu 0xfffd
	v_cndmask_b32_e64 v13, 0, -1, vcc_lo
	s_delay_alu instid0(VALU_DEP_2)
	v_cmp_le_u32_e32 vcc_lo, s39, v10
	s_wait_alu 0xfffd
	v_cndmask_b32_e64 v14, 0, -1, vcc_lo
	v_cmp_le_u32_e32 vcc_lo, s38, v3
	s_wait_alu 0xfffd
	v_cndmask_b32_e64 v3, 0, -1, vcc_lo
	;; [unrolled: 3-line block ×3, first 2 shown]
	v_cmp_eq_u32_e32 vcc_lo, s39, v10
	s_wait_alu 0xfffd
	v_cndmask_b32_e32 v10, v14, v13, vcc_lo
	v_add_co_u32 v13, vcc_lo, v8, 1
	s_wait_alu 0xfffd
	v_add_co_ci_u32_e64 v14, null, 0, v9, vcc_lo
	v_cmp_eq_u32_e32 vcc_lo, s39, v4
	s_wait_alu 0xfffd
	v_cndmask_b32_e32 v3, v15, v3, vcc_lo
	v_cmp_ne_u32_e32 vcc_lo, 0, v10
	s_delay_alu instid0(VALU_DEP_2) | instskip(SKIP_3) | instid1(VALU_DEP_1)
	v_cmp_ne_u32_e64 s0, 0, v3
	s_wait_alu 0xfffd
	v_dual_cndmask_b32 v4, v14, v12 :: v_dual_cndmask_b32 v3, v13, v11
	s_wait_alu 0xf1ff
	v_cndmask_b32_e64 v4, v9, v4, s0
	s_delay_alu instid0(VALU_DEP_2) | instskip(NEXT) | instid1(VALU_DEP_2)
	v_cndmask_b32_e64 v3, v8, v3, s0
	v_xor_b32_e32 v4, v4, v5
	s_delay_alu instid0(VALU_DEP_2) | instskip(NEXT) | instid1(VALU_DEP_1)
	v_xor_b32_e32 v3, v3, v5
	v_sub_co_u32 v8, vcc_lo, v3, v5
	s_wait_alu 0xfffd
	s_delay_alu instid0(VALU_DEP_3)
	v_sub_co_ci_u32_e64 v9, null, v4, v5, vcc_lo
.LBB38_9:                               ;   in Loop: Header=BB38_3 Depth=1
	s_wait_alu 0xfffe
	s_and_not1_saveexec_b32 s0, s1
	s_cbranch_execz .LBB38_11
; %bb.10:                               ;   in Loop: Header=BB38_3 Depth=1
	s_sub_co_i32 s1, 0, s12
	v_mov_b32_e32 v9, v2
	s_wait_alu 0xfffe
	v_mul_lo_u32 v3, s1, v21
	s_delay_alu instid0(VALU_DEP_1) | instskip(NEXT) | instid1(VALU_DEP_1)
	v_mul_hi_u32 v3, v21, v3
	v_add_nc_u32_e32 v3, v21, v3
	s_delay_alu instid0(VALU_DEP_1) | instskip(NEXT) | instid1(VALU_DEP_1)
	v_mul_hi_u32 v3, v6, v3
	v_mul_lo_u32 v4, v3, s12
	v_add_nc_u32_e32 v5, 1, v3
	s_delay_alu instid0(VALU_DEP_2) | instskip(NEXT) | instid1(VALU_DEP_1)
	v_sub_nc_u32_e32 v4, v6, v4
	v_subrev_nc_u32_e32 v8, s12, v4
	v_cmp_le_u32_e32 vcc_lo, s12, v4
	s_wait_alu 0xfffd
	s_delay_alu instid0(VALU_DEP_2) | instskip(NEXT) | instid1(VALU_DEP_1)
	v_dual_cndmask_b32 v4, v4, v8 :: v_dual_cndmask_b32 v3, v3, v5
	v_cmp_le_u32_e32 vcc_lo, s12, v4
	s_delay_alu instid0(VALU_DEP_2) | instskip(SKIP_1) | instid1(VALU_DEP_1)
	v_add_nc_u32_e32 v5, 1, v3
	s_wait_alu 0xfffd
	v_cndmask_b32_e32 v8, v3, v5, vcc_lo
.LBB38_11:                              ;   in Loop: Header=BB38_3 Depth=1
	s_wait_alu 0xfffe
	s_or_b32 exec_lo, exec_lo, s0
	v_mul_lo_u32 v5, v7, s8
	v_mul_lo_u32 v12, v6, s9
	v_mad_co_u64_u32 v[3:4], null, v6, s8, 0
	v_mul_lo_u32 v13, v9, s12
	v_mul_lo_u32 v14, v8, s13
	v_mad_co_u64_u32 v[10:11], null, v8, s12, 0
	s_mov_b32 s37, exec_lo
	v_add3_u32 v5, v4, v12, v5
	v_sub_co_u32 v4, vcc_lo, v0, v3
	v_add3_u32 v11, v11, v14, v13
	s_wait_alu 0xfffd
	s_delay_alu instid0(VALU_DEP_3) | instskip(SKIP_3) | instid1(VALU_DEP_2)
	v_sub_co_ci_u32_e64 v5, null, v1, v5, vcc_lo
	v_sub_co_u32 v22, vcc_lo, v6, v10
	s_wait_alu 0xfffd
	v_sub_co_ci_u32_e64 v23, null, v7, v11, vcc_lo
	v_sub_co_u32 v6, vcc_lo, v4, v22
	s_wait_alu 0xfffd
	s_delay_alu instid0(VALU_DEP_2) | instskip(NEXT) | instid1(VALU_DEP_2)
	v_sub_co_ci_u32_e64 v7, null, v5, v23, vcc_lo
	v_add_co_u32 v10, vcc_lo, v6, 2
	s_wait_alu 0xfffd
	s_delay_alu instid0(VALU_DEP_2) | instskip(NEXT) | instid1(VALU_DEP_1)
	v_add_co_ci_u32_e64 v11, null, 0, v7, vcc_lo
	v_cmpx_lt_i64_e64 s[4:5], v[10:11]
	s_cbranch_execz .LBB38_2
; %bb.12:                               ;   in Loop: Header=BB38_3 Depth=1
	s_load_b128 s[0:3], s[22:23], 0xc0
	s_and_not1_b32 vcc_lo, exec_lo, s33
	s_wait_kmcnt 0x0
	v_mul_lo_u32 v3, s3, v4
	v_mul_lo_u32 v12, s2, v5
	v_mad_co_u64_u32 v[10:11], null, s2, v4, 0
	s_delay_alu instid0(VALU_DEP_1) | instskip(SKIP_2) | instid1(VALU_DEP_3)
	v_add3_u32 v11, v11, v12, v3
	v_mul_lo_u32 v3, s0, v23
	v_mul_lo_u32 v12, s1, v22
	v_mad_co_u64_u32 v[10:11], null, s0, v22, v[10:11]
	s_delay_alu instid0(VALU_DEP_1)
	v_add3_u32 v11, v12, v11, v3
	s_wait_alu 0xfffe
	s_cbranch_vccnz .LBB38_38
; %bb.13:                               ;   in Loop: Header=BB38_3 Depth=1
	s_mov_b64 s[38:39], s[26:27]
	s_mov_b64 s[40:41], s[30:31]
	s_and_not1_b32 vcc_lo, exec_lo, s63
	s_mov_b64 s[44:45], s[28:29]
	s_mov_b64 s[42:43], s[20:21]
	s_wait_alu 0xfffe
	s_cbranch_vccz .LBB38_17
.LBB38_14:                              ;   in Loop: Header=BB38_3 Depth=1
	s_and_not1_b32 vcc_lo, exec_lo, s64
	s_wait_alu 0xfffe
	s_cbranch_vccnz .LBB38_38
; %bb.15:                               ;   in Loop: Header=BB38_3 Depth=1
	s_lshl_b64 s[0:1], s[42:43], 3
	s_add_nc_u64 s[42:43], s[42:43], 1
	s_wait_alu 0xfffe
	s_add_nc_u64 s[38:39], s[16:17], s[0:1]
	s_add_nc_u64 s[40:41], s[34:35], s[0:1]
	s_branch .LBB38_22
.LBB38_16:                              ;   in Loop: Header=BB38_17 Depth=2
	s_wait_alu 0xfffe
	s_or_b32 exec_lo, exec_lo, s0
	s_load_b64 s[0:1], s[44:45], 0x0
	v_mul_lo_u32 v3, v13, s46
	v_mul_lo_u32 v16, v12, s47
	v_mad_co_u64_u32 v[14:15], null, v12, s46, 0
	s_add_nc_u64 s[38:39], s[38:39], -1
	s_add_nc_u64 s[42:43], s[42:43], -1
	;; [unrolled: 1-line block ×3, first 2 shown]
	s_wait_alu 0xfffe
	s_cmp_lg_u64 s[38:39], 0
	s_add_nc_u64 s[40:41], s[40:41], -8
	v_add3_u32 v3, v15, v16, v3
	v_sub_co_u32 v8, vcc_lo, v8, v14
	s_wait_alu 0xfffd
	s_delay_alu instid0(VALU_DEP_2) | instskip(SKIP_1) | instid1(VALU_DEP_2)
	v_sub_co_ci_u32_e64 v3, null, v9, v3, vcc_lo
	s_wait_kmcnt 0x0
	v_mul_lo_u32 v9, s1, v8
	s_delay_alu instid0(VALU_DEP_2) | instskip(SKIP_1) | instid1(VALU_DEP_1)
	v_mul_lo_u32 v3, s0, v3
	v_mad_co_u64_u32 v[10:11], null, s0, v8, v[10:11]
	v_add3_u32 v11, v9, v11, v3
	v_dual_mov_b32 v8, v12 :: v_dual_mov_b32 v9, v13
	s_cbranch_scc0 .LBB38_14
.LBB38_17:                              ;   Parent Loop BB38_3 Depth=1
                                        ; =>  This Inner Loop Header: Depth=2
	s_load_b64 s[46:47], s[40:41], 0x0
                                        ; implicit-def: $vgpr12_vgpr13
	s_mov_b32 s0, exec_lo
	s_wait_kmcnt 0x0
	v_or_b32_e32 v3, s47, v9
	s_delay_alu instid0(VALU_DEP_1)
	v_cmpx_ne_u64_e32 0, v[2:3]
	s_wait_alu 0xfffe
	s_xor_b32 s1, exec_lo, s0
	s_cbranch_execz .LBB38_19
; %bb.18:                               ;   in Loop: Header=BB38_17 Depth=2
	s_ashr_i32 s48, s47, 31
	v_ashrrev_i32_e32 v3, 31, v9
	s_wait_alu 0xfffe
	s_mov_b32 s49, s48
	s_wait_alu 0xfffe
	s_add_nc_u64 s[50:51], s[46:47], s[48:49]
	v_add_co_u32 v12, vcc_lo, v8, v3
	s_wait_alu 0xfffe
	s_xor_b64 s[50:51], s[50:51], s[48:49]
	s_wait_alu 0xfffd
	v_add_co_ci_u32_e64 v13, null, v9, v3, vcc_lo
	s_wait_alu 0xfffe
	s_cvt_f32_u32 s0, s50
	s_cvt_f32_u32 s14, s51
	s_sub_nc_u64 s[54:55], 0, s[50:51]
	v_xor_b32_e32 v18, v12, v3
	v_xor_b32_e32 v19, v13, v3
	s_wait_alu 0xfffe
	s_fmamk_f32 s0, s14, 0x4f800000, s0
	v_xor_b32_e32 v3, s48, v3
	s_wait_alu 0xfffe
	s_delay_alu instid0(SALU_CYCLE_1) | instskip(NEXT) | instid1(TRANS32_DEP_1)
	v_s_rcp_f32 s0, s0
	s_mul_f32 s0, s0, 0x5f7ffffc
	s_wait_alu 0xfffe
	s_delay_alu instid0(SALU_CYCLE_2) | instskip(SKIP_1) | instid1(SALU_CYCLE_2)
	s_mul_f32 s14, s0, 0x2f800000
	s_wait_alu 0xfffe
	s_trunc_f32 s14, s14
	s_wait_alu 0xfffe
	s_delay_alu instid0(SALU_CYCLE_2) | instskip(SKIP_2) | instid1(SALU_CYCLE_1)
	s_fmamk_f32 s0, s14, 0xcf800000, s0
	s_cvt_u32_f32 s53, s14
	s_wait_alu 0xfffe
	s_cvt_u32_f32 s52, s0
	s_wait_alu 0xfffe
	s_delay_alu instid0(SALU_CYCLE_2)
	s_mul_u64 s[56:57], s[54:55], s[52:53]
	s_wait_alu 0xfffe
	s_mul_hi_u32 s59, s52, s57
	s_mul_i32 s58, s52, s57
	s_mul_hi_u32 s14, s52, s56
	s_mul_i32 s49, s53, s56
	s_wait_alu 0xfffe
	s_add_nc_u64 s[58:59], s[14:15], s[58:59]
	s_mul_hi_u32 s0, s53, s56
	s_mul_hi_u32 s60, s53, s57
	s_wait_alu 0xfffe
	s_add_co_u32 s14, s58, s49
	s_add_co_ci_u32 s14, s59, s0
	s_mul_i32 s56, s53, s57
	s_add_co_ci_u32 s57, s60, 0
	s_wait_alu 0xfffe
	s_add_nc_u64 s[56:57], s[14:15], s[56:57]
	s_wait_alu 0xfffe
	s_add_co_u32 s52, s52, s56
	s_cselect_b32 s0, -1, 0
	s_wait_alu 0xfffe
	s_cmp_lg_u32 s0, 0
	s_add_co_ci_u32 s53, s53, s57
	s_wait_alu 0xfffe
	s_mul_u64 s[54:55], s[54:55], s[52:53]
	s_wait_alu 0xfffe
	s_mul_hi_u32 s57, s52, s55
	s_mul_i32 s56, s52, s55
	s_mul_hi_u32 s14, s52, s54
	s_mul_i32 s49, s53, s54
	s_wait_alu 0xfffe
	s_add_nc_u64 s[56:57], s[14:15], s[56:57]
	s_mul_hi_u32 s0, s53, s54
	s_mul_hi_u32 s58, s53, s55
	s_wait_alu 0xfffe
	s_add_co_u32 s14, s56, s49
	s_add_co_ci_u32 s14, s57, s0
	s_mul_i32 s54, s53, s55
	s_add_co_ci_u32 s55, s58, 0
	s_wait_alu 0xfffe
	s_add_nc_u64 s[54:55], s[14:15], s[54:55]
	s_wait_alu 0xfffe
	s_add_co_u32 s0, s52, s54
	s_cselect_b32 s14, -1, 0
	s_wait_alu 0xfffe
	v_mul_hi_u32 v24, v18, s0
	s_cmp_lg_u32 s14, 0
	v_mad_co_u64_u32 v[14:15], null, v19, s0, 0
	s_add_co_ci_u32 s14, s53, s55
	s_wait_alu 0xfffe
	v_mad_co_u64_u32 v[12:13], null, v18, s14, 0
	v_mad_co_u64_u32 v[16:17], null, v19, s14, 0
	s_delay_alu instid0(VALU_DEP_2) | instskip(SKIP_1) | instid1(VALU_DEP_3)
	v_add_co_u32 v12, vcc_lo, v24, v12
	s_wait_alu 0xfffd
	v_add_co_ci_u32_e64 v13, null, 0, v13, vcc_lo
	s_delay_alu instid0(VALU_DEP_2) | instskip(SKIP_1) | instid1(VALU_DEP_2)
	v_add_co_u32 v12, vcc_lo, v12, v14
	s_wait_alu 0xfffd
	v_add_co_ci_u32_e32 v12, vcc_lo, v13, v15, vcc_lo
	s_wait_alu 0xfffd
	v_add_co_ci_u32_e32 v13, vcc_lo, 0, v17, vcc_lo
	s_delay_alu instid0(VALU_DEP_2) | instskip(SKIP_1) | instid1(VALU_DEP_2)
	v_add_co_u32 v14, vcc_lo, v12, v16
	s_wait_alu 0xfffd
	v_add_co_ci_u32_e64 v15, null, 0, v13, vcc_lo
	s_delay_alu instid0(VALU_DEP_2) | instskip(SKIP_1) | instid1(VALU_DEP_3)
	v_mul_lo_u32 v16, s51, v14
	v_mad_co_u64_u32 v[12:13], null, s50, v14, 0
	v_mul_lo_u32 v17, s50, v15
	s_delay_alu instid0(VALU_DEP_2) | instskip(NEXT) | instid1(VALU_DEP_2)
	v_sub_co_u32 v12, vcc_lo, v18, v12
	v_add3_u32 v13, v13, v17, v16
	v_add_co_u32 v17, s0, v14, 2
	s_wait_alu 0xf1ff
	v_add_co_ci_u32_e64 v18, null, 0, v15, s0
	s_delay_alu instid0(VALU_DEP_3) | instskip(SKIP_3) | instid1(VALU_DEP_3)
	v_sub_nc_u32_e32 v16, v19, v13
	v_sub_co_u32 v24, s0, v12, s50
	s_wait_alu 0xfffd
	v_sub_co_ci_u32_e64 v13, null, v19, v13, vcc_lo
	v_subrev_co_ci_u32_e64 v16, null, s51, v16, vcc_lo
	s_delay_alu instid0(VALU_DEP_3) | instskip(SKIP_1) | instid1(VALU_DEP_2)
	v_cmp_le_u32_e32 vcc_lo, s50, v24
	s_wait_alu 0xf1ff
	v_subrev_co_ci_u32_e64 v16, null, 0, v16, s0
	s_wait_alu 0xfffd
	v_cndmask_b32_e64 v19, 0, -1, vcc_lo
	s_delay_alu instid0(VALU_DEP_2)
	v_cmp_le_u32_e32 vcc_lo, s51, v16
	s_wait_alu 0xfffd
	v_cndmask_b32_e64 v24, 0, -1, vcc_lo
	v_cmp_le_u32_e32 vcc_lo, s50, v12
	s_wait_alu 0xfffd
	v_cndmask_b32_e64 v12, 0, -1, vcc_lo
	;; [unrolled: 3-line block ×3, first 2 shown]
	v_cmp_eq_u32_e32 vcc_lo, s51, v16
	s_wait_alu 0xfffd
	v_cndmask_b32_e32 v16, v24, v19, vcc_lo
	v_add_co_u32 v19, vcc_lo, v14, 1
	s_wait_alu 0xfffd
	v_add_co_ci_u32_e64 v24, null, 0, v15, vcc_lo
	v_cmp_eq_u32_e32 vcc_lo, s51, v13
	s_wait_alu 0xfffd
	v_cndmask_b32_e32 v12, v25, v12, vcc_lo
	v_cmp_ne_u32_e32 vcc_lo, 0, v16
	s_wait_alu 0xfffd
	v_cndmask_b32_e32 v13, v24, v18, vcc_lo
	s_delay_alu instid0(VALU_DEP_3) | instskip(SKIP_2) | instid1(VALU_DEP_2)
	v_cmp_ne_u32_e64 s0, 0, v12
	v_cndmask_b32_e32 v12, v19, v17, vcc_lo
	s_wait_alu 0xf1ff
	v_cndmask_b32_e64 v13, v15, v13, s0
	s_delay_alu instid0(VALU_DEP_2) | instskip(NEXT) | instid1(VALU_DEP_2)
	v_cndmask_b32_e64 v12, v14, v12, s0
	v_xor_b32_e32 v13, v13, v3
	s_delay_alu instid0(VALU_DEP_2) | instskip(NEXT) | instid1(VALU_DEP_1)
	v_xor_b32_e32 v12, v12, v3
	v_sub_co_u32 v12, vcc_lo, v12, v3
	s_wait_alu 0xfffd
	s_delay_alu instid0(VALU_DEP_3)
	v_sub_co_ci_u32_e64 v13, null, v13, v3, vcc_lo
.LBB38_19:                              ;   in Loop: Header=BB38_17 Depth=2
	s_wait_alu 0xfffe
	s_and_not1_saveexec_b32 s0, s1
	s_cbranch_execz .LBB38_16
; %bb.20:                               ;   in Loop: Header=BB38_17 Depth=2
	v_cvt_f32_u32_e32 v3, s46
	s_sub_co_i32 s1, 0, s46
	s_delay_alu instid0(VALU_DEP_1) | instskip(NEXT) | instid1(TRANS32_DEP_1)
	v_rcp_iflag_f32_e32 v3, v3
	v_mul_f32_e32 v3, 0x4f7ffffe, v3
	s_delay_alu instid0(VALU_DEP_1) | instskip(SKIP_1) | instid1(VALU_DEP_1)
	v_cvt_u32_f32_e32 v3, v3
	s_wait_alu 0xfffe
	v_mul_lo_u32 v12, s1, v3
	s_delay_alu instid0(VALU_DEP_1) | instskip(NEXT) | instid1(VALU_DEP_1)
	v_mul_hi_u32 v12, v3, v12
	v_add_nc_u32_e32 v3, v3, v12
	s_delay_alu instid0(VALU_DEP_1) | instskip(NEXT) | instid1(VALU_DEP_1)
	v_mul_hi_u32 v3, v8, v3
	v_mul_lo_u32 v12, v3, s46
	v_add_nc_u32_e32 v13, 1, v3
	s_delay_alu instid0(VALU_DEP_2) | instskip(NEXT) | instid1(VALU_DEP_1)
	v_sub_nc_u32_e32 v12, v8, v12
	v_subrev_nc_u32_e32 v14, s46, v12
	v_cmp_le_u32_e32 vcc_lo, s46, v12
	s_wait_alu 0xfffd
	s_delay_alu instid0(VALU_DEP_2) | instskip(NEXT) | instid1(VALU_DEP_1)
	v_dual_cndmask_b32 v12, v12, v14 :: v_dual_cndmask_b32 v3, v3, v13
	v_cmp_le_u32_e32 vcc_lo, s46, v12
	s_delay_alu instid0(VALU_DEP_2) | instskip(SKIP_1) | instid1(VALU_DEP_1)
	v_add_nc_u32_e32 v13, 1, v3
	s_wait_alu 0xfffd
	v_dual_cndmask_b32 v12, v3, v13 :: v_dual_mov_b32 v13, v2
	s_branch .LBB38_16
.LBB38_21:                              ;   in Loop: Header=BB38_22 Depth=2
	s_wait_alu 0xfffe
	s_or_b32 exec_lo, exec_lo, s0
	v_mul_lo_u32 v3, v13, s44
	v_mul_lo_u32 v28, v12, s45
	v_mad_co_u64_u32 v[24:25], null, v12, s44, 0
	v_mul_lo_u32 v29, v15, s48
	v_mul_lo_u32 v30, v14, s49
	v_mad_co_u64_u32 v[26:27], null, v14, s48, 0
	s_load_b64 s[0:1], s[38:39], 0x0
	s_add_nc_u64 s[42:43], s[42:43], -4
	v_add3_u32 v3, v25, v28, v3
	v_sub_co_u32 v8, vcc_lo, v8, v24
	v_mul_lo_u32 v24, v17, s52
	v_add3_u32 v25, v27, v30, v29
	s_wait_alu 0xfffd
	v_sub_co_ci_u32_e64 v3, null, v9, v3, vcc_lo
	v_mul_lo_u32 v27, s47, v8
	v_mad_co_u64_u32 v[8:9], null, s46, v8, v[10:11]
	s_delay_alu instid0(VALU_DEP_3)
	v_mul_lo_u32 v3, s46, v3
	v_mul_lo_u32 v28, v16, s53
	v_mad_co_u64_u32 v[10:11], null, v16, s52, 0
	v_sub_co_u32 v12, vcc_lo, v12, v26
	s_wait_alu 0xfffd
	v_sub_co_ci_u32_e64 v13, null, v13, v25, vcc_lo
	v_add3_u32 v9, v27, v9, v3
	s_add_nc_u64 s[38:39], s[38:39], s[18:19]
	s_delay_alu instid0(VALU_DEP_4)
	v_add3_u32 v3, v11, v28, v24
	v_mul_lo_u32 v24, s51, v12
	v_mul_lo_u32 v13, s50, v13
	v_mad_co_u64_u32 v[8:9], null, s50, v12, v[8:9]
	v_sub_co_u32 v12, vcc_lo, v14, v10
	s_wait_alu 0xfffd
	v_sub_co_ci_u32_e64 v3, null, v15, v3, vcc_lo
	v_mul_lo_u32 v14, v19, s56
	v_mul_lo_u32 v15, v18, s57
	v_mad_co_u64_u32 v[10:11], null, v18, s56, 0
	v_add3_u32 v9, v24, v9, v13
	v_mul_lo_u32 v3, s54, v3
	s_cmp_eq_u64 s[42:43], 0
	s_add_nc_u64 s[40:41], s[40:41], s[18:19]
	s_delay_alu instid0(VALU_DEP_2) | instskip(SKIP_4) | instid1(VALU_DEP_2)
	v_mad_co_u64_u32 v[8:9], null, s54, v12, v[8:9]
	v_mul_lo_u32 v12, s55, v12
	v_add3_u32 v11, v11, v15, v14
	v_sub_co_u32 v10, vcc_lo, v16, v10
	s_wait_alu 0xfffd
	v_sub_co_ci_u32_e64 v11, null, v17, v11, vcc_lo
	s_delay_alu instid0(VALU_DEP_4) | instskip(SKIP_2) | instid1(VALU_DEP_3)
	v_add3_u32 v9, v12, v9, v3
	s_wait_kmcnt 0x0
	v_mul_lo_u32 v12, s1, v10
	v_mul_lo_u32 v3, s0, v11
	s_delay_alu instid0(VALU_DEP_3) | instskip(SKIP_1) | instid1(VALU_DEP_2)
	v_mad_co_u64_u32 v[10:11], null, s0, v10, v[8:9]
	v_dual_mov_b32 v8, v18 :: v_dual_mov_b32 v9, v19
	v_add3_u32 v11, v12, v11, v3
	s_cbranch_scc1 .LBB38_38
.LBB38_22:                              ;   Parent Loop BB38_3 Depth=1
                                        ; =>  This Inner Loop Header: Depth=2
	s_load_b64 s[44:45], s[40:41], 0x18
                                        ; implicit-def: $vgpr12_vgpr13
	s_mov_b32 s0, exec_lo
	s_wait_kmcnt 0x0
	v_or_b32_e32 v3, s45, v9
	s_delay_alu instid0(VALU_DEP_1)
	v_cmpx_ne_u64_e32 0, v[2:3]
	s_wait_alu 0xfffe
	s_xor_b32 s1, exec_lo, s0
	s_cbranch_execz .LBB38_24
; %bb.23:                               ;   in Loop: Header=BB38_22 Depth=2
	s_ashr_i32 s46, s45, 31
	v_ashrrev_i32_e32 v3, 31, v9
	s_wait_alu 0xfffe
	s_mov_b32 s47, s46
	s_wait_alu 0xfffe
	s_add_nc_u64 s[48:49], s[44:45], s[46:47]
	v_add_co_u32 v12, vcc_lo, v8, v3
	s_wait_alu 0xfffe
	s_xor_b64 s[48:49], s[48:49], s[46:47]
	s_wait_alu 0xfffd
	v_add_co_ci_u32_e64 v13, null, v9, v3, vcc_lo
	s_wait_alu 0xfffe
	s_cvt_f32_u32 s0, s48
	s_cvt_f32_u32 s14, s49
	s_sub_nc_u64 s[52:53], 0, s[48:49]
	v_xor_b32_e32 v18, v12, v3
	v_xor_b32_e32 v19, v13, v3
	s_wait_alu 0xfffe
	s_fmamk_f32 s0, s14, 0x4f800000, s0
	v_xor_b32_e32 v3, s46, v3
	s_wait_alu 0xfffe
	s_delay_alu instid0(SALU_CYCLE_1) | instskip(NEXT) | instid1(TRANS32_DEP_1)
	v_s_rcp_f32 s0, s0
	s_mul_f32 s0, s0, 0x5f7ffffc
	s_wait_alu 0xfffe
	s_delay_alu instid0(SALU_CYCLE_2) | instskip(SKIP_1) | instid1(SALU_CYCLE_2)
	s_mul_f32 s14, s0, 0x2f800000
	s_wait_alu 0xfffe
	s_trunc_f32 s14, s14
	s_wait_alu 0xfffe
	s_delay_alu instid0(SALU_CYCLE_2) | instskip(SKIP_2) | instid1(SALU_CYCLE_1)
	s_fmamk_f32 s0, s14, 0xcf800000, s0
	s_cvt_u32_f32 s51, s14
	s_wait_alu 0xfffe
	s_cvt_u32_f32 s50, s0
	s_wait_alu 0xfffe
	s_delay_alu instid0(SALU_CYCLE_2)
	s_mul_u64 s[54:55], s[52:53], s[50:51]
	s_wait_alu 0xfffe
	s_mul_hi_u32 s57, s50, s55
	s_mul_i32 s56, s50, s55
	s_mul_hi_u32 s14, s50, s54
	s_mul_i32 s47, s51, s54
	s_wait_alu 0xfffe
	s_add_nc_u64 s[56:57], s[14:15], s[56:57]
	s_mul_hi_u32 s0, s51, s54
	s_mul_hi_u32 s58, s51, s55
	s_wait_alu 0xfffe
	s_add_co_u32 s14, s56, s47
	s_add_co_ci_u32 s14, s57, s0
	s_mul_i32 s54, s51, s55
	s_add_co_ci_u32 s55, s58, 0
	s_wait_alu 0xfffe
	s_add_nc_u64 s[54:55], s[14:15], s[54:55]
	s_wait_alu 0xfffe
	s_add_co_u32 s50, s50, s54
	s_cselect_b32 s0, -1, 0
	s_wait_alu 0xfffe
	s_cmp_lg_u32 s0, 0
	s_add_co_ci_u32 s51, s51, s55
	s_wait_alu 0xfffe
	s_mul_u64 s[52:53], s[52:53], s[50:51]
	s_wait_alu 0xfffe
	s_mul_hi_u32 s55, s50, s53
	s_mul_i32 s54, s50, s53
	s_mul_hi_u32 s14, s50, s52
	s_mul_i32 s47, s51, s52
	s_wait_alu 0xfffe
	s_add_nc_u64 s[54:55], s[14:15], s[54:55]
	s_mul_hi_u32 s0, s51, s52
	s_mul_hi_u32 s56, s51, s53
	s_wait_alu 0xfffe
	s_add_co_u32 s14, s54, s47
	s_add_co_ci_u32 s14, s55, s0
	s_mul_i32 s52, s51, s53
	s_add_co_ci_u32 s53, s56, 0
	s_wait_alu 0xfffe
	s_add_nc_u64 s[52:53], s[14:15], s[52:53]
	s_wait_alu 0xfffe
	s_add_co_u32 s0, s50, s52
	s_cselect_b32 s14, -1, 0
	s_wait_alu 0xfffe
	v_mul_hi_u32 v24, v18, s0
	s_cmp_lg_u32 s14, 0
	v_mad_co_u64_u32 v[14:15], null, v19, s0, 0
	s_add_co_ci_u32 s14, s51, s53
	s_wait_alu 0xfffe
	v_mad_co_u64_u32 v[12:13], null, v18, s14, 0
	v_mad_co_u64_u32 v[16:17], null, v19, s14, 0
	s_delay_alu instid0(VALU_DEP_2) | instskip(SKIP_1) | instid1(VALU_DEP_3)
	v_add_co_u32 v12, vcc_lo, v24, v12
	s_wait_alu 0xfffd
	v_add_co_ci_u32_e64 v13, null, 0, v13, vcc_lo
	s_delay_alu instid0(VALU_DEP_2) | instskip(SKIP_1) | instid1(VALU_DEP_2)
	v_add_co_u32 v12, vcc_lo, v12, v14
	s_wait_alu 0xfffd
	v_add_co_ci_u32_e32 v12, vcc_lo, v13, v15, vcc_lo
	s_wait_alu 0xfffd
	v_add_co_ci_u32_e32 v13, vcc_lo, 0, v17, vcc_lo
	s_delay_alu instid0(VALU_DEP_2) | instskip(SKIP_1) | instid1(VALU_DEP_2)
	v_add_co_u32 v14, vcc_lo, v12, v16
	s_wait_alu 0xfffd
	v_add_co_ci_u32_e64 v15, null, 0, v13, vcc_lo
	s_delay_alu instid0(VALU_DEP_2) | instskip(SKIP_1) | instid1(VALU_DEP_3)
	v_mul_lo_u32 v16, s49, v14
	v_mad_co_u64_u32 v[12:13], null, s48, v14, 0
	v_mul_lo_u32 v17, s48, v15
	s_delay_alu instid0(VALU_DEP_2) | instskip(NEXT) | instid1(VALU_DEP_2)
	v_sub_co_u32 v12, vcc_lo, v18, v12
	v_add3_u32 v13, v13, v17, v16
	v_add_co_u32 v17, s0, v14, 2
	s_wait_alu 0xf1ff
	v_add_co_ci_u32_e64 v18, null, 0, v15, s0
	s_delay_alu instid0(VALU_DEP_3) | instskip(SKIP_3) | instid1(VALU_DEP_3)
	v_sub_nc_u32_e32 v16, v19, v13
	v_sub_co_u32 v24, s0, v12, s48
	s_wait_alu 0xfffd
	v_sub_co_ci_u32_e64 v13, null, v19, v13, vcc_lo
	v_subrev_co_ci_u32_e64 v16, null, s49, v16, vcc_lo
	s_delay_alu instid0(VALU_DEP_3) | instskip(SKIP_1) | instid1(VALU_DEP_2)
	v_cmp_le_u32_e32 vcc_lo, s48, v24
	s_wait_alu 0xf1ff
	v_subrev_co_ci_u32_e64 v16, null, 0, v16, s0
	s_wait_alu 0xfffd
	v_cndmask_b32_e64 v19, 0, -1, vcc_lo
	s_delay_alu instid0(VALU_DEP_2)
	v_cmp_le_u32_e32 vcc_lo, s49, v16
	s_wait_alu 0xfffd
	v_cndmask_b32_e64 v24, 0, -1, vcc_lo
	v_cmp_le_u32_e32 vcc_lo, s48, v12
	s_wait_alu 0xfffd
	v_cndmask_b32_e64 v12, 0, -1, vcc_lo
	;; [unrolled: 3-line block ×3, first 2 shown]
	v_cmp_eq_u32_e32 vcc_lo, s49, v16
	s_wait_alu 0xfffd
	v_cndmask_b32_e32 v16, v24, v19, vcc_lo
	v_add_co_u32 v19, vcc_lo, v14, 1
	s_wait_alu 0xfffd
	v_add_co_ci_u32_e64 v24, null, 0, v15, vcc_lo
	v_cmp_eq_u32_e32 vcc_lo, s49, v13
	s_wait_alu 0xfffd
	v_cndmask_b32_e32 v12, v25, v12, vcc_lo
	v_cmp_ne_u32_e32 vcc_lo, 0, v16
	s_wait_alu 0xfffd
	v_cndmask_b32_e32 v13, v24, v18, vcc_lo
	s_delay_alu instid0(VALU_DEP_3) | instskip(SKIP_2) | instid1(VALU_DEP_2)
	v_cmp_ne_u32_e64 s0, 0, v12
	v_cndmask_b32_e32 v12, v19, v17, vcc_lo
	s_wait_alu 0xf1ff
	v_cndmask_b32_e64 v13, v15, v13, s0
	s_delay_alu instid0(VALU_DEP_2) | instskip(NEXT) | instid1(VALU_DEP_2)
	v_cndmask_b32_e64 v12, v14, v12, s0
	v_xor_b32_e32 v13, v13, v3
	s_delay_alu instid0(VALU_DEP_2) | instskip(NEXT) | instid1(VALU_DEP_1)
	v_xor_b32_e32 v12, v12, v3
	v_sub_co_u32 v12, vcc_lo, v12, v3
	s_wait_alu 0xfffd
	s_delay_alu instid0(VALU_DEP_3)
	v_sub_co_ci_u32_e64 v13, null, v13, v3, vcc_lo
.LBB38_24:                              ;   in Loop: Header=BB38_22 Depth=2
	s_wait_alu 0xfffe
	s_and_not1_saveexec_b32 s0, s1
	s_cbranch_execz .LBB38_26
; %bb.25:                               ;   in Loop: Header=BB38_22 Depth=2
	v_cvt_f32_u32_e32 v3, s44
	s_sub_co_i32 s1, 0, s44
	s_delay_alu instid0(VALU_DEP_1) | instskip(NEXT) | instid1(TRANS32_DEP_1)
	v_rcp_iflag_f32_e32 v3, v3
	v_mul_f32_e32 v3, 0x4f7ffffe, v3
	s_delay_alu instid0(VALU_DEP_1) | instskip(SKIP_1) | instid1(VALU_DEP_1)
	v_cvt_u32_f32_e32 v3, v3
	s_wait_alu 0xfffe
	v_mul_lo_u32 v12, s1, v3
	s_delay_alu instid0(VALU_DEP_1) | instskip(NEXT) | instid1(VALU_DEP_1)
	v_mul_hi_u32 v12, v3, v12
	v_add_nc_u32_e32 v3, v3, v12
	s_delay_alu instid0(VALU_DEP_1) | instskip(NEXT) | instid1(VALU_DEP_1)
	v_mul_hi_u32 v3, v8, v3
	v_mul_lo_u32 v12, v3, s44
	v_add_nc_u32_e32 v13, 1, v3
	s_delay_alu instid0(VALU_DEP_2) | instskip(NEXT) | instid1(VALU_DEP_1)
	v_sub_nc_u32_e32 v12, v8, v12
	v_subrev_nc_u32_e32 v14, s44, v12
	v_cmp_le_u32_e32 vcc_lo, s44, v12
	s_wait_alu 0xfffd
	s_delay_alu instid0(VALU_DEP_2) | instskip(NEXT) | instid1(VALU_DEP_1)
	v_dual_cndmask_b32 v12, v12, v14 :: v_dual_cndmask_b32 v3, v3, v13
	v_cmp_le_u32_e32 vcc_lo, s44, v12
	s_delay_alu instid0(VALU_DEP_2) | instskip(SKIP_1) | instid1(VALU_DEP_1)
	v_add_nc_u32_e32 v13, 1, v3
	s_wait_alu 0xfffd
	v_dual_cndmask_b32 v12, v3, v13 :: v_dual_mov_b32 v13, v2
.LBB38_26:                              ;   in Loop: Header=BB38_22 Depth=2
	s_wait_alu 0xfffe
	s_or_b32 exec_lo, exec_lo, s0
	s_load_b64 s[48:49], s[40:41], 0x10
	s_load_b64 s[46:47], s[38:39], 0x18
                                        ; implicit-def: $vgpr14_vgpr15
	s_mov_b32 s0, exec_lo
	s_wait_kmcnt 0x0
	v_or_b32_e32 v3, s49, v13
	s_delay_alu instid0(VALU_DEP_1)
	v_cmpx_ne_u64_e32 0, v[2:3]
	s_wait_alu 0xfffe
	s_xor_b32 s1, exec_lo, s0
	s_cbranch_execz .LBB38_28
; %bb.27:                               ;   in Loop: Header=BB38_22 Depth=2
	s_ashr_i32 s50, s49, 31
	v_ashrrev_i32_e32 v3, 31, v13
	s_wait_alu 0xfffe
	s_mov_b32 s51, s50
	s_wait_alu 0xfffe
	s_add_nc_u64 s[52:53], s[48:49], s[50:51]
	v_add_co_u32 v14, vcc_lo, v12, v3
	s_wait_alu 0xfffe
	s_xor_b64 s[52:53], s[52:53], s[50:51]
	s_wait_alu 0xfffd
	v_add_co_ci_u32_e64 v15, null, v13, v3, vcc_lo
	s_wait_alu 0xfffe
	s_cvt_f32_u32 s0, s52
	s_cvt_f32_u32 s14, s53
	s_sub_nc_u64 s[56:57], 0, s[52:53]
	v_xor_b32_e32 v24, v14, v3
	v_xor_b32_e32 v25, v15, v3
	s_wait_alu 0xfffe
	s_fmamk_f32 s0, s14, 0x4f800000, s0
	v_xor_b32_e32 v3, s50, v3
	s_wait_alu 0xfffe
	s_delay_alu instid0(SALU_CYCLE_1) | instskip(NEXT) | instid1(TRANS32_DEP_1)
	v_s_rcp_f32 s0, s0
	s_mul_f32 s0, s0, 0x5f7ffffc
	s_wait_alu 0xfffe
	s_delay_alu instid0(SALU_CYCLE_2) | instskip(SKIP_1) | instid1(SALU_CYCLE_2)
	s_mul_f32 s14, s0, 0x2f800000
	s_wait_alu 0xfffe
	s_trunc_f32 s14, s14
	s_wait_alu 0xfffe
	s_delay_alu instid0(SALU_CYCLE_2) | instskip(SKIP_2) | instid1(SALU_CYCLE_1)
	s_fmamk_f32 s0, s14, 0xcf800000, s0
	s_cvt_u32_f32 s55, s14
	s_wait_alu 0xfffe
	s_cvt_u32_f32 s54, s0
	s_wait_alu 0xfffe
	s_delay_alu instid0(SALU_CYCLE_2)
	s_mul_u64 s[58:59], s[56:57], s[54:55]
	s_wait_alu 0xfffe
	s_mul_hi_u32 s61, s54, s59
	s_mul_i32 s60, s54, s59
	s_mul_hi_u32 s14, s54, s58
	s_mul_i32 s51, s55, s58
	s_wait_alu 0xfffe
	s_add_nc_u64 s[60:61], s[14:15], s[60:61]
	s_mul_hi_u32 s0, s55, s58
	s_mul_hi_u32 s66, s55, s59
	s_wait_alu 0xfffe
	s_add_co_u32 s14, s60, s51
	s_add_co_ci_u32 s14, s61, s0
	s_mul_i32 s58, s55, s59
	s_add_co_ci_u32 s59, s66, 0
	s_wait_alu 0xfffe
	s_add_nc_u64 s[58:59], s[14:15], s[58:59]
	s_wait_alu 0xfffe
	s_add_co_u32 s54, s54, s58
	s_cselect_b32 s0, -1, 0
	s_wait_alu 0xfffe
	s_cmp_lg_u32 s0, 0
	s_add_co_ci_u32 s55, s55, s59
	s_wait_alu 0xfffe
	s_mul_u64 s[56:57], s[56:57], s[54:55]
	s_wait_alu 0xfffe
	s_mul_hi_u32 s59, s54, s57
	s_mul_i32 s58, s54, s57
	s_mul_hi_u32 s14, s54, s56
	s_mul_i32 s51, s55, s56
	s_wait_alu 0xfffe
	s_add_nc_u64 s[58:59], s[14:15], s[58:59]
	s_mul_hi_u32 s0, s55, s56
	s_mul_hi_u32 s60, s55, s57
	s_wait_alu 0xfffe
	s_add_co_u32 s14, s58, s51
	s_add_co_ci_u32 s14, s59, s0
	s_mul_i32 s56, s55, s57
	s_add_co_ci_u32 s57, s60, 0
	s_wait_alu 0xfffe
	s_add_nc_u64 s[56:57], s[14:15], s[56:57]
	s_wait_alu 0xfffe
	s_add_co_u32 s0, s54, s56
	s_cselect_b32 s14, -1, 0
	s_wait_alu 0xfffe
	v_mul_hi_u32 v26, v24, s0
	s_cmp_lg_u32 s14, 0
	v_mad_co_u64_u32 v[16:17], null, v25, s0, 0
	s_add_co_ci_u32 s14, s55, s57
	s_wait_alu 0xfffe
	v_mad_co_u64_u32 v[14:15], null, v24, s14, 0
	v_mad_co_u64_u32 v[18:19], null, v25, s14, 0
	s_delay_alu instid0(VALU_DEP_2) | instskip(SKIP_1) | instid1(VALU_DEP_3)
	v_add_co_u32 v14, vcc_lo, v26, v14
	s_wait_alu 0xfffd
	v_add_co_ci_u32_e64 v15, null, 0, v15, vcc_lo
	s_delay_alu instid0(VALU_DEP_2) | instskip(SKIP_1) | instid1(VALU_DEP_2)
	v_add_co_u32 v14, vcc_lo, v14, v16
	s_wait_alu 0xfffd
	v_add_co_ci_u32_e32 v14, vcc_lo, v15, v17, vcc_lo
	s_wait_alu 0xfffd
	v_add_co_ci_u32_e32 v15, vcc_lo, 0, v19, vcc_lo
	s_delay_alu instid0(VALU_DEP_2) | instskip(SKIP_1) | instid1(VALU_DEP_2)
	v_add_co_u32 v16, vcc_lo, v14, v18
	s_wait_alu 0xfffd
	v_add_co_ci_u32_e64 v17, null, 0, v15, vcc_lo
	s_delay_alu instid0(VALU_DEP_2) | instskip(SKIP_1) | instid1(VALU_DEP_3)
	v_mul_lo_u32 v18, s53, v16
	v_mad_co_u64_u32 v[14:15], null, s52, v16, 0
	v_mul_lo_u32 v19, s52, v17
	s_delay_alu instid0(VALU_DEP_2) | instskip(NEXT) | instid1(VALU_DEP_2)
	v_sub_co_u32 v14, vcc_lo, v24, v14
	v_add3_u32 v15, v15, v19, v18
	v_add_co_u32 v19, s0, v16, 2
	s_wait_alu 0xf1ff
	v_add_co_ci_u32_e64 v24, null, 0, v17, s0
	s_delay_alu instid0(VALU_DEP_3) | instskip(SKIP_3) | instid1(VALU_DEP_3)
	v_sub_nc_u32_e32 v18, v25, v15
	v_sub_co_u32 v26, s0, v14, s52
	s_wait_alu 0xfffd
	v_sub_co_ci_u32_e64 v15, null, v25, v15, vcc_lo
	v_subrev_co_ci_u32_e64 v18, null, s53, v18, vcc_lo
	s_delay_alu instid0(VALU_DEP_3) | instskip(SKIP_1) | instid1(VALU_DEP_2)
	v_cmp_le_u32_e32 vcc_lo, s52, v26
	s_wait_alu 0xf1ff
	v_subrev_co_ci_u32_e64 v18, null, 0, v18, s0
	s_wait_alu 0xfffd
	v_cndmask_b32_e64 v25, 0, -1, vcc_lo
	s_delay_alu instid0(VALU_DEP_2)
	v_cmp_le_u32_e32 vcc_lo, s53, v18
	s_wait_alu 0xfffd
	v_cndmask_b32_e64 v26, 0, -1, vcc_lo
	v_cmp_le_u32_e32 vcc_lo, s52, v14
	s_wait_alu 0xfffd
	v_cndmask_b32_e64 v14, 0, -1, vcc_lo
	;; [unrolled: 3-line block ×3, first 2 shown]
	v_cmp_eq_u32_e32 vcc_lo, s53, v18
	s_wait_alu 0xfffd
	v_cndmask_b32_e32 v18, v26, v25, vcc_lo
	v_add_co_u32 v25, vcc_lo, v16, 1
	s_wait_alu 0xfffd
	v_add_co_ci_u32_e64 v26, null, 0, v17, vcc_lo
	v_cmp_eq_u32_e32 vcc_lo, s53, v15
	s_wait_alu 0xfffd
	v_cndmask_b32_e32 v14, v27, v14, vcc_lo
	v_cmp_ne_u32_e32 vcc_lo, 0, v18
	s_wait_alu 0xfffd
	v_cndmask_b32_e32 v15, v26, v24, vcc_lo
	s_delay_alu instid0(VALU_DEP_3) | instskip(SKIP_2) | instid1(VALU_DEP_2)
	v_cmp_ne_u32_e64 s0, 0, v14
	v_cndmask_b32_e32 v14, v25, v19, vcc_lo
	s_wait_alu 0xf1ff
	v_cndmask_b32_e64 v15, v17, v15, s0
	s_delay_alu instid0(VALU_DEP_2) | instskip(NEXT) | instid1(VALU_DEP_2)
	v_cndmask_b32_e64 v14, v16, v14, s0
	v_xor_b32_e32 v15, v15, v3
	s_delay_alu instid0(VALU_DEP_2) | instskip(NEXT) | instid1(VALU_DEP_1)
	v_xor_b32_e32 v14, v14, v3
	v_sub_co_u32 v14, vcc_lo, v14, v3
	s_wait_alu 0xfffd
	s_delay_alu instid0(VALU_DEP_3)
	v_sub_co_ci_u32_e64 v15, null, v15, v3, vcc_lo
.LBB38_28:                              ;   in Loop: Header=BB38_22 Depth=2
	s_wait_alu 0xfffe
	s_and_not1_saveexec_b32 s0, s1
	s_cbranch_execz .LBB38_30
; %bb.29:                               ;   in Loop: Header=BB38_22 Depth=2
	v_cvt_f32_u32_e32 v3, s48
	s_sub_co_i32 s1, 0, s48
	s_delay_alu instid0(VALU_DEP_1) | instskip(NEXT) | instid1(TRANS32_DEP_1)
	v_rcp_iflag_f32_e32 v3, v3
	v_mul_f32_e32 v3, 0x4f7ffffe, v3
	s_delay_alu instid0(VALU_DEP_1) | instskip(SKIP_1) | instid1(VALU_DEP_1)
	v_cvt_u32_f32_e32 v3, v3
	s_wait_alu 0xfffe
	v_mul_lo_u32 v14, s1, v3
	s_delay_alu instid0(VALU_DEP_1) | instskip(NEXT) | instid1(VALU_DEP_1)
	v_mul_hi_u32 v14, v3, v14
	v_add_nc_u32_e32 v3, v3, v14
	s_delay_alu instid0(VALU_DEP_1) | instskip(NEXT) | instid1(VALU_DEP_1)
	v_mul_hi_u32 v3, v12, v3
	v_mul_lo_u32 v14, v3, s48
	v_add_nc_u32_e32 v15, 1, v3
	s_delay_alu instid0(VALU_DEP_2) | instskip(NEXT) | instid1(VALU_DEP_1)
	v_sub_nc_u32_e32 v14, v12, v14
	v_subrev_nc_u32_e32 v16, s48, v14
	v_cmp_le_u32_e32 vcc_lo, s48, v14
	s_wait_alu 0xfffd
	s_delay_alu instid0(VALU_DEP_2) | instskip(NEXT) | instid1(VALU_DEP_1)
	v_dual_cndmask_b32 v14, v14, v16 :: v_dual_cndmask_b32 v3, v3, v15
	v_cmp_le_u32_e32 vcc_lo, s48, v14
	s_delay_alu instid0(VALU_DEP_2) | instskip(SKIP_1) | instid1(VALU_DEP_1)
	v_add_nc_u32_e32 v15, 1, v3
	s_wait_alu 0xfffd
	v_dual_cndmask_b32 v14, v3, v15 :: v_dual_mov_b32 v15, v2
.LBB38_30:                              ;   in Loop: Header=BB38_22 Depth=2
	s_wait_alu 0xfffe
	s_or_b32 exec_lo, exec_lo, s0
	s_load_b64 s[52:53], s[40:41], 0x8
	s_load_b64 s[50:51], s[38:39], 0x10
                                        ; implicit-def: $vgpr16_vgpr17
	s_mov_b32 s0, exec_lo
	s_wait_kmcnt 0x0
	v_or_b32_e32 v3, s53, v15
	s_delay_alu instid0(VALU_DEP_1)
	v_cmpx_ne_u64_e32 0, v[2:3]
	s_wait_alu 0xfffe
	s_xor_b32 s1, exec_lo, s0
	s_cbranch_execz .LBB38_32
; %bb.31:                               ;   in Loop: Header=BB38_22 Depth=2
	s_ashr_i32 s54, s53, 31
	v_ashrrev_i32_e32 v3, 31, v15
	s_wait_alu 0xfffe
	s_mov_b32 s55, s54
	s_wait_alu 0xfffe
	s_add_nc_u64 s[56:57], s[52:53], s[54:55]
	v_add_co_u32 v16, vcc_lo, v14, v3
	s_wait_alu 0xfffe
	s_xor_b64 s[56:57], s[56:57], s[54:55]
	s_wait_alu 0xfffd
	v_add_co_ci_u32_e64 v17, null, v15, v3, vcc_lo
	s_wait_alu 0xfffe
	s_cvt_f32_u32 s0, s56
	s_cvt_f32_u32 s14, s57
	s_sub_nc_u64 s[60:61], 0, s[56:57]
	v_xor_b32_e32 v26, v16, v3
	v_xor_b32_e32 v27, v17, v3
	s_wait_alu 0xfffe
	s_fmamk_f32 s0, s14, 0x4f800000, s0
	v_xor_b32_e32 v3, s54, v3
	s_wait_alu 0xfffe
	s_delay_alu instid0(SALU_CYCLE_1) | instskip(NEXT) | instid1(TRANS32_DEP_1)
	v_s_rcp_f32 s0, s0
	s_mul_f32 s0, s0, 0x5f7ffffc
	s_wait_alu 0xfffe
	s_delay_alu instid0(SALU_CYCLE_2) | instskip(SKIP_1) | instid1(SALU_CYCLE_2)
	s_mul_f32 s14, s0, 0x2f800000
	s_wait_alu 0xfffe
	s_trunc_f32 s14, s14
	s_wait_alu 0xfffe
	s_delay_alu instid0(SALU_CYCLE_2) | instskip(SKIP_2) | instid1(SALU_CYCLE_1)
	s_fmamk_f32 s0, s14, 0xcf800000, s0
	s_cvt_u32_f32 s59, s14
	s_wait_alu 0xfffe
	s_cvt_u32_f32 s58, s0
	s_wait_alu 0xfffe
	s_delay_alu instid0(SALU_CYCLE_2) | instskip(NEXT) | instid1(SALU_CYCLE_1)
	s_mul_u64 s[66:67], s[60:61], s[58:59]
	s_mul_hi_u32 s69, s58, s67
	s_mul_i32 s68, s58, s67
	s_mul_hi_u32 s14, s58, s66
	s_mul_i32 s55, s59, s66
	s_wait_alu 0xfffe
	s_add_nc_u64 s[68:69], s[14:15], s[68:69]
	s_mul_hi_u32 s0, s59, s66
	s_mul_hi_u32 s70, s59, s67
	s_add_co_u32 s14, s68, s55
	s_wait_alu 0xfffe
	s_add_co_ci_u32 s14, s69, s0
	s_mul_i32 s66, s59, s67
	s_add_co_ci_u32 s67, s70, 0
	s_wait_alu 0xfffe
	s_add_nc_u64 s[66:67], s[14:15], s[66:67]
	s_delay_alu instid0(SALU_CYCLE_1)
	s_add_co_u32 s58, s58, s66
	s_cselect_b32 s0, -1, 0
	s_wait_alu 0xfffe
	s_cmp_lg_u32 s0, 0
	s_add_co_ci_u32 s59, s59, s67
	s_wait_alu 0xfffe
	s_mul_u64 s[60:61], s[60:61], s[58:59]
	s_wait_alu 0xfffe
	s_mul_hi_u32 s67, s58, s61
	s_mul_i32 s66, s58, s61
	s_mul_hi_u32 s14, s58, s60
	s_mul_i32 s55, s59, s60
	s_wait_alu 0xfffe
	s_add_nc_u64 s[66:67], s[14:15], s[66:67]
	s_mul_hi_u32 s0, s59, s60
	s_mul_hi_u32 s68, s59, s61
	s_add_co_u32 s14, s66, s55
	s_wait_alu 0xfffe
	s_add_co_ci_u32 s14, s67, s0
	s_mul_i32 s60, s59, s61
	s_add_co_ci_u32 s61, s68, 0
	s_wait_alu 0xfffe
	s_add_nc_u64 s[60:61], s[14:15], s[60:61]
	s_wait_alu 0xfffe
	s_add_co_u32 s0, s58, s60
	s_cselect_b32 s14, -1, 0
	s_wait_alu 0xfffe
	v_mul_hi_u32 v28, v26, s0
	s_cmp_lg_u32 s14, 0
	v_mad_co_u64_u32 v[18:19], null, v27, s0, 0
	s_add_co_ci_u32 s14, s59, s61
	s_wait_alu 0xfffe
	v_mad_co_u64_u32 v[16:17], null, v26, s14, 0
	v_mad_co_u64_u32 v[24:25], null, v27, s14, 0
	s_delay_alu instid0(VALU_DEP_2) | instskip(SKIP_1) | instid1(VALU_DEP_3)
	v_add_co_u32 v16, vcc_lo, v28, v16
	s_wait_alu 0xfffd
	v_add_co_ci_u32_e64 v17, null, 0, v17, vcc_lo
	s_delay_alu instid0(VALU_DEP_2) | instskip(SKIP_1) | instid1(VALU_DEP_2)
	v_add_co_u32 v16, vcc_lo, v16, v18
	s_wait_alu 0xfffd
	v_add_co_ci_u32_e32 v16, vcc_lo, v17, v19, vcc_lo
	s_wait_alu 0xfffd
	v_add_co_ci_u32_e32 v17, vcc_lo, 0, v25, vcc_lo
	s_delay_alu instid0(VALU_DEP_2) | instskip(SKIP_1) | instid1(VALU_DEP_2)
	v_add_co_u32 v18, vcc_lo, v16, v24
	s_wait_alu 0xfffd
	v_add_co_ci_u32_e64 v19, null, 0, v17, vcc_lo
	s_delay_alu instid0(VALU_DEP_2) | instskip(SKIP_1) | instid1(VALU_DEP_3)
	v_mul_lo_u32 v24, s57, v18
	v_mad_co_u64_u32 v[16:17], null, s56, v18, 0
	v_mul_lo_u32 v25, s56, v19
	s_delay_alu instid0(VALU_DEP_2) | instskip(NEXT) | instid1(VALU_DEP_2)
	v_sub_co_u32 v16, vcc_lo, v26, v16
	v_add3_u32 v17, v17, v25, v24
	v_add_co_u32 v25, s0, v18, 2
	s_wait_alu 0xf1ff
	v_add_co_ci_u32_e64 v26, null, 0, v19, s0
	s_delay_alu instid0(VALU_DEP_3) | instskip(SKIP_3) | instid1(VALU_DEP_3)
	v_sub_nc_u32_e32 v24, v27, v17
	v_sub_co_u32 v28, s0, v16, s56
	s_wait_alu 0xfffd
	v_sub_co_ci_u32_e64 v17, null, v27, v17, vcc_lo
	v_subrev_co_ci_u32_e64 v24, null, s57, v24, vcc_lo
	s_delay_alu instid0(VALU_DEP_3) | instskip(SKIP_1) | instid1(VALU_DEP_2)
	v_cmp_le_u32_e32 vcc_lo, s56, v28
	s_wait_alu 0xf1ff
	v_subrev_co_ci_u32_e64 v24, null, 0, v24, s0
	s_wait_alu 0xfffd
	v_cndmask_b32_e64 v27, 0, -1, vcc_lo
	s_delay_alu instid0(VALU_DEP_2)
	v_cmp_le_u32_e32 vcc_lo, s57, v24
	s_wait_alu 0xfffd
	v_cndmask_b32_e64 v28, 0, -1, vcc_lo
	v_cmp_le_u32_e32 vcc_lo, s56, v16
	s_wait_alu 0xfffd
	v_cndmask_b32_e64 v16, 0, -1, vcc_lo
	;; [unrolled: 3-line block ×3, first 2 shown]
	v_cmp_eq_u32_e32 vcc_lo, s57, v24
	s_wait_alu 0xfffd
	v_cndmask_b32_e32 v24, v28, v27, vcc_lo
	v_add_co_u32 v27, vcc_lo, v18, 1
	s_wait_alu 0xfffd
	v_add_co_ci_u32_e64 v28, null, 0, v19, vcc_lo
	v_cmp_eq_u32_e32 vcc_lo, s57, v17
	s_wait_alu 0xfffd
	v_cndmask_b32_e32 v16, v29, v16, vcc_lo
	v_cmp_ne_u32_e32 vcc_lo, 0, v24
	s_wait_alu 0xfffd
	v_cndmask_b32_e32 v17, v28, v26, vcc_lo
	s_delay_alu instid0(VALU_DEP_3) | instskip(SKIP_2) | instid1(VALU_DEP_2)
	v_cmp_ne_u32_e64 s0, 0, v16
	v_cndmask_b32_e32 v16, v27, v25, vcc_lo
	s_wait_alu 0xf1ff
	v_cndmask_b32_e64 v17, v19, v17, s0
	s_delay_alu instid0(VALU_DEP_2) | instskip(NEXT) | instid1(VALU_DEP_2)
	v_cndmask_b32_e64 v16, v18, v16, s0
	v_xor_b32_e32 v17, v17, v3
	s_delay_alu instid0(VALU_DEP_2) | instskip(NEXT) | instid1(VALU_DEP_1)
	v_xor_b32_e32 v16, v16, v3
	v_sub_co_u32 v16, vcc_lo, v16, v3
	s_wait_alu 0xfffd
	s_delay_alu instid0(VALU_DEP_3)
	v_sub_co_ci_u32_e64 v17, null, v17, v3, vcc_lo
.LBB38_32:                              ;   in Loop: Header=BB38_22 Depth=2
	s_wait_alu 0xfffe
	s_and_not1_saveexec_b32 s0, s1
	s_cbranch_execz .LBB38_34
; %bb.33:                               ;   in Loop: Header=BB38_22 Depth=2
	v_cvt_f32_u32_e32 v3, s52
	s_sub_co_i32 s1, 0, s52
	s_delay_alu instid0(VALU_DEP_1) | instskip(NEXT) | instid1(TRANS32_DEP_1)
	v_rcp_iflag_f32_e32 v3, v3
	v_mul_f32_e32 v3, 0x4f7ffffe, v3
	s_delay_alu instid0(VALU_DEP_1) | instskip(SKIP_1) | instid1(VALU_DEP_1)
	v_cvt_u32_f32_e32 v3, v3
	s_wait_alu 0xfffe
	v_mul_lo_u32 v16, s1, v3
	s_delay_alu instid0(VALU_DEP_1) | instskip(NEXT) | instid1(VALU_DEP_1)
	v_mul_hi_u32 v16, v3, v16
	v_add_nc_u32_e32 v3, v3, v16
	s_delay_alu instid0(VALU_DEP_1) | instskip(NEXT) | instid1(VALU_DEP_1)
	v_mul_hi_u32 v3, v14, v3
	v_mul_lo_u32 v16, v3, s52
	v_add_nc_u32_e32 v17, 1, v3
	s_delay_alu instid0(VALU_DEP_2) | instskip(NEXT) | instid1(VALU_DEP_1)
	v_sub_nc_u32_e32 v16, v14, v16
	v_subrev_nc_u32_e32 v18, s52, v16
	v_cmp_le_u32_e32 vcc_lo, s52, v16
	s_wait_alu 0xfffd
	s_delay_alu instid0(VALU_DEP_2) | instskip(NEXT) | instid1(VALU_DEP_1)
	v_dual_cndmask_b32 v16, v16, v18 :: v_dual_cndmask_b32 v3, v3, v17
	v_cmp_le_u32_e32 vcc_lo, s52, v16
	s_delay_alu instid0(VALU_DEP_2) | instskip(SKIP_1) | instid1(VALU_DEP_1)
	v_add_nc_u32_e32 v17, 1, v3
	s_wait_alu 0xfffd
	v_dual_cndmask_b32 v16, v3, v17 :: v_dual_mov_b32 v17, v2
.LBB38_34:                              ;   in Loop: Header=BB38_22 Depth=2
	s_wait_alu 0xfffe
	s_or_b32 exec_lo, exec_lo, s0
	s_load_b64 s[56:57], s[40:41], 0x0
	s_load_b64 s[54:55], s[38:39], 0x8
                                        ; implicit-def: $vgpr18_vgpr19
	s_mov_b32 s0, exec_lo
	s_wait_kmcnt 0x0
	v_or_b32_e32 v3, s57, v17
	s_delay_alu instid0(VALU_DEP_1)
	v_cmpx_ne_u64_e32 0, v[2:3]
	s_wait_alu 0xfffe
	s_xor_b32 s1, exec_lo, s0
	s_cbranch_execz .LBB38_36
; %bb.35:                               ;   in Loop: Header=BB38_22 Depth=2
	s_ashr_i32 s58, s57, 31
	v_ashrrev_i32_e32 v3, 31, v17
	s_wait_alu 0xfffe
	s_mov_b32 s59, s58
	s_wait_alu 0xfffe
	s_add_nc_u64 s[60:61], s[56:57], s[58:59]
	v_add_co_u32 v18, vcc_lo, v16, v3
	s_wait_alu 0xfffe
	s_xor_b64 s[60:61], s[60:61], s[58:59]
	s_wait_alu 0xfffd
	v_add_co_ci_u32_e64 v19, null, v17, v3, vcc_lo
	s_wait_alu 0xfffe
	s_cvt_f32_u32 s0, s60
	s_cvt_f32_u32 s14, s61
	s_sub_nc_u64 s[68:69], 0, s[60:61]
	v_xor_b32_e32 v28, v18, v3
	v_xor_b32_e32 v29, v19, v3
	s_wait_alu 0xfffe
	s_fmamk_f32 s0, s14, 0x4f800000, s0
	v_xor_b32_e32 v3, s58, v3
	s_wait_alu 0xfffe
	s_delay_alu instid0(SALU_CYCLE_1) | instskip(NEXT) | instid1(TRANS32_DEP_1)
	v_s_rcp_f32 s0, s0
	s_mul_f32 s0, s0, 0x5f7ffffc
	s_wait_alu 0xfffe
	s_delay_alu instid0(SALU_CYCLE_2) | instskip(SKIP_1) | instid1(SALU_CYCLE_2)
	s_mul_f32 s14, s0, 0x2f800000
	s_wait_alu 0xfffe
	s_trunc_f32 s14, s14
	s_wait_alu 0xfffe
	s_delay_alu instid0(SALU_CYCLE_2) | instskip(SKIP_2) | instid1(SALU_CYCLE_1)
	s_fmamk_f32 s0, s14, 0xcf800000, s0
	s_cvt_u32_f32 s67, s14
	s_wait_alu 0xfffe
	s_cvt_u32_f32 s66, s0
	s_delay_alu instid0(SALU_CYCLE_3) | instskip(NEXT) | instid1(SALU_CYCLE_1)
	s_mul_u64 s[70:71], s[68:69], s[66:67]
	s_mul_hi_u32 s73, s66, s71
	s_mul_i32 s72, s66, s71
	s_mul_hi_u32 s14, s66, s70
	s_mul_i32 s59, s67, s70
	s_wait_alu 0xfffe
	s_add_nc_u64 s[72:73], s[14:15], s[72:73]
	s_mul_hi_u32 s0, s67, s70
	s_mul_hi_u32 s74, s67, s71
	s_add_co_u32 s14, s72, s59
	s_wait_alu 0xfffe
	s_add_co_ci_u32 s14, s73, s0
	s_mul_i32 s70, s67, s71
	s_add_co_ci_u32 s71, s74, 0
	s_wait_alu 0xfffe
	s_add_nc_u64 s[70:71], s[14:15], s[70:71]
	s_delay_alu instid0(SALU_CYCLE_1) | instskip(SKIP_4) | instid1(SALU_CYCLE_1)
	s_add_co_u32 s66, s66, s70
	s_cselect_b32 s0, -1, 0
	s_wait_alu 0xfffe
	s_cmp_lg_u32 s0, 0
	s_add_co_ci_u32 s67, s67, s71
	s_mul_u64 s[68:69], s[68:69], s[66:67]
	s_delay_alu instid0(SALU_CYCLE_1)
	s_mul_hi_u32 s71, s66, s69
	s_mul_i32 s70, s66, s69
	s_mul_hi_u32 s14, s66, s68
	s_mul_i32 s59, s67, s68
	s_wait_alu 0xfffe
	s_add_nc_u64 s[70:71], s[14:15], s[70:71]
	s_mul_hi_u32 s0, s67, s68
	s_mul_hi_u32 s72, s67, s69
	s_add_co_u32 s14, s70, s59
	s_wait_alu 0xfffe
	s_add_co_ci_u32 s14, s71, s0
	s_mul_i32 s68, s67, s69
	s_add_co_ci_u32 s69, s72, 0
	s_wait_alu 0xfffe
	s_add_nc_u64 s[68:69], s[14:15], s[68:69]
	s_delay_alu instid0(SALU_CYCLE_1)
	s_add_co_u32 s0, s66, s68
	s_cselect_b32 s14, -1, 0
	s_wait_alu 0xfffe
	v_mul_hi_u32 v30, v28, s0
	s_cmp_lg_u32 s14, 0
	v_mad_co_u64_u32 v[24:25], null, v29, s0, 0
	s_add_co_ci_u32 s14, s67, s69
	s_wait_alu 0xfffe
	v_mad_co_u64_u32 v[18:19], null, v28, s14, 0
	v_mad_co_u64_u32 v[26:27], null, v29, s14, 0
	s_delay_alu instid0(VALU_DEP_2) | instskip(SKIP_1) | instid1(VALU_DEP_3)
	v_add_co_u32 v18, vcc_lo, v30, v18
	s_wait_alu 0xfffd
	v_add_co_ci_u32_e64 v19, null, 0, v19, vcc_lo
	s_delay_alu instid0(VALU_DEP_2) | instskip(SKIP_1) | instid1(VALU_DEP_2)
	v_add_co_u32 v18, vcc_lo, v18, v24
	s_wait_alu 0xfffd
	v_add_co_ci_u32_e32 v18, vcc_lo, v19, v25, vcc_lo
	s_wait_alu 0xfffd
	v_add_co_ci_u32_e32 v19, vcc_lo, 0, v27, vcc_lo
	s_delay_alu instid0(VALU_DEP_2) | instskip(SKIP_1) | instid1(VALU_DEP_2)
	v_add_co_u32 v24, vcc_lo, v18, v26
	s_wait_alu 0xfffd
	v_add_co_ci_u32_e64 v25, null, 0, v19, vcc_lo
	s_delay_alu instid0(VALU_DEP_2) | instskip(SKIP_1) | instid1(VALU_DEP_3)
	v_mul_lo_u32 v26, s61, v24
	v_mad_co_u64_u32 v[18:19], null, s60, v24, 0
	v_mul_lo_u32 v27, s60, v25
	s_delay_alu instid0(VALU_DEP_2) | instskip(NEXT) | instid1(VALU_DEP_2)
	v_sub_co_u32 v18, vcc_lo, v28, v18
	v_add3_u32 v19, v19, v27, v26
	v_add_co_u32 v27, s0, v24, 2
	s_wait_alu 0xf1ff
	v_add_co_ci_u32_e64 v28, null, 0, v25, s0
	s_delay_alu instid0(VALU_DEP_3) | instskip(SKIP_3) | instid1(VALU_DEP_3)
	v_sub_nc_u32_e32 v26, v29, v19
	v_sub_co_u32 v30, s0, v18, s60
	s_wait_alu 0xfffd
	v_sub_co_ci_u32_e64 v19, null, v29, v19, vcc_lo
	v_subrev_co_ci_u32_e64 v26, null, s61, v26, vcc_lo
	s_delay_alu instid0(VALU_DEP_3) | instskip(SKIP_1) | instid1(VALU_DEP_2)
	v_cmp_le_u32_e32 vcc_lo, s60, v30
	s_wait_alu 0xf1ff
	v_subrev_co_ci_u32_e64 v26, null, 0, v26, s0
	s_wait_alu 0xfffd
	v_cndmask_b32_e64 v29, 0, -1, vcc_lo
	s_delay_alu instid0(VALU_DEP_2)
	v_cmp_le_u32_e32 vcc_lo, s61, v26
	s_wait_alu 0xfffd
	v_cndmask_b32_e64 v30, 0, -1, vcc_lo
	v_cmp_le_u32_e32 vcc_lo, s60, v18
	s_wait_alu 0xfffd
	v_cndmask_b32_e64 v18, 0, -1, vcc_lo
	v_cmp_le_u32_e32 vcc_lo, s61, v19
	s_wait_alu 0xfffd
	v_cndmask_b32_e64 v31, 0, -1, vcc_lo
	v_cmp_eq_u32_e32 vcc_lo, s61, v26
	s_wait_alu 0xfffd
	v_cndmask_b32_e32 v26, v30, v29, vcc_lo
	v_add_co_u32 v29, vcc_lo, v24, 1
	s_wait_alu 0xfffd
	v_add_co_ci_u32_e64 v30, null, 0, v25, vcc_lo
	v_cmp_eq_u32_e32 vcc_lo, s61, v19
	s_wait_alu 0xfffd
	v_cndmask_b32_e32 v18, v31, v18, vcc_lo
	v_cmp_ne_u32_e32 vcc_lo, 0, v26
	s_wait_alu 0xfffd
	v_cndmask_b32_e32 v19, v30, v28, vcc_lo
	s_delay_alu instid0(VALU_DEP_3) | instskip(SKIP_2) | instid1(VALU_DEP_2)
	v_cmp_ne_u32_e64 s0, 0, v18
	v_cndmask_b32_e32 v18, v29, v27, vcc_lo
	s_wait_alu 0xf1ff
	v_cndmask_b32_e64 v19, v25, v19, s0
	s_delay_alu instid0(VALU_DEP_2) | instskip(NEXT) | instid1(VALU_DEP_2)
	v_cndmask_b32_e64 v18, v24, v18, s0
	v_xor_b32_e32 v19, v19, v3
	s_delay_alu instid0(VALU_DEP_2) | instskip(NEXT) | instid1(VALU_DEP_1)
	v_xor_b32_e32 v18, v18, v3
	v_sub_co_u32 v18, vcc_lo, v18, v3
	s_wait_alu 0xfffd
	s_delay_alu instid0(VALU_DEP_3)
	v_sub_co_ci_u32_e64 v19, null, v19, v3, vcc_lo
.LBB38_36:                              ;   in Loop: Header=BB38_22 Depth=2
	s_wait_alu 0xfffe
	s_and_not1_saveexec_b32 s0, s1
	s_cbranch_execz .LBB38_21
; %bb.37:                               ;   in Loop: Header=BB38_22 Depth=2
	v_cvt_f32_u32_e32 v3, s56
	s_sub_co_i32 s1, 0, s56
	s_delay_alu instid0(VALU_DEP_1) | instskip(NEXT) | instid1(TRANS32_DEP_1)
	v_rcp_iflag_f32_e32 v3, v3
	v_mul_f32_e32 v3, 0x4f7ffffe, v3
	s_delay_alu instid0(VALU_DEP_1) | instskip(SKIP_1) | instid1(VALU_DEP_1)
	v_cvt_u32_f32_e32 v3, v3
	s_wait_alu 0xfffe
	v_mul_lo_u32 v18, s1, v3
	s_delay_alu instid0(VALU_DEP_1) | instskip(NEXT) | instid1(VALU_DEP_1)
	v_mul_hi_u32 v18, v3, v18
	v_add_nc_u32_e32 v3, v3, v18
	s_delay_alu instid0(VALU_DEP_1) | instskip(NEXT) | instid1(VALU_DEP_1)
	v_mul_hi_u32 v3, v16, v3
	v_mul_lo_u32 v18, v3, s56
	v_add_nc_u32_e32 v19, 1, v3
	s_delay_alu instid0(VALU_DEP_2) | instskip(NEXT) | instid1(VALU_DEP_1)
	v_sub_nc_u32_e32 v18, v16, v18
	v_subrev_nc_u32_e32 v24, s56, v18
	v_cmp_le_u32_e32 vcc_lo, s56, v18
	s_wait_alu 0xfffd
	s_delay_alu instid0(VALU_DEP_2) | instskip(NEXT) | instid1(VALU_DEP_1)
	v_dual_cndmask_b32 v18, v18, v24 :: v_dual_cndmask_b32 v3, v3, v19
	v_cmp_le_u32_e32 vcc_lo, s56, v18
	s_delay_alu instid0(VALU_DEP_2) | instskip(SKIP_1) | instid1(VALU_DEP_1)
	v_add_nc_u32_e32 v19, 1, v3
	s_wait_alu 0xfffd
	v_dual_cndmask_b32 v18, v3, v19 :: v_dual_mov_b32 v19, v2
	s_branch .LBB38_21
.LBB38_38:                              ;   in Loop: Header=BB38_3 Depth=1
	s_load_b64 s[38:39], s[24:25], 0x0
	s_wait_kmcnt 0x0
	v_cmp_gt_i64_e32 vcc_lo, s[38:39], v[4:5]
	s_and_b32 exec_lo, exec_lo, vcc_lo
	s_cbranch_execz .LBB38_2
; %bb.39:                               ;   in Loop: Header=BB38_3 Depth=1
	v_lshlrev_b64_e32 v[8:9], 2, v[10:11]
	v_cmp_lt_i64_e32 vcc_lo, s[4:5], v[6:7]
	s_delay_alu instid0(VALU_DEP_2) | instskip(SKIP_1) | instid1(VALU_DEP_3)
	v_add_co_u32 v6, s0, s10, v8
	s_wait_alu 0xf1ff
	v_add_co_ci_u32_e64 v7, null, s11, v9, s0
	s_and_saveexec_b32 s0, vcc_lo
	s_cbranch_execz .LBB38_41
; %bb.40:                               ;   in Loop: Header=BB38_3 Depth=1
	global_store_b32 v[6:7], v2, off
.LBB38_41:                              ;   in Loop: Header=BB38_3 Depth=1
	s_wait_alu 0xfffe
	s_or_b32 exec_lo, exec_lo, s0
	v_add_co_u32 v3, vcc_lo, v4, 1
	s_wait_alu 0xfffd
	v_add_co_ci_u32_e64 v4, null, 0, v5, vcc_lo
	s_delay_alu instid0(VALU_DEP_2) | instskip(SKIP_1) | instid1(VALU_DEP_2)
	v_sub_co_u32 v8, vcc_lo, v3, v22
	s_wait_alu 0xfffd
	v_sub_co_ci_u32_e64 v9, null, v4, v23, vcc_lo
	v_cmp_gt_i64_e32 vcc_lo, s[38:39], v[3:4]
	s_delay_alu instid0(VALU_DEP_2)
	v_cmp_lt_i64_e64 s0, s[4:5], v[8:9]
	s_and_b32 s0, vcc_lo, s0
	s_wait_alu 0xfffe
	s_and_b32 exec_lo, exec_lo, s0
	s_cbranch_execz .LBB38_2
; %bb.42:                               ;   in Loop: Header=BB38_3 Depth=1
	s_lshl_b64 s[0:1], s[2:3], 2
	s_wait_alu 0xfffe
	v_add_co_u32 v3, vcc_lo, v6, s0
	s_wait_alu 0xfffd
	v_add_co_ci_u32_e64 v4, null, s1, v7, vcc_lo
	global_store_b32 v[3:4], v2, off
	s_branch .LBB38_2
.LBB38_43:
	s_endpgm
	.section	.rodata,"a",@progbits
	.p2align	6, 0x0
	.amdhsa_kernel _ZN2at6native16triu_tril_kernelIN3c107complexINS2_4HalfEEElLb0ELi2ELb1EEEvNS_4cuda6detail10TensorInfoIT_T0_EENS8_IKS9_SA_EEllSA_
		.amdhsa_group_segment_fixed_size 0
		.amdhsa_private_segment_fixed_size 0
		.amdhsa_kernarg_size 1112
		.amdhsa_user_sgpr_count 2
		.amdhsa_user_sgpr_dispatch_ptr 0
		.amdhsa_user_sgpr_queue_ptr 0
		.amdhsa_user_sgpr_kernarg_segment_ptr 1
		.amdhsa_user_sgpr_dispatch_id 0
		.amdhsa_user_sgpr_private_segment_size 0
		.amdhsa_wavefront_size32 1
		.amdhsa_uses_dynamic_stack 0
		.amdhsa_enable_private_segment 0
		.amdhsa_system_sgpr_workgroup_id_x 1
		.amdhsa_system_sgpr_workgroup_id_y 0
		.amdhsa_system_sgpr_workgroup_id_z 0
		.amdhsa_system_sgpr_workgroup_info 0
		.amdhsa_system_vgpr_workitem_id 0
		.amdhsa_next_free_vgpr 32
		.amdhsa_next_free_sgpr 75
		.amdhsa_reserve_vcc 1
		.amdhsa_float_round_mode_32 0
		.amdhsa_float_round_mode_16_64 0
		.amdhsa_float_denorm_mode_32 3
		.amdhsa_float_denorm_mode_16_64 3
		.amdhsa_fp16_overflow 0
		.amdhsa_workgroup_processor_mode 1
		.amdhsa_memory_ordered 1
		.amdhsa_forward_progress 1
		.amdhsa_inst_pref_size 66
		.amdhsa_round_robin_scheduling 0
		.amdhsa_exception_fp_ieee_invalid_op 0
		.amdhsa_exception_fp_denorm_src 0
		.amdhsa_exception_fp_ieee_div_zero 0
		.amdhsa_exception_fp_ieee_overflow 0
		.amdhsa_exception_fp_ieee_underflow 0
		.amdhsa_exception_fp_ieee_inexact 0
		.amdhsa_exception_int_div_zero 0
	.end_amdhsa_kernel
	.section	.text._ZN2at6native16triu_tril_kernelIN3c107complexINS2_4HalfEEElLb0ELi2ELb1EEEvNS_4cuda6detail10TensorInfoIT_T0_EENS8_IKS9_SA_EEllSA_,"axG",@progbits,_ZN2at6native16triu_tril_kernelIN3c107complexINS2_4HalfEEElLb0ELi2ELb1EEEvNS_4cuda6detail10TensorInfoIT_T0_EENS8_IKS9_SA_EEllSA_,comdat
.Lfunc_end38:
	.size	_ZN2at6native16triu_tril_kernelIN3c107complexINS2_4HalfEEElLb0ELi2ELb1EEEvNS_4cuda6detail10TensorInfoIT_T0_EENS8_IKS9_SA_EEllSA_, .Lfunc_end38-_ZN2at6native16triu_tril_kernelIN3c107complexINS2_4HalfEEElLb0ELi2ELb1EEEvNS_4cuda6detail10TensorInfoIT_T0_EENS8_IKS9_SA_EEllSA_
                                        ; -- End function
	.set _ZN2at6native16triu_tril_kernelIN3c107complexINS2_4HalfEEElLb0ELi2ELb1EEEvNS_4cuda6detail10TensorInfoIT_T0_EENS8_IKS9_SA_EEllSA_.num_vgpr, 32
	.set _ZN2at6native16triu_tril_kernelIN3c107complexINS2_4HalfEEElLb0ELi2ELb1EEEvNS_4cuda6detail10TensorInfoIT_T0_EENS8_IKS9_SA_EEllSA_.num_agpr, 0
	.set _ZN2at6native16triu_tril_kernelIN3c107complexINS2_4HalfEEElLb0ELi2ELb1EEEvNS_4cuda6detail10TensorInfoIT_T0_EENS8_IKS9_SA_EEllSA_.numbered_sgpr, 75
	.set _ZN2at6native16triu_tril_kernelIN3c107complexINS2_4HalfEEElLb0ELi2ELb1EEEvNS_4cuda6detail10TensorInfoIT_T0_EENS8_IKS9_SA_EEllSA_.num_named_barrier, 0
	.set _ZN2at6native16triu_tril_kernelIN3c107complexINS2_4HalfEEElLb0ELi2ELb1EEEvNS_4cuda6detail10TensorInfoIT_T0_EENS8_IKS9_SA_EEllSA_.private_seg_size, 0
	.set _ZN2at6native16triu_tril_kernelIN3c107complexINS2_4HalfEEElLb0ELi2ELb1EEEvNS_4cuda6detail10TensorInfoIT_T0_EENS8_IKS9_SA_EEllSA_.uses_vcc, 1
	.set _ZN2at6native16triu_tril_kernelIN3c107complexINS2_4HalfEEElLb0ELi2ELb1EEEvNS_4cuda6detail10TensorInfoIT_T0_EENS8_IKS9_SA_EEllSA_.uses_flat_scratch, 0
	.set _ZN2at6native16triu_tril_kernelIN3c107complexINS2_4HalfEEElLb0ELi2ELb1EEEvNS_4cuda6detail10TensorInfoIT_T0_EENS8_IKS9_SA_EEllSA_.has_dyn_sized_stack, 0
	.set _ZN2at6native16triu_tril_kernelIN3c107complexINS2_4HalfEEElLb0ELi2ELb1EEEvNS_4cuda6detail10TensorInfoIT_T0_EENS8_IKS9_SA_EEllSA_.has_recursion, 0
	.set _ZN2at6native16triu_tril_kernelIN3c107complexINS2_4HalfEEElLb0ELi2ELb1EEEvNS_4cuda6detail10TensorInfoIT_T0_EENS8_IKS9_SA_EEllSA_.has_indirect_call, 0
	.section	.AMDGPU.csdata,"",@progbits
; Kernel info:
; codeLenInByte = 8364
; TotalNumSgprs: 77
; NumVgprs: 32
; ScratchSize: 0
; MemoryBound: 0
; FloatMode: 240
; IeeeMode: 1
; LDSByteSize: 0 bytes/workgroup (compile time only)
; SGPRBlocks: 0
; VGPRBlocks: 3
; NumSGPRsForWavesPerEU: 77
; NumVGPRsForWavesPerEU: 32
; Occupancy: 16
; WaveLimiterHint : 0
; COMPUTE_PGM_RSRC2:SCRATCH_EN: 0
; COMPUTE_PGM_RSRC2:USER_SGPR: 2
; COMPUTE_PGM_RSRC2:TRAP_HANDLER: 0
; COMPUTE_PGM_RSRC2:TGID_X_EN: 1
; COMPUTE_PGM_RSRC2:TGID_Y_EN: 0
; COMPUTE_PGM_RSRC2:TGID_Z_EN: 0
; COMPUTE_PGM_RSRC2:TIDIG_COMP_CNT: 0
	.section	.text._ZN2at6native16triu_tril_kernelIN3c107complexINS2_4HalfEEElLb0ELi2ELb0EEEvNS_4cuda6detail10TensorInfoIT_T0_EENS8_IKS9_SA_EEllSA_,"axG",@progbits,_ZN2at6native16triu_tril_kernelIN3c107complexINS2_4HalfEEElLb0ELi2ELb0EEEvNS_4cuda6detail10TensorInfoIT_T0_EENS8_IKS9_SA_EEllSA_,comdat
	.protected	_ZN2at6native16triu_tril_kernelIN3c107complexINS2_4HalfEEElLb0ELi2ELb0EEEvNS_4cuda6detail10TensorInfoIT_T0_EENS8_IKS9_SA_EEllSA_ ; -- Begin function _ZN2at6native16triu_tril_kernelIN3c107complexINS2_4HalfEEElLb0ELi2ELb0EEEvNS_4cuda6detail10TensorInfoIT_T0_EENS8_IKS9_SA_EEllSA_
	.globl	_ZN2at6native16triu_tril_kernelIN3c107complexINS2_4HalfEEElLb0ELi2ELb0EEEvNS_4cuda6detail10TensorInfoIT_T0_EENS8_IKS9_SA_EEllSA_
	.p2align	8
	.type	_ZN2at6native16triu_tril_kernelIN3c107complexINS2_4HalfEEElLb0ELi2ELb0EEEvNS_4cuda6detail10TensorInfoIT_T0_EENS8_IKS9_SA_EEllSA_,@function
_ZN2at6native16triu_tril_kernelIN3c107complexINS2_4HalfEEElLb0ELi2ELb0EEEvNS_4cuda6detail10TensorInfoIT_T0_EENS8_IKS9_SA_EEllSA_: ; @_ZN2at6native16triu_tril_kernelIN3c107complexINS2_4HalfEEElLb0ELi2ELb0EEEvNS_4cuda6detail10TensorInfoIT_T0_EENS8_IKS9_SA_EEllSA_
; %bb.0:
	s_clause 0x1
	s_load_b32 s2, s[0:1], 0x364
	s_load_b128 s[4:7], s[0:1], 0x340
	v_mov_b32_e32 v2, 0
	s_delay_alu instid0(VALU_DEP_1) | instskip(SKIP_3) | instid1(VALU_DEP_1)
	v_mov_b32_e32 v1, v2
	s_wait_kmcnt 0x0
	s_and_b32 s16, s2, 0xffff
	s_mov_b32 s2, exec_lo
	v_mad_co_u64_u32 v[0:1], null, s16, ttmp9, v[0:1]
	s_delay_alu instid0(VALU_DEP_1) | instskip(NEXT) | instid1(VALU_DEP_1)
	v_lshlrev_b64_e32 v[0:1], 1, v[0:1]
	v_cmpx_gt_i64_e64 s[6:7], v[0:1]
	s_cbranch_execz .LBB39_38
; %bb.1:
	s_clause 0x1
	s_load_b32 s38, s[0:1], 0x338
	s_load_b64 s[2:3], s[0:1], 0x1a0
	s_add_nc_u64 s[20:21], s[0:1], 0x1a0
	s_load_b64 s[22:23], s[0:1], 0x350
	s_add_nc_u64 s[14:15], s[0:1], 0x358
	s_mov_b32 s27, 0
	s_mov_b32 s63, 0
	s_wait_kmcnt 0x0
	s_ashr_i32 s39, s38, 31
	s_add_co_i32 s28, s38, -3
	s_lshl_b64 s[18:19], s[38:39], 3
	s_ashr_i32 s29, s28, 31
	s_add_nc_u64 s[12:13], s[20:21], s[18:19]
	v_cmp_gt_i64_e64 s62, s[38:39], 2
	s_add_nc_u64 s[8:9], s[12:13], -8
	s_add_nc_u64 s[30:31], s[28:29], -1
	s_load_b128 s[8:11], s[8:9], 0x0
	s_load_b32 s17, s[14:15], 0x0
	s_clause 0x1
	s_load_b64 s[24:25], s[0:1], 0x0
	s_load_b128 s[12:15], s[12:13], 0xc0
	v_cvt_f32_u32_e32 v3, s22
	s_add_nc_u64 s[38:39], s[0:1], 0xc8
	s_delay_alu instid0(VALU_DEP_1)
	v_rcp_iflag_f32_e32 v3, v3
	s_wait_kmcnt 0x0
	v_cvt_f32_u32_e32 v4, s8
	s_mul_i32 s26, s17, s16
	s_add_nc_u64 s[16:17], s[0:1], s[18:19]
	s_lshl_b32 s33, s26, 1
	s_load_b128 s[16:19], s[16:17], 0xc0
	v_rcp_iflag_f32_e32 v4, v4
	s_delay_alu instid0(TRANS32_DEP_2)
	v_mul_f32_e32 v3, 0x4f7ffffe, v3
	s_bitcmp0_b32 s28, 0
	s_cselect_b32 s60, -1, 0
	s_lshl_b64 s[36:37], s[28:29], 3
	s_cmp_lg_u32 s28, 0
	s_add_nc_u64 s[34:35], s[20:21], s[36:37]
	s_add_nc_u64 s[36:37], s[0:1], s[36:37]
	s_cselect_b32 s61, -1, 0
	s_delay_alu instid0(TRANS32_DEP_1) | instskip(SKIP_2) | instid1(VALU_DEP_2)
	v_mul_f32_e32 v4, 0x4f7ffffe, v4
	v_cvt_u32_f32_e32 v16, v3
	s_ashr_i32 s40, s23, 31
	v_cvt_u32_f32_e32 v17, v4
	s_branch .LBB39_3
.LBB39_2:                               ;   in Loop: Header=BB39_3 Depth=1
	s_wait_alu 0xfffe
	s_or_b32 exec_lo, exec_lo, s0
	v_add_co_u32 v0, vcc_lo, v0, s33
	s_wait_alu 0xfffd
	v_add_co_ci_u32_e64 v1, null, 0, v1, vcc_lo
	s_delay_alu instid0(VALU_DEP_1) | instskip(SKIP_1) | instid1(SALU_CYCLE_1)
	v_cmp_le_i64_e32 vcc_lo, s[6:7], v[0:1]
	s_or_b32 s63, vcc_lo, s63
	s_and_not1_b32 exec_lo, exec_lo, s63
	s_cbranch_execz .LBB39_38
.LBB39_3:                               ; =>This Loop Header: Depth=1
                                        ;     Child Loop BB39_21 Depth 2
	v_or_b32_e32 v3, s23, v1
                                        ; implicit-def: $vgpr6_vgpr7
	s_mov_b32 s0, exec_lo
	s_delay_alu instid0(VALU_DEP_1)
	v_cmpx_ne_u64_e32 0, v[2:3]
	s_wait_alu 0xfffe
	s_xor_b32 s1, exec_lo, s0
	s_cbranch_execz .LBB39_5
; %bb.4:                                ;   in Loop: Header=BB39_3 Depth=1
	s_mov_b32 s41, s40
	v_ashrrev_i32_e32 v9, 31, v1
	s_wait_alu 0xfffe
	s_add_nc_u64 s[42:43], s[22:23], s[40:41]
	s_wait_alu 0xfffe
	s_xor_b64 s[42:43], s[42:43], s[40:41]
	v_add_co_u32 v3, vcc_lo, v0, v9
	s_wait_alu 0xfffe
	s_cvt_f32_u32 s0, s42
	s_cvt_f32_u32 s26, s43
	s_sub_nc_u64 s[46:47], 0, s[42:43]
	s_wait_alu 0xfffd
	v_add_co_ci_u32_e64 v4, null, v1, v9, vcc_lo
	s_wait_alu 0xfffe
	s_fmamk_f32 s0, s26, 0x4f800000, s0
	v_xor_b32_e32 v10, v3, v9
	s_delay_alu instid0(VALU_DEP_2) | instskip(SKIP_2) | instid1(TRANS32_DEP_1)
	v_xor_b32_e32 v11, v4, v9
	s_wait_alu 0xfffe
	v_s_rcp_f32 s0, s0
	s_mul_f32 s0, s0, 0x5f7ffffc
	s_wait_alu 0xfffe
	s_delay_alu instid0(SALU_CYCLE_2) | instskip(SKIP_1) | instid1(SALU_CYCLE_2)
	s_mul_f32 s26, s0, 0x2f800000
	s_wait_alu 0xfffe
	s_trunc_f32 s26, s26
	s_wait_alu 0xfffe
	s_delay_alu instid0(SALU_CYCLE_2) | instskip(SKIP_2) | instid1(SALU_CYCLE_1)
	s_fmamk_f32 s0, s26, 0xcf800000, s0
	s_cvt_u32_f32 s45, s26
	s_wait_alu 0xfffe
	s_cvt_u32_f32 s44, s0
	s_wait_alu 0xfffe
	s_delay_alu instid0(SALU_CYCLE_2)
	s_mul_u64 s[48:49], s[46:47], s[44:45]
	s_wait_alu 0xfffe
	s_mul_hi_u32 s51, s44, s49
	s_mul_i32 s50, s44, s49
	s_mul_hi_u32 s26, s44, s48
	s_mul_i32 s41, s45, s48
	s_wait_alu 0xfffe
	s_add_nc_u64 s[50:51], s[26:27], s[50:51]
	s_mul_hi_u32 s0, s45, s48
	s_mul_hi_u32 s52, s45, s49
	s_wait_alu 0xfffe
	s_add_co_u32 s26, s50, s41
	s_add_co_ci_u32 s26, s51, s0
	s_mul_i32 s48, s45, s49
	s_add_co_ci_u32 s49, s52, 0
	s_wait_alu 0xfffe
	s_add_nc_u64 s[48:49], s[26:27], s[48:49]
	s_wait_alu 0xfffe
	s_add_co_u32 s44, s44, s48
	s_cselect_b32 s0, -1, 0
	s_wait_alu 0xfffe
	s_cmp_lg_u32 s0, 0
	s_add_co_ci_u32 s45, s45, s49
	s_wait_alu 0xfffe
	s_mul_u64 s[46:47], s[46:47], s[44:45]
	s_wait_alu 0xfffe
	s_mul_hi_u32 s49, s44, s47
	s_mul_i32 s48, s44, s47
	s_mul_hi_u32 s26, s44, s46
	s_mul_i32 s41, s45, s46
	s_wait_alu 0xfffe
	s_add_nc_u64 s[48:49], s[26:27], s[48:49]
	s_mul_hi_u32 s0, s45, s46
	s_mul_hi_u32 s50, s45, s47
	s_wait_alu 0xfffe
	s_add_co_u32 s26, s48, s41
	s_add_co_ci_u32 s26, s49, s0
	s_mul_i32 s46, s45, s47
	s_add_co_ci_u32 s47, s50, 0
	s_wait_alu 0xfffe
	s_add_nc_u64 s[46:47], s[26:27], s[46:47]
	s_wait_alu 0xfffe
	s_add_co_u32 s0, s44, s46
	s_cselect_b32 s26, -1, 0
	s_wait_alu 0xfffe
	v_mul_hi_u32 v12, v10, s0
	s_cmp_lg_u32 s26, 0
	v_mad_co_u64_u32 v[5:6], null, v11, s0, 0
	s_add_co_ci_u32 s26, s45, s47
	s_wait_alu 0xfffe
	v_mad_co_u64_u32 v[3:4], null, v10, s26, 0
	v_mad_co_u64_u32 v[7:8], null, v11, s26, 0
	s_delay_alu instid0(VALU_DEP_2) | instskip(SKIP_1) | instid1(VALU_DEP_3)
	v_add_co_u32 v3, vcc_lo, v12, v3
	s_wait_alu 0xfffd
	v_add_co_ci_u32_e64 v4, null, 0, v4, vcc_lo
	s_delay_alu instid0(VALU_DEP_2) | instskip(SKIP_1) | instid1(VALU_DEP_2)
	v_add_co_u32 v3, vcc_lo, v3, v5
	s_wait_alu 0xfffd
	v_add_co_ci_u32_e32 v3, vcc_lo, v4, v6, vcc_lo
	s_wait_alu 0xfffd
	v_add_co_ci_u32_e32 v4, vcc_lo, 0, v8, vcc_lo
	s_delay_alu instid0(VALU_DEP_2) | instskip(SKIP_1) | instid1(VALU_DEP_2)
	v_add_co_u32 v5, vcc_lo, v3, v7
	s_wait_alu 0xfffd
	v_add_co_ci_u32_e64 v6, null, 0, v4, vcc_lo
	s_delay_alu instid0(VALU_DEP_2) | instskip(SKIP_1) | instid1(VALU_DEP_3)
	v_mul_lo_u32 v7, s43, v5
	v_mad_co_u64_u32 v[3:4], null, s42, v5, 0
	v_mul_lo_u32 v8, s42, v6
	s_delay_alu instid0(VALU_DEP_2) | instskip(NEXT) | instid1(VALU_DEP_2)
	v_sub_co_u32 v3, vcc_lo, v10, v3
	v_add3_u32 v4, v4, v8, v7
	v_add_co_u32 v8, s0, v5, 2
	s_wait_alu 0xf1ff
	v_add_co_ci_u32_e64 v10, null, 0, v6, s0
	s_delay_alu instid0(VALU_DEP_3) | instskip(SKIP_3) | instid1(VALU_DEP_3)
	v_sub_nc_u32_e32 v7, v11, v4
	v_sub_co_u32 v12, s0, v3, s42
	s_wait_alu 0xfffd
	v_sub_co_ci_u32_e64 v4, null, v11, v4, vcc_lo
	v_subrev_co_ci_u32_e64 v7, null, s43, v7, vcc_lo
	s_delay_alu instid0(VALU_DEP_3) | instskip(SKIP_1) | instid1(VALU_DEP_2)
	v_cmp_le_u32_e32 vcc_lo, s42, v12
	s_wait_alu 0xf1ff
	v_subrev_co_ci_u32_e64 v7, null, 0, v7, s0
	s_wait_alu 0xfffd
	v_cndmask_b32_e64 v11, 0, -1, vcc_lo
	s_delay_alu instid0(VALU_DEP_2)
	v_cmp_le_u32_e32 vcc_lo, s43, v7
	s_wait_alu 0xfffd
	v_cndmask_b32_e64 v12, 0, -1, vcc_lo
	v_cmp_le_u32_e32 vcc_lo, s42, v3
	s_wait_alu 0xfffd
	v_cndmask_b32_e64 v3, 0, -1, vcc_lo
	;; [unrolled: 3-line block ×3, first 2 shown]
	v_cmp_eq_u32_e32 vcc_lo, s43, v7
	s_wait_alu 0xfffd
	v_cndmask_b32_e32 v7, v12, v11, vcc_lo
	v_add_co_u32 v11, vcc_lo, v5, 1
	s_wait_alu 0xfffd
	v_add_co_ci_u32_e64 v12, null, 0, v6, vcc_lo
	v_cmp_eq_u32_e32 vcc_lo, s43, v4
	s_wait_alu 0xfffd
	v_cndmask_b32_e32 v3, v13, v3, vcc_lo
	v_cmp_ne_u32_e32 vcc_lo, 0, v7
	v_xor_b32_e32 v7, s40, v9
	s_wait_alu 0xfffd
	v_cndmask_b32_e32 v4, v12, v10, vcc_lo
	v_cmp_ne_u32_e64 s0, 0, v3
	v_cndmask_b32_e32 v3, v11, v8, vcc_lo
	s_wait_alu 0xf1ff
	s_delay_alu instid0(VALU_DEP_2) | instskip(NEXT) | instid1(VALU_DEP_2)
	v_cndmask_b32_e64 v4, v6, v4, s0
	v_cndmask_b32_e64 v3, v5, v3, s0
	s_delay_alu instid0(VALU_DEP_2) | instskip(NEXT) | instid1(VALU_DEP_2)
	v_xor_b32_e32 v4, v4, v7
	v_xor_b32_e32 v3, v3, v7
	s_delay_alu instid0(VALU_DEP_1) | instskip(SKIP_1) | instid1(VALU_DEP_3)
	v_sub_co_u32 v6, vcc_lo, v3, v7
	s_wait_alu 0xfffd
	v_sub_co_ci_u32_e64 v7, null, v4, v7, vcc_lo
.LBB39_5:                               ;   in Loop: Header=BB39_3 Depth=1
	s_wait_alu 0xfffe
	s_and_not1_saveexec_b32 s0, s1
	s_cbranch_execz .LBB39_7
; %bb.6:                                ;   in Loop: Header=BB39_3 Depth=1
	s_sub_co_i32 s1, 0, s22
	v_mov_b32_e32 v7, v2
	s_wait_alu 0xfffe
	v_mul_lo_u32 v3, s1, v16
	s_delay_alu instid0(VALU_DEP_1) | instskip(NEXT) | instid1(VALU_DEP_1)
	v_mul_hi_u32 v3, v16, v3
	v_add_nc_u32_e32 v3, v16, v3
	s_delay_alu instid0(VALU_DEP_1) | instskip(NEXT) | instid1(VALU_DEP_1)
	v_mul_hi_u32 v3, v0, v3
	v_mul_lo_u32 v4, v3, s22
	s_delay_alu instid0(VALU_DEP_1) | instskip(NEXT) | instid1(VALU_DEP_1)
	v_sub_nc_u32_e32 v4, v0, v4
	v_subrev_nc_u32_e32 v6, s22, v4
	v_cmp_le_u32_e32 vcc_lo, s22, v4
	s_wait_alu 0xfffd
	s_delay_alu instid0(VALU_DEP_2) | instskip(NEXT) | instid1(VALU_DEP_1)
	v_dual_cndmask_b32 v4, v4, v6 :: v_dual_add_nc_u32 v5, 1, v3
	v_cndmask_b32_e32 v3, v3, v5, vcc_lo
	s_delay_alu instid0(VALU_DEP_2) | instskip(NEXT) | instid1(VALU_DEP_2)
	v_cmp_le_u32_e32 vcc_lo, s22, v4
	v_add_nc_u32_e32 v5, 1, v3
	s_wait_alu 0xfffd
	s_delay_alu instid0(VALU_DEP_1)
	v_cndmask_b32_e32 v6, v3, v5, vcc_lo
.LBB39_7:                               ;   in Loop: Header=BB39_3 Depth=1
	s_wait_alu 0xfffe
	s_or_b32 exec_lo, exec_lo, s0
	v_or_b32_e32 v3, s9, v7
                                        ; implicit-def: $vgpr10_vgpr11
	s_mov_b32 s0, exec_lo
	s_delay_alu instid0(VALU_DEP_1)
	v_cmpx_ne_u64_e32 0, v[2:3]
	s_wait_alu 0xfffe
	s_xor_b32 s1, exec_lo, s0
	s_cbranch_execz .LBB39_9
; %bb.8:                                ;   in Loop: Header=BB39_3 Depth=1
	s_ashr_i32 s42, s9, 31
	v_ashrrev_i32_e32 v5, 31, v7
	s_wait_alu 0xfffe
	s_mov_b32 s43, s42
	s_wait_alu 0xfffe
	s_add_nc_u64 s[44:45], s[8:9], s[42:43]
	v_add_co_u32 v3, vcc_lo, v6, v5
	s_wait_alu 0xfffe
	s_xor_b64 s[44:45], s[44:45], s[42:43]
	s_wait_alu 0xfffd
	v_add_co_ci_u32_e64 v4, null, v7, v5, vcc_lo
	s_wait_alu 0xfffe
	s_cvt_f32_u32 s0, s44
	s_cvt_f32_u32 s26, s45
	s_sub_nc_u64 s[48:49], 0, s[44:45]
	v_xor_b32_e32 v12, v3, v5
	v_xor_b32_e32 v13, v4, v5
	s_wait_alu 0xfffe
	s_fmamk_f32 s0, s26, 0x4f800000, s0
	v_xor_b32_e32 v5, s42, v5
	s_wait_alu 0xfffe
	s_delay_alu instid0(SALU_CYCLE_1) | instskip(NEXT) | instid1(TRANS32_DEP_1)
	v_s_rcp_f32 s0, s0
	s_mul_f32 s0, s0, 0x5f7ffffc
	s_wait_alu 0xfffe
	s_delay_alu instid0(SALU_CYCLE_2) | instskip(SKIP_1) | instid1(SALU_CYCLE_2)
	s_mul_f32 s26, s0, 0x2f800000
	s_wait_alu 0xfffe
	s_trunc_f32 s26, s26
	s_wait_alu 0xfffe
	s_delay_alu instid0(SALU_CYCLE_2) | instskip(SKIP_2) | instid1(SALU_CYCLE_1)
	s_fmamk_f32 s0, s26, 0xcf800000, s0
	s_cvt_u32_f32 s47, s26
	s_wait_alu 0xfffe
	s_cvt_u32_f32 s46, s0
	s_wait_alu 0xfffe
	s_delay_alu instid0(SALU_CYCLE_2)
	s_mul_u64 s[50:51], s[48:49], s[46:47]
	s_wait_alu 0xfffe
	s_mul_hi_u32 s53, s46, s51
	s_mul_i32 s52, s46, s51
	s_mul_hi_u32 s26, s46, s50
	s_mul_i32 s41, s47, s50
	s_wait_alu 0xfffe
	s_add_nc_u64 s[52:53], s[26:27], s[52:53]
	s_mul_hi_u32 s0, s47, s50
	s_mul_hi_u32 s43, s47, s51
	s_wait_alu 0xfffe
	s_add_co_u32 s26, s52, s41
	s_add_co_ci_u32 s26, s53, s0
	s_mul_i32 s50, s47, s51
	s_add_co_ci_u32 s51, s43, 0
	s_wait_alu 0xfffe
	s_add_nc_u64 s[50:51], s[26:27], s[50:51]
	s_wait_alu 0xfffe
	s_add_co_u32 s46, s46, s50
	s_cselect_b32 s0, -1, 0
	s_wait_alu 0xfffe
	s_cmp_lg_u32 s0, 0
	s_add_co_ci_u32 s47, s47, s51
	s_wait_alu 0xfffe
	s_mul_u64 s[48:49], s[48:49], s[46:47]
	s_wait_alu 0xfffe
	s_mul_hi_u32 s51, s46, s49
	s_mul_i32 s50, s46, s49
	s_mul_hi_u32 s26, s46, s48
	s_mul_i32 s41, s47, s48
	s_wait_alu 0xfffe
	s_add_nc_u64 s[50:51], s[26:27], s[50:51]
	s_mul_hi_u32 s0, s47, s48
	s_mul_hi_u32 s43, s47, s49
	s_wait_alu 0xfffe
	s_add_co_u32 s26, s50, s41
	s_add_co_ci_u32 s26, s51, s0
	s_mul_i32 s48, s47, s49
	s_add_co_ci_u32 s49, s43, 0
	s_wait_alu 0xfffe
	s_add_nc_u64 s[48:49], s[26:27], s[48:49]
	s_wait_alu 0xfffe
	s_add_co_u32 s0, s46, s48
	s_cselect_b32 s26, -1, 0
	s_wait_alu 0xfffe
	v_mul_hi_u32 v14, v12, s0
	s_cmp_lg_u32 s26, 0
	v_mad_co_u64_u32 v[8:9], null, v13, s0, 0
	s_add_co_ci_u32 s26, s47, s49
	s_wait_alu 0xfffe
	v_mad_co_u64_u32 v[3:4], null, v12, s26, 0
	v_mad_co_u64_u32 v[10:11], null, v13, s26, 0
	s_delay_alu instid0(VALU_DEP_2) | instskip(SKIP_1) | instid1(VALU_DEP_3)
	v_add_co_u32 v3, vcc_lo, v14, v3
	s_wait_alu 0xfffd
	v_add_co_ci_u32_e64 v4, null, 0, v4, vcc_lo
	s_delay_alu instid0(VALU_DEP_2) | instskip(SKIP_1) | instid1(VALU_DEP_2)
	v_add_co_u32 v3, vcc_lo, v3, v8
	s_wait_alu 0xfffd
	v_add_co_ci_u32_e32 v3, vcc_lo, v4, v9, vcc_lo
	s_wait_alu 0xfffd
	v_add_co_ci_u32_e32 v4, vcc_lo, 0, v11, vcc_lo
	s_delay_alu instid0(VALU_DEP_2) | instskip(SKIP_1) | instid1(VALU_DEP_2)
	v_add_co_u32 v8, vcc_lo, v3, v10
	s_wait_alu 0xfffd
	v_add_co_ci_u32_e64 v9, null, 0, v4, vcc_lo
	s_delay_alu instid0(VALU_DEP_2) | instskip(SKIP_1) | instid1(VALU_DEP_3)
	v_mul_lo_u32 v10, s45, v8
	v_mad_co_u64_u32 v[3:4], null, s44, v8, 0
	v_mul_lo_u32 v11, s44, v9
	s_delay_alu instid0(VALU_DEP_2) | instskip(NEXT) | instid1(VALU_DEP_2)
	v_sub_co_u32 v3, vcc_lo, v12, v3
	v_add3_u32 v4, v4, v11, v10
	v_add_co_u32 v11, s0, v8, 2
	s_wait_alu 0xf1ff
	v_add_co_ci_u32_e64 v12, null, 0, v9, s0
	s_delay_alu instid0(VALU_DEP_3) | instskip(SKIP_3) | instid1(VALU_DEP_3)
	v_sub_nc_u32_e32 v10, v13, v4
	v_sub_co_u32 v14, s0, v3, s44
	s_wait_alu 0xfffd
	v_sub_co_ci_u32_e64 v4, null, v13, v4, vcc_lo
	v_subrev_co_ci_u32_e64 v10, null, s45, v10, vcc_lo
	s_delay_alu instid0(VALU_DEP_3) | instskip(SKIP_1) | instid1(VALU_DEP_2)
	v_cmp_le_u32_e32 vcc_lo, s44, v14
	s_wait_alu 0xf1ff
	v_subrev_co_ci_u32_e64 v10, null, 0, v10, s0
	s_wait_alu 0xfffd
	v_cndmask_b32_e64 v13, 0, -1, vcc_lo
	s_delay_alu instid0(VALU_DEP_2)
	v_cmp_le_u32_e32 vcc_lo, s45, v10
	s_wait_alu 0xfffd
	v_cndmask_b32_e64 v14, 0, -1, vcc_lo
	v_cmp_le_u32_e32 vcc_lo, s44, v3
	s_wait_alu 0xfffd
	v_cndmask_b32_e64 v3, 0, -1, vcc_lo
	;; [unrolled: 3-line block ×3, first 2 shown]
	v_cmp_eq_u32_e32 vcc_lo, s45, v10
	s_wait_alu 0xfffd
	v_cndmask_b32_e32 v10, v14, v13, vcc_lo
	v_add_co_u32 v13, vcc_lo, v8, 1
	s_wait_alu 0xfffd
	v_add_co_ci_u32_e64 v14, null, 0, v9, vcc_lo
	v_cmp_eq_u32_e32 vcc_lo, s45, v4
	s_wait_alu 0xfffd
	v_cndmask_b32_e32 v3, v15, v3, vcc_lo
	v_cmp_ne_u32_e32 vcc_lo, 0, v10
	s_delay_alu instid0(VALU_DEP_2) | instskip(SKIP_3) | instid1(VALU_DEP_1)
	v_cmp_ne_u32_e64 s0, 0, v3
	s_wait_alu 0xfffd
	v_dual_cndmask_b32 v4, v14, v12 :: v_dual_cndmask_b32 v3, v13, v11
	s_wait_alu 0xf1ff
	v_cndmask_b32_e64 v4, v9, v4, s0
	s_delay_alu instid0(VALU_DEP_2) | instskip(NEXT) | instid1(VALU_DEP_2)
	v_cndmask_b32_e64 v3, v8, v3, s0
	v_xor_b32_e32 v4, v4, v5
	s_delay_alu instid0(VALU_DEP_2) | instskip(NEXT) | instid1(VALU_DEP_1)
	v_xor_b32_e32 v3, v3, v5
	v_sub_co_u32 v10, vcc_lo, v3, v5
	s_wait_alu 0xfffd
	s_delay_alu instid0(VALU_DEP_3)
	v_sub_co_ci_u32_e64 v11, null, v4, v5, vcc_lo
.LBB39_9:                               ;   in Loop: Header=BB39_3 Depth=1
	s_wait_alu 0xfffe
	s_and_not1_saveexec_b32 s0, s1
	s_cbranch_execz .LBB39_11
; %bb.10:                               ;   in Loop: Header=BB39_3 Depth=1
	s_sub_co_i32 s1, 0, s8
	v_mov_b32_e32 v11, v2
	s_wait_alu 0xfffe
	v_mul_lo_u32 v3, s1, v17
	s_delay_alu instid0(VALU_DEP_1) | instskip(NEXT) | instid1(VALU_DEP_1)
	v_mul_hi_u32 v3, v17, v3
	v_add_nc_u32_e32 v3, v17, v3
	s_delay_alu instid0(VALU_DEP_1) | instskip(NEXT) | instid1(VALU_DEP_1)
	v_mul_hi_u32 v3, v6, v3
	v_mul_lo_u32 v4, v3, s8
	v_add_nc_u32_e32 v5, 1, v3
	s_delay_alu instid0(VALU_DEP_2) | instskip(NEXT) | instid1(VALU_DEP_1)
	v_sub_nc_u32_e32 v4, v6, v4
	v_subrev_nc_u32_e32 v8, s8, v4
	v_cmp_le_u32_e32 vcc_lo, s8, v4
	s_wait_alu 0xfffd
	s_delay_alu instid0(VALU_DEP_2) | instskip(NEXT) | instid1(VALU_DEP_1)
	v_dual_cndmask_b32 v4, v4, v8 :: v_dual_cndmask_b32 v3, v3, v5
	v_cmp_le_u32_e32 vcc_lo, s8, v4
	s_delay_alu instid0(VALU_DEP_2) | instskip(SKIP_1) | instid1(VALU_DEP_1)
	v_add_nc_u32_e32 v5, 1, v3
	s_wait_alu 0xfffd
	v_cndmask_b32_e32 v10, v3, v5, vcc_lo
.LBB39_11:                              ;   in Loop: Header=BB39_3 Depth=1
	s_wait_alu 0xfffe
	s_or_b32 exec_lo, exec_lo, s0
	v_mul_lo_u32 v5, v7, s22
	v_mul_lo_u32 v12, v6, s23
	v_mad_co_u64_u32 v[3:4], null, v6, s22, 0
	v_mul_lo_u32 v13, v11, s8
	v_mul_lo_u32 v14, v10, s9
	v_mad_co_u64_u32 v[8:9], null, v10, s8, 0
	s_delay_alu instid0(VALU_DEP_4) | instskip(SKIP_1) | instid1(VALU_DEP_3)
	v_add3_u32 v5, v4, v12, v5
	v_sub_co_u32 v4, vcc_lo, v0, v3
	v_add3_u32 v3, v9, v14, v13
	s_wait_alu 0xfffd
	s_delay_alu instid0(VALU_DEP_3) | instskip(NEXT) | instid1(VALU_DEP_3)
	v_sub_co_ci_u32_e64 v5, null, v1, v5, vcc_lo
	v_mul_lo_u32 v9, s15, v4
	v_mad_co_u64_u32 v[12:13], null, s14, v4, 0
	s_wait_kmcnt 0x0
	v_mul_lo_u32 v20, s19, v4
	v_mul_lo_u32 v21, s14, v5
	;; [unrolled: 1-line block ×3, first 2 shown]
	v_mad_co_u64_u32 v[14:15], null, s18, v4, 0
	v_sub_co_u32 v18, vcc_lo, v6, v8
	s_wait_alu 0xfffd
	v_sub_co_ci_u32_e64 v19, null, v7, v3, vcc_lo
	v_add3_u32 v13, v13, v21, v9
	s_delay_alu instid0(VALU_DEP_3) | instskip(SKIP_1) | instid1(VALU_DEP_4)
	v_mul_lo_u32 v3, s13, v18
	v_add3_u32 v15, v15, v22, v20
	v_mul_lo_u32 v21, s12, v19
	s_and_not1_b32 vcc_lo, exec_lo, s62
	v_mad_co_u64_u32 v[8:9], null, s12, v18, v[12:13]
	v_mul_lo_u32 v12, s16, v19
	v_mul_lo_u32 v13, s17, v18
	v_mad_co_u64_u32 v[6:7], null, s16, v18, v[14:15]
	s_delay_alu instid0(VALU_DEP_4) | instskip(NEXT) | instid1(VALU_DEP_2)
	v_add3_u32 v9, v3, v9, v21
	v_add3_u32 v7, v13, v7, v12
	s_wait_alu 0xfffe
	s_cbranch_vccnz .LBB39_29
; %bb.12:                               ;   in Loop: Header=BB39_3 Depth=1
	s_and_not1_b32 vcc_lo, exec_lo, s60
	s_wait_alu 0xfffe
	s_cbranch_vccnz .LBB39_18
; %bb.13:                               ;   in Loop: Header=BB39_3 Depth=1
	s_load_b64 s[42:43], s[34:35], 0x8
                                        ; implicit-def: $vgpr12_vgpr13
	s_mov_b32 s0, exec_lo
	s_wait_kmcnt 0x0
	v_or_b32_e32 v3, s43, v11
	s_delay_alu instid0(VALU_DEP_1)
	v_cmpx_ne_u64_e32 0, v[2:3]
	s_wait_alu 0xfffe
	s_xor_b32 s1, exec_lo, s0
	s_cbranch_execz .LBB39_15
; %bb.14:                               ;   in Loop: Header=BB39_3 Depth=1
	s_ashr_i32 s44, s43, 31
	v_ashrrev_i32_e32 v3, 31, v11
	s_wait_alu 0xfffe
	s_mov_b32 s45, s44
	s_wait_alu 0xfffe
	s_add_nc_u64 s[46:47], s[42:43], s[44:45]
	v_add_co_u32 v12, vcc_lo, v10, v3
	s_wait_alu 0xfffe
	s_xor_b64 s[46:47], s[46:47], s[44:45]
	s_wait_alu 0xfffd
	v_add_co_ci_u32_e64 v13, null, v11, v3, vcc_lo
	s_wait_alu 0xfffe
	s_cvt_f32_u32 s0, s46
	s_cvt_f32_u32 s26, s47
	s_sub_nc_u64 s[50:51], 0, s[46:47]
	v_xor_b32_e32 v22, v12, v3
	v_xor_b32_e32 v23, v13, v3
	s_wait_alu 0xfffe
	s_fmamk_f32 s0, s26, 0x4f800000, s0
	v_xor_b32_e32 v3, s44, v3
	s_wait_alu 0xfffe
	s_delay_alu instid0(SALU_CYCLE_1) | instskip(NEXT) | instid1(TRANS32_DEP_1)
	v_s_rcp_f32 s0, s0
	s_mul_f32 s0, s0, 0x5f7ffffc
	s_wait_alu 0xfffe
	s_delay_alu instid0(SALU_CYCLE_2) | instskip(SKIP_1) | instid1(SALU_CYCLE_2)
	s_mul_f32 s26, s0, 0x2f800000
	s_wait_alu 0xfffe
	s_trunc_f32 s26, s26
	s_wait_alu 0xfffe
	s_delay_alu instid0(SALU_CYCLE_2) | instskip(SKIP_2) | instid1(SALU_CYCLE_1)
	s_fmamk_f32 s0, s26, 0xcf800000, s0
	s_cvt_u32_f32 s49, s26
	s_wait_alu 0xfffe
	s_cvt_u32_f32 s48, s0
	s_wait_alu 0xfffe
	s_delay_alu instid0(SALU_CYCLE_2)
	s_mul_u64 s[52:53], s[50:51], s[48:49]
	s_wait_alu 0xfffe
	s_mul_hi_u32 s55, s48, s53
	s_mul_i32 s54, s48, s53
	s_mul_hi_u32 s26, s48, s52
	s_mul_i32 s41, s49, s52
	s_wait_alu 0xfffe
	s_add_nc_u64 s[54:55], s[26:27], s[54:55]
	s_mul_hi_u32 s0, s49, s52
	s_mul_hi_u32 s45, s49, s53
	s_wait_alu 0xfffe
	s_add_co_u32 s26, s54, s41
	s_add_co_ci_u32 s26, s55, s0
	s_mul_i32 s52, s49, s53
	s_add_co_ci_u32 s53, s45, 0
	s_wait_alu 0xfffe
	s_add_nc_u64 s[52:53], s[26:27], s[52:53]
	s_wait_alu 0xfffe
	s_add_co_u32 s48, s48, s52
	s_cselect_b32 s0, -1, 0
	s_wait_alu 0xfffe
	s_cmp_lg_u32 s0, 0
	s_add_co_ci_u32 s49, s49, s53
	s_wait_alu 0xfffe
	s_mul_u64 s[50:51], s[50:51], s[48:49]
	s_wait_alu 0xfffe
	s_mul_hi_u32 s53, s48, s51
	s_mul_i32 s52, s48, s51
	s_mul_hi_u32 s26, s48, s50
	s_mul_i32 s41, s49, s50
	s_wait_alu 0xfffe
	s_add_nc_u64 s[52:53], s[26:27], s[52:53]
	s_mul_hi_u32 s0, s49, s50
	s_mul_hi_u32 s45, s49, s51
	s_wait_alu 0xfffe
	s_add_co_u32 s26, s52, s41
	s_add_co_ci_u32 s26, s53, s0
	s_mul_i32 s50, s49, s51
	s_add_co_ci_u32 s51, s45, 0
	s_wait_alu 0xfffe
	s_add_nc_u64 s[50:51], s[26:27], s[50:51]
	s_wait_alu 0xfffe
	s_add_co_u32 s0, s48, s50
	s_cselect_b32 s26, -1, 0
	s_wait_alu 0xfffe
	v_mul_hi_u32 v24, v22, s0
	s_cmp_lg_u32 s26, 0
	v_mad_co_u64_u32 v[14:15], null, v23, s0, 0
	s_add_co_ci_u32 s26, s49, s51
	s_wait_alu 0xfffe
	v_mad_co_u64_u32 v[12:13], null, v22, s26, 0
	v_mad_co_u64_u32 v[20:21], null, v23, s26, 0
	s_delay_alu instid0(VALU_DEP_2) | instskip(SKIP_1) | instid1(VALU_DEP_3)
	v_add_co_u32 v12, vcc_lo, v24, v12
	s_wait_alu 0xfffd
	v_add_co_ci_u32_e64 v13, null, 0, v13, vcc_lo
	s_delay_alu instid0(VALU_DEP_2) | instskip(SKIP_1) | instid1(VALU_DEP_2)
	v_add_co_u32 v12, vcc_lo, v12, v14
	s_wait_alu 0xfffd
	v_add_co_ci_u32_e32 v12, vcc_lo, v13, v15, vcc_lo
	s_wait_alu 0xfffd
	v_add_co_ci_u32_e32 v13, vcc_lo, 0, v21, vcc_lo
	s_delay_alu instid0(VALU_DEP_2) | instskip(SKIP_1) | instid1(VALU_DEP_2)
	v_add_co_u32 v14, vcc_lo, v12, v20
	s_wait_alu 0xfffd
	v_add_co_ci_u32_e64 v15, null, 0, v13, vcc_lo
	s_delay_alu instid0(VALU_DEP_2) | instskip(SKIP_1) | instid1(VALU_DEP_3)
	v_mul_lo_u32 v20, s47, v14
	v_mad_co_u64_u32 v[12:13], null, s46, v14, 0
	v_mul_lo_u32 v21, s46, v15
	s_delay_alu instid0(VALU_DEP_2) | instskip(NEXT) | instid1(VALU_DEP_2)
	v_sub_co_u32 v12, vcc_lo, v22, v12
	v_add3_u32 v13, v13, v21, v20
	v_add_co_u32 v21, s0, v14, 2
	s_wait_alu 0xf1ff
	v_add_co_ci_u32_e64 v22, null, 0, v15, s0
	s_delay_alu instid0(VALU_DEP_3) | instskip(SKIP_3) | instid1(VALU_DEP_3)
	v_sub_nc_u32_e32 v20, v23, v13
	v_sub_co_u32 v24, s0, v12, s46
	s_wait_alu 0xfffd
	v_sub_co_ci_u32_e64 v13, null, v23, v13, vcc_lo
	v_subrev_co_ci_u32_e64 v20, null, s47, v20, vcc_lo
	s_delay_alu instid0(VALU_DEP_3) | instskip(SKIP_1) | instid1(VALU_DEP_2)
	v_cmp_le_u32_e32 vcc_lo, s46, v24
	s_wait_alu 0xf1ff
	v_subrev_co_ci_u32_e64 v20, null, 0, v20, s0
	s_wait_alu 0xfffd
	v_cndmask_b32_e64 v23, 0, -1, vcc_lo
	s_delay_alu instid0(VALU_DEP_2)
	v_cmp_le_u32_e32 vcc_lo, s47, v20
	s_wait_alu 0xfffd
	v_cndmask_b32_e64 v24, 0, -1, vcc_lo
	v_cmp_le_u32_e32 vcc_lo, s46, v12
	s_wait_alu 0xfffd
	v_cndmask_b32_e64 v12, 0, -1, vcc_lo
	;; [unrolled: 3-line block ×3, first 2 shown]
	v_cmp_eq_u32_e32 vcc_lo, s47, v20
	s_wait_alu 0xfffd
	v_cndmask_b32_e32 v20, v24, v23, vcc_lo
	v_add_co_u32 v23, vcc_lo, v14, 1
	s_wait_alu 0xfffd
	v_add_co_ci_u32_e64 v24, null, 0, v15, vcc_lo
	v_cmp_eq_u32_e32 vcc_lo, s47, v13
	s_wait_alu 0xfffd
	v_cndmask_b32_e32 v12, v25, v12, vcc_lo
	v_cmp_ne_u32_e32 vcc_lo, 0, v20
	s_wait_alu 0xfffd
	v_cndmask_b32_e32 v13, v24, v22, vcc_lo
	s_delay_alu instid0(VALU_DEP_3) | instskip(SKIP_2) | instid1(VALU_DEP_2)
	v_cmp_ne_u32_e64 s0, 0, v12
	v_cndmask_b32_e32 v12, v23, v21, vcc_lo
	s_wait_alu 0xf1ff
	v_cndmask_b32_e64 v13, v15, v13, s0
	s_delay_alu instid0(VALU_DEP_2) | instskip(NEXT) | instid1(VALU_DEP_2)
	v_cndmask_b32_e64 v12, v14, v12, s0
	v_xor_b32_e32 v13, v13, v3
	s_delay_alu instid0(VALU_DEP_2) | instskip(NEXT) | instid1(VALU_DEP_1)
	v_xor_b32_e32 v12, v12, v3
	v_sub_co_u32 v12, vcc_lo, v12, v3
	s_wait_alu 0xfffd
	s_delay_alu instid0(VALU_DEP_3)
	v_sub_co_ci_u32_e64 v13, null, v13, v3, vcc_lo
.LBB39_15:                              ;   in Loop: Header=BB39_3 Depth=1
	s_wait_alu 0xfffe
	s_and_not1_saveexec_b32 s0, s1
	s_cbranch_execz .LBB39_17
; %bb.16:                               ;   in Loop: Header=BB39_3 Depth=1
	v_cvt_f32_u32_e32 v3, s42
	s_sub_co_i32 s1, 0, s42
	s_delay_alu instid0(VALU_DEP_1) | instskip(NEXT) | instid1(TRANS32_DEP_1)
	v_rcp_iflag_f32_e32 v3, v3
	v_mul_f32_e32 v3, 0x4f7ffffe, v3
	s_delay_alu instid0(VALU_DEP_1) | instskip(SKIP_1) | instid1(VALU_DEP_1)
	v_cvt_u32_f32_e32 v3, v3
	s_wait_alu 0xfffe
	v_mul_lo_u32 v12, s1, v3
	s_delay_alu instid0(VALU_DEP_1) | instskip(NEXT) | instid1(VALU_DEP_1)
	v_mul_hi_u32 v12, v3, v12
	v_add_nc_u32_e32 v3, v3, v12
	s_delay_alu instid0(VALU_DEP_1) | instskip(NEXT) | instid1(VALU_DEP_1)
	v_mul_hi_u32 v3, v10, v3
	v_mul_lo_u32 v12, v3, s42
	v_add_nc_u32_e32 v13, 1, v3
	s_delay_alu instid0(VALU_DEP_2) | instskip(NEXT) | instid1(VALU_DEP_1)
	v_sub_nc_u32_e32 v12, v10, v12
	v_subrev_nc_u32_e32 v14, s42, v12
	v_cmp_le_u32_e32 vcc_lo, s42, v12
	s_wait_alu 0xfffd
	s_delay_alu instid0(VALU_DEP_2) | instskip(NEXT) | instid1(VALU_DEP_1)
	v_dual_cndmask_b32 v12, v12, v14 :: v_dual_cndmask_b32 v3, v3, v13
	v_cmp_le_u32_e32 vcc_lo, s42, v12
	s_delay_alu instid0(VALU_DEP_2) | instskip(SKIP_1) | instid1(VALU_DEP_1)
	v_add_nc_u32_e32 v13, 1, v3
	s_wait_alu 0xfffd
	v_dual_cndmask_b32 v12, v3, v13 :: v_dual_mov_b32 v13, v2
.LBB39_17:                              ;   in Loop: Header=BB39_3 Depth=1
	s_wait_alu 0xfffe
	s_or_b32 exec_lo, exec_lo, s0
	s_delay_alu instid0(VALU_DEP_1) | instskip(NEXT) | instid1(VALU_DEP_2)
	v_mul_lo_u32 v3, v13, s42
	v_mul_lo_u32 v20, v12, s43
	s_load_b64 s[0:1], s[34:35], 0xd0
	v_mad_co_u64_u32 v[14:15], null, v12, s42, 0
	s_load_b64 s[42:43], s[36:37], 0xd0
	v_add3_u32 v3, v15, v20, v3
	v_sub_co_u32 v10, vcc_lo, v10, v14
	s_wait_alu 0xfffd
	s_delay_alu instid0(VALU_DEP_2) | instskip(SKIP_1) | instid1(VALU_DEP_1)
	v_sub_co_ci_u32_e64 v3, null, v11, v3, vcc_lo
	s_wait_kmcnt 0x0
	v_mul_lo_u32 v11, s0, v3
	v_mul_lo_u32 v14, s1, v10
	v_mad_co_u64_u32 v[8:9], null, s0, v10, v[8:9]
	v_mul_lo_u32 v3, s42, v3
	v_mul_lo_u32 v15, s43, v10
	v_mad_co_u64_u32 v[6:7], null, s42, v10, v[6:7]
	s_mov_b64 s[0:1], s[30:31]
	v_add3_u32 v9, v14, v9, v11
	v_dual_mov_b32 v10, v12 :: v_dual_mov_b32 v11, v13
	v_add3_u32 v7, v15, v7, v3
	s_and_not1_b32 vcc_lo, exec_lo, s61
	s_wait_alu 0xfffe
	s_cbranch_vccz .LBB39_19
	s_branch .LBB39_29
.LBB39_18:                              ;   in Loop: Header=BB39_3 Depth=1
	s_mov_b64 s[0:1], s[28:29]
	s_and_not1_b32 vcc_lo, exec_lo, s61
	s_wait_alu 0xfffe
	s_cbranch_vccnz .LBB39_29
.LBB39_19:                              ;   in Loop: Header=BB39_3 Depth=1
	s_lshl_b64 s[44:45], s[0:1], 3
	s_add_nc_u64 s[46:47], s[0:1], 1
	s_wait_alu 0xfffe
	s_add_nc_u64 s[42:43], s[38:39], s[44:45]
	s_add_nc_u64 s[44:45], s[20:21], s[44:45]
	s_branch .LBB39_21
.LBB39_20:                              ;   in Loop: Header=BB39_21 Depth=2
	s_wait_alu 0xfffe
	s_or_b32 exec_lo, exec_lo, s0
	v_mul_lo_u32 v3, v13, s48
	v_mul_lo_u32 v24, v12, s49
	v_mad_co_u64_u32 v[20:21], null, v12, s48, 0
	s_load_b64 s[0:1], s[44:45], 0xc8
	s_load_b64 s[48:49], s[42:43], 0x0
	v_mul_lo_u32 v25, v15, s54
	v_mul_lo_u32 v26, v14, s55
	v_mad_co_u64_u32 v[22:23], null, v14, s54, 0
	v_add3_u32 v3, v21, v24, v3
	v_sub_co_u32 v10, vcc_lo, v10, v20
	s_add_nc_u64 s[46:47], s[46:47], -2
	s_add_nc_u64 s[42:43], s[42:43], -16
	s_wait_alu 0xfffd
	v_sub_co_ci_u32_e64 v3, null, v11, v3, vcc_lo
	v_mul_lo_u32 v11, s53, v10
	v_mad_co_u64_u32 v[8:9], null, s52, v10, v[8:9]
	s_delay_alu instid0(VALU_DEP_3)
	v_mul_lo_u32 v20, s52, v3
	v_mul_lo_u32 v21, s51, v10
	v_mad_co_u64_u32 v[6:7], null, s50, v10, v[6:7]
	v_mul_lo_u32 v3, s50, v3
	v_add3_u32 v10, v23, v26, v25
	s_wait_alu 0xfffe
	s_cmp_eq_u64 s[46:47], 0
	s_add_nc_u64 s[44:45], s[44:45], -16
	v_add3_u32 v9, v11, v9, v20
	v_sub_co_u32 v11, vcc_lo, v12, v22
	s_wait_alu 0xfffd
	v_sub_co_ci_u32_e64 v10, null, v13, v10, vcc_lo
	v_add3_u32 v7, v21, v7, v3
	s_wait_kmcnt 0x0
	v_mad_co_u64_u32 v[8:9], null, s0, v11, v[8:9]
	s_delay_alu instid0(VALU_DEP_3) | instskip(SKIP_4) | instid1(VALU_DEP_4)
	v_mul_lo_u32 v3, s0, v10
	v_mul_lo_u32 v12, s1, v11
	;; [unrolled: 1-line block ×4, first 2 shown]
	v_mad_co_u64_u32 v[6:7], null, s48, v11, v[6:7]
	v_add3_u32 v9, v12, v9, v3
	s_delay_alu instid0(VALU_DEP_2)
	v_add3_u32 v7, v13, v7, v10
	v_dual_mov_b32 v10, v14 :: v_dual_mov_b32 v11, v15
	s_cbranch_scc1 .LBB39_29
.LBB39_21:                              ;   Parent Loop BB39_3 Depth=1
                                        ; =>  This Inner Loop Header: Depth=2
	s_load_b64 s[48:49], s[44:45], 0x8
                                        ; implicit-def: $vgpr12_vgpr13
	s_mov_b32 s0, exec_lo
	s_wait_kmcnt 0x0
	v_or_b32_e32 v3, s49, v11
	s_delay_alu instid0(VALU_DEP_1)
	v_cmpx_ne_u64_e32 0, v[2:3]
	s_wait_alu 0xfffe
	s_xor_b32 s1, exec_lo, s0
	s_cbranch_execz .LBB39_23
; %bb.22:                               ;   in Loop: Header=BB39_21 Depth=2
	s_ashr_i32 s50, s49, 31
	v_ashrrev_i32_e32 v3, 31, v11
	s_wait_alu 0xfffe
	s_mov_b32 s51, s50
	s_wait_alu 0xfffe
	s_add_nc_u64 s[52:53], s[48:49], s[50:51]
	v_add_co_u32 v12, vcc_lo, v10, v3
	s_wait_alu 0xfffe
	s_xor_b64 s[52:53], s[52:53], s[50:51]
	s_wait_alu 0xfffd
	v_add_co_ci_u32_e64 v13, null, v11, v3, vcc_lo
	s_wait_alu 0xfffe
	s_cvt_f32_u32 s0, s52
	s_cvt_f32_u32 s26, s53
	s_sub_nc_u64 s[56:57], 0, s[52:53]
	v_xor_b32_e32 v22, v12, v3
	v_xor_b32_e32 v23, v13, v3
	s_wait_alu 0xfffe
	s_fmamk_f32 s0, s26, 0x4f800000, s0
	v_xor_b32_e32 v3, s50, v3
	s_wait_alu 0xfffe
	s_delay_alu instid0(SALU_CYCLE_1) | instskip(NEXT) | instid1(TRANS32_DEP_1)
	v_s_rcp_f32 s0, s0
	s_mul_f32 s0, s0, 0x5f7ffffc
	s_wait_alu 0xfffe
	s_delay_alu instid0(SALU_CYCLE_2) | instskip(SKIP_1) | instid1(SALU_CYCLE_2)
	s_mul_f32 s26, s0, 0x2f800000
	s_wait_alu 0xfffe
	s_trunc_f32 s26, s26
	s_wait_alu 0xfffe
	s_delay_alu instid0(SALU_CYCLE_2) | instskip(SKIP_2) | instid1(SALU_CYCLE_1)
	s_fmamk_f32 s0, s26, 0xcf800000, s0
	s_cvt_u32_f32 s55, s26
	s_wait_alu 0xfffe
	s_cvt_u32_f32 s54, s0
	s_wait_alu 0xfffe
	s_delay_alu instid0(SALU_CYCLE_2)
	s_mul_u64 s[58:59], s[56:57], s[54:55]
	s_wait_alu 0xfffe
	s_mul_hi_u32 s65, s54, s59
	s_mul_i32 s64, s54, s59
	s_mul_hi_u32 s26, s54, s58
	s_mul_i32 s41, s55, s58
	s_wait_alu 0xfffe
	s_add_nc_u64 s[64:65], s[26:27], s[64:65]
	s_mul_hi_u32 s0, s55, s58
	s_mul_hi_u32 s51, s55, s59
	s_add_co_u32 s26, s64, s41
	s_wait_alu 0xfffe
	s_add_co_ci_u32 s26, s65, s0
	s_mul_i32 s58, s55, s59
	s_add_co_ci_u32 s59, s51, 0
	s_wait_alu 0xfffe
	s_add_nc_u64 s[58:59], s[26:27], s[58:59]
	s_wait_alu 0xfffe
	s_add_co_u32 s54, s54, s58
	s_cselect_b32 s0, -1, 0
	s_wait_alu 0xfffe
	s_cmp_lg_u32 s0, 0
	s_add_co_ci_u32 s55, s55, s59
	s_wait_alu 0xfffe
	s_mul_u64 s[56:57], s[56:57], s[54:55]
	s_wait_alu 0xfffe
	s_mul_hi_u32 s59, s54, s57
	s_mul_i32 s58, s54, s57
	s_mul_hi_u32 s26, s54, s56
	s_mul_i32 s41, s55, s56
	s_wait_alu 0xfffe
	s_add_nc_u64 s[58:59], s[26:27], s[58:59]
	s_mul_hi_u32 s0, s55, s56
	s_mul_hi_u32 s51, s55, s57
	s_wait_alu 0xfffe
	s_add_co_u32 s26, s58, s41
	s_add_co_ci_u32 s26, s59, s0
	s_mul_i32 s56, s55, s57
	s_add_co_ci_u32 s57, s51, 0
	s_wait_alu 0xfffe
	s_add_nc_u64 s[56:57], s[26:27], s[56:57]
	s_wait_alu 0xfffe
	s_add_co_u32 s0, s54, s56
	s_cselect_b32 s26, -1, 0
	s_wait_alu 0xfffe
	v_mul_hi_u32 v24, v22, s0
	s_cmp_lg_u32 s26, 0
	v_mad_co_u64_u32 v[14:15], null, v23, s0, 0
	s_add_co_ci_u32 s26, s55, s57
	s_wait_alu 0xfffe
	v_mad_co_u64_u32 v[12:13], null, v22, s26, 0
	v_mad_co_u64_u32 v[20:21], null, v23, s26, 0
	s_delay_alu instid0(VALU_DEP_2) | instskip(SKIP_1) | instid1(VALU_DEP_3)
	v_add_co_u32 v12, vcc_lo, v24, v12
	s_wait_alu 0xfffd
	v_add_co_ci_u32_e64 v13, null, 0, v13, vcc_lo
	s_delay_alu instid0(VALU_DEP_2) | instskip(SKIP_1) | instid1(VALU_DEP_2)
	v_add_co_u32 v12, vcc_lo, v12, v14
	s_wait_alu 0xfffd
	v_add_co_ci_u32_e32 v12, vcc_lo, v13, v15, vcc_lo
	s_wait_alu 0xfffd
	v_add_co_ci_u32_e32 v13, vcc_lo, 0, v21, vcc_lo
	s_delay_alu instid0(VALU_DEP_2) | instskip(SKIP_1) | instid1(VALU_DEP_2)
	v_add_co_u32 v14, vcc_lo, v12, v20
	s_wait_alu 0xfffd
	v_add_co_ci_u32_e64 v15, null, 0, v13, vcc_lo
	s_delay_alu instid0(VALU_DEP_2) | instskip(SKIP_1) | instid1(VALU_DEP_3)
	v_mul_lo_u32 v20, s53, v14
	v_mad_co_u64_u32 v[12:13], null, s52, v14, 0
	v_mul_lo_u32 v21, s52, v15
	s_delay_alu instid0(VALU_DEP_2) | instskip(NEXT) | instid1(VALU_DEP_2)
	v_sub_co_u32 v12, vcc_lo, v22, v12
	v_add3_u32 v13, v13, v21, v20
	v_add_co_u32 v21, s0, v14, 2
	s_wait_alu 0xf1ff
	v_add_co_ci_u32_e64 v22, null, 0, v15, s0
	s_delay_alu instid0(VALU_DEP_3) | instskip(SKIP_3) | instid1(VALU_DEP_3)
	v_sub_nc_u32_e32 v20, v23, v13
	v_sub_co_u32 v24, s0, v12, s52
	s_wait_alu 0xfffd
	v_sub_co_ci_u32_e64 v13, null, v23, v13, vcc_lo
	v_subrev_co_ci_u32_e64 v20, null, s53, v20, vcc_lo
	s_delay_alu instid0(VALU_DEP_3) | instskip(SKIP_1) | instid1(VALU_DEP_2)
	v_cmp_le_u32_e32 vcc_lo, s52, v24
	s_wait_alu 0xf1ff
	v_subrev_co_ci_u32_e64 v20, null, 0, v20, s0
	s_wait_alu 0xfffd
	v_cndmask_b32_e64 v23, 0, -1, vcc_lo
	s_delay_alu instid0(VALU_DEP_2)
	v_cmp_le_u32_e32 vcc_lo, s53, v20
	s_wait_alu 0xfffd
	v_cndmask_b32_e64 v24, 0, -1, vcc_lo
	v_cmp_le_u32_e32 vcc_lo, s52, v12
	s_wait_alu 0xfffd
	v_cndmask_b32_e64 v12, 0, -1, vcc_lo
	;; [unrolled: 3-line block ×3, first 2 shown]
	v_cmp_eq_u32_e32 vcc_lo, s53, v20
	s_wait_alu 0xfffd
	v_cndmask_b32_e32 v20, v24, v23, vcc_lo
	v_add_co_u32 v23, vcc_lo, v14, 1
	s_wait_alu 0xfffd
	v_add_co_ci_u32_e64 v24, null, 0, v15, vcc_lo
	v_cmp_eq_u32_e32 vcc_lo, s53, v13
	s_wait_alu 0xfffd
	v_cndmask_b32_e32 v12, v25, v12, vcc_lo
	v_cmp_ne_u32_e32 vcc_lo, 0, v20
	s_wait_alu 0xfffd
	v_cndmask_b32_e32 v13, v24, v22, vcc_lo
	s_delay_alu instid0(VALU_DEP_3) | instskip(SKIP_2) | instid1(VALU_DEP_2)
	v_cmp_ne_u32_e64 s0, 0, v12
	v_cndmask_b32_e32 v12, v23, v21, vcc_lo
	s_wait_alu 0xf1ff
	v_cndmask_b32_e64 v13, v15, v13, s0
	s_delay_alu instid0(VALU_DEP_2) | instskip(NEXT) | instid1(VALU_DEP_2)
	v_cndmask_b32_e64 v12, v14, v12, s0
	v_xor_b32_e32 v13, v13, v3
	s_delay_alu instid0(VALU_DEP_2) | instskip(NEXT) | instid1(VALU_DEP_1)
	v_xor_b32_e32 v12, v12, v3
	v_sub_co_u32 v12, vcc_lo, v12, v3
	s_wait_alu 0xfffd
	s_delay_alu instid0(VALU_DEP_3)
	v_sub_co_ci_u32_e64 v13, null, v13, v3, vcc_lo
.LBB39_23:                              ;   in Loop: Header=BB39_21 Depth=2
	s_wait_alu 0xfffe
	s_and_not1_saveexec_b32 s0, s1
	s_cbranch_execz .LBB39_25
; %bb.24:                               ;   in Loop: Header=BB39_21 Depth=2
	v_cvt_f32_u32_e32 v3, s48
	s_sub_co_i32 s1, 0, s48
	s_delay_alu instid0(VALU_DEP_1) | instskip(NEXT) | instid1(TRANS32_DEP_1)
	v_rcp_iflag_f32_e32 v3, v3
	v_mul_f32_e32 v3, 0x4f7ffffe, v3
	s_delay_alu instid0(VALU_DEP_1) | instskip(SKIP_1) | instid1(VALU_DEP_1)
	v_cvt_u32_f32_e32 v3, v3
	s_wait_alu 0xfffe
	v_mul_lo_u32 v12, s1, v3
	s_delay_alu instid0(VALU_DEP_1) | instskip(NEXT) | instid1(VALU_DEP_1)
	v_mul_hi_u32 v12, v3, v12
	v_add_nc_u32_e32 v3, v3, v12
	s_delay_alu instid0(VALU_DEP_1) | instskip(NEXT) | instid1(VALU_DEP_1)
	v_mul_hi_u32 v3, v10, v3
	v_mul_lo_u32 v12, v3, s48
	v_add_nc_u32_e32 v13, 1, v3
	s_delay_alu instid0(VALU_DEP_2) | instskip(NEXT) | instid1(VALU_DEP_1)
	v_sub_nc_u32_e32 v12, v10, v12
	v_subrev_nc_u32_e32 v14, s48, v12
	v_cmp_le_u32_e32 vcc_lo, s48, v12
	s_wait_alu 0xfffd
	s_delay_alu instid0(VALU_DEP_2) | instskip(NEXT) | instid1(VALU_DEP_1)
	v_dual_cndmask_b32 v12, v12, v14 :: v_dual_cndmask_b32 v3, v3, v13
	v_cmp_le_u32_e32 vcc_lo, s48, v12
	s_delay_alu instid0(VALU_DEP_2) | instskip(SKIP_1) | instid1(VALU_DEP_1)
	v_add_nc_u32_e32 v13, 1, v3
	s_wait_alu 0xfffd
	v_dual_cndmask_b32 v12, v3, v13 :: v_dual_mov_b32 v13, v2
.LBB39_25:                              ;   in Loop: Header=BB39_21 Depth=2
	s_wait_alu 0xfffe
	s_or_b32 exec_lo, exec_lo, s0
	s_clause 0x1
	s_load_b64 s[54:55], s[44:45], 0x0
	s_load_b64 s[52:53], s[44:45], 0xd0
	;; [unrolled: 1-line block ×3, first 2 shown]
                                        ; implicit-def: $vgpr14_vgpr15
	s_mov_b32 s0, exec_lo
	s_wait_kmcnt 0x0
	v_or_b32_e32 v3, s55, v13
	s_delay_alu instid0(VALU_DEP_1)
	v_cmpx_ne_u64_e32 0, v[2:3]
	s_wait_alu 0xfffe
	s_xor_b32 s1, exec_lo, s0
	s_cbranch_execz .LBB39_27
; %bb.26:                               ;   in Loop: Header=BB39_21 Depth=2
	s_ashr_i32 s56, s55, 31
	v_ashrrev_i32_e32 v3, 31, v13
	s_wait_alu 0xfffe
	s_mov_b32 s57, s56
	s_wait_alu 0xfffe
	s_add_nc_u64 s[58:59], s[54:55], s[56:57]
	v_add_co_u32 v14, vcc_lo, v12, v3
	s_wait_alu 0xfffe
	s_xor_b64 s[58:59], s[58:59], s[56:57]
	s_wait_alu 0xfffd
	v_add_co_ci_u32_e64 v15, null, v13, v3, vcc_lo
	s_wait_alu 0xfffe
	s_cvt_f32_u32 s0, s58
	s_cvt_f32_u32 s26, s59
	s_sub_nc_u64 s[66:67], 0, s[58:59]
	v_xor_b32_e32 v24, v14, v3
	v_xor_b32_e32 v25, v15, v3
	s_wait_alu 0xfffe
	s_fmamk_f32 s0, s26, 0x4f800000, s0
	v_xor_b32_e32 v3, s56, v3
	s_wait_alu 0xfffe
	s_delay_alu instid0(SALU_CYCLE_1) | instskip(NEXT) | instid1(TRANS32_DEP_1)
	v_s_rcp_f32 s0, s0
	s_mul_f32 s0, s0, 0x5f7ffffc
	s_wait_alu 0xfffe
	s_delay_alu instid0(SALU_CYCLE_2) | instskip(SKIP_1) | instid1(SALU_CYCLE_2)
	s_mul_f32 s26, s0, 0x2f800000
	s_wait_alu 0xfffe
	s_trunc_f32 s26, s26
	s_wait_alu 0xfffe
	s_delay_alu instid0(SALU_CYCLE_2) | instskip(SKIP_2) | instid1(SALU_CYCLE_1)
	s_fmamk_f32 s0, s26, 0xcf800000, s0
	s_cvt_u32_f32 s65, s26
	s_wait_alu 0xfffe
	s_cvt_u32_f32 s64, s0
	s_delay_alu instid0(SALU_CYCLE_3) | instskip(NEXT) | instid1(SALU_CYCLE_1)
	s_mul_u64 s[68:69], s[66:67], s[64:65]
	s_mul_hi_u32 s71, s64, s69
	s_mul_i32 s70, s64, s69
	s_mul_hi_u32 s26, s64, s68
	s_mul_i32 s41, s65, s68
	s_wait_alu 0xfffe
	s_add_nc_u64 s[70:71], s[26:27], s[70:71]
	s_mul_hi_u32 s0, s65, s68
	s_mul_hi_u32 s57, s65, s69
	s_add_co_u32 s26, s70, s41
	s_wait_alu 0xfffe
	s_add_co_ci_u32 s26, s71, s0
	s_mul_i32 s68, s65, s69
	s_add_co_ci_u32 s69, s57, 0
	s_wait_alu 0xfffe
	s_add_nc_u64 s[68:69], s[26:27], s[68:69]
	s_delay_alu instid0(SALU_CYCLE_1) | instskip(SKIP_4) | instid1(SALU_CYCLE_1)
	s_add_co_u32 s64, s64, s68
	s_cselect_b32 s0, -1, 0
	s_wait_alu 0xfffe
	s_cmp_lg_u32 s0, 0
	s_add_co_ci_u32 s65, s65, s69
	s_mul_u64 s[66:67], s[66:67], s[64:65]
	s_delay_alu instid0(SALU_CYCLE_1)
	s_mul_hi_u32 s69, s64, s67
	s_mul_i32 s68, s64, s67
	s_mul_hi_u32 s26, s64, s66
	s_mul_i32 s41, s65, s66
	s_wait_alu 0xfffe
	s_add_nc_u64 s[68:69], s[26:27], s[68:69]
	s_mul_hi_u32 s0, s65, s66
	s_mul_hi_u32 s57, s65, s67
	s_add_co_u32 s26, s68, s41
	s_wait_alu 0xfffe
	s_add_co_ci_u32 s26, s69, s0
	s_mul_i32 s66, s65, s67
	s_add_co_ci_u32 s67, s57, 0
	s_wait_alu 0xfffe
	s_add_nc_u64 s[66:67], s[26:27], s[66:67]
	s_delay_alu instid0(SALU_CYCLE_1)
	s_add_co_u32 s0, s64, s66
	s_cselect_b32 s26, -1, 0
	s_wait_alu 0xfffe
	v_mul_hi_u32 v26, v24, s0
	s_cmp_lg_u32 s26, 0
	v_mad_co_u64_u32 v[20:21], null, v25, s0, 0
	s_add_co_ci_u32 s26, s65, s67
	s_wait_alu 0xfffe
	v_mad_co_u64_u32 v[14:15], null, v24, s26, 0
	v_mad_co_u64_u32 v[22:23], null, v25, s26, 0
	s_delay_alu instid0(VALU_DEP_2) | instskip(SKIP_1) | instid1(VALU_DEP_3)
	v_add_co_u32 v14, vcc_lo, v26, v14
	s_wait_alu 0xfffd
	v_add_co_ci_u32_e64 v15, null, 0, v15, vcc_lo
	s_delay_alu instid0(VALU_DEP_2) | instskip(SKIP_1) | instid1(VALU_DEP_2)
	v_add_co_u32 v14, vcc_lo, v14, v20
	s_wait_alu 0xfffd
	v_add_co_ci_u32_e32 v14, vcc_lo, v15, v21, vcc_lo
	s_wait_alu 0xfffd
	v_add_co_ci_u32_e32 v15, vcc_lo, 0, v23, vcc_lo
	s_delay_alu instid0(VALU_DEP_2) | instskip(SKIP_1) | instid1(VALU_DEP_2)
	v_add_co_u32 v20, vcc_lo, v14, v22
	s_wait_alu 0xfffd
	v_add_co_ci_u32_e64 v21, null, 0, v15, vcc_lo
	s_delay_alu instid0(VALU_DEP_2) | instskip(SKIP_1) | instid1(VALU_DEP_3)
	v_mul_lo_u32 v22, s59, v20
	v_mad_co_u64_u32 v[14:15], null, s58, v20, 0
	v_mul_lo_u32 v23, s58, v21
	s_delay_alu instid0(VALU_DEP_2) | instskip(NEXT) | instid1(VALU_DEP_2)
	v_sub_co_u32 v14, vcc_lo, v24, v14
	v_add3_u32 v15, v15, v23, v22
	v_add_co_u32 v23, s0, v20, 2
	s_wait_alu 0xf1ff
	v_add_co_ci_u32_e64 v24, null, 0, v21, s0
	s_delay_alu instid0(VALU_DEP_3) | instskip(SKIP_3) | instid1(VALU_DEP_3)
	v_sub_nc_u32_e32 v22, v25, v15
	v_sub_co_u32 v26, s0, v14, s58
	s_wait_alu 0xfffd
	v_sub_co_ci_u32_e64 v15, null, v25, v15, vcc_lo
	v_subrev_co_ci_u32_e64 v22, null, s59, v22, vcc_lo
	s_delay_alu instid0(VALU_DEP_3) | instskip(SKIP_1) | instid1(VALU_DEP_2)
	v_cmp_le_u32_e32 vcc_lo, s58, v26
	s_wait_alu 0xf1ff
	v_subrev_co_ci_u32_e64 v22, null, 0, v22, s0
	s_wait_alu 0xfffd
	v_cndmask_b32_e64 v25, 0, -1, vcc_lo
	s_delay_alu instid0(VALU_DEP_2)
	v_cmp_le_u32_e32 vcc_lo, s59, v22
	s_wait_alu 0xfffd
	v_cndmask_b32_e64 v26, 0, -1, vcc_lo
	v_cmp_le_u32_e32 vcc_lo, s58, v14
	s_wait_alu 0xfffd
	v_cndmask_b32_e64 v14, 0, -1, vcc_lo
	;; [unrolled: 3-line block ×3, first 2 shown]
	v_cmp_eq_u32_e32 vcc_lo, s59, v22
	s_wait_alu 0xfffd
	v_cndmask_b32_e32 v22, v26, v25, vcc_lo
	v_add_co_u32 v25, vcc_lo, v20, 1
	s_wait_alu 0xfffd
	v_add_co_ci_u32_e64 v26, null, 0, v21, vcc_lo
	v_cmp_eq_u32_e32 vcc_lo, s59, v15
	s_wait_alu 0xfffd
	v_cndmask_b32_e32 v14, v27, v14, vcc_lo
	v_cmp_ne_u32_e32 vcc_lo, 0, v22
	s_wait_alu 0xfffd
	v_cndmask_b32_e32 v15, v26, v24, vcc_lo
	s_delay_alu instid0(VALU_DEP_3) | instskip(SKIP_2) | instid1(VALU_DEP_2)
	v_cmp_ne_u32_e64 s0, 0, v14
	v_cndmask_b32_e32 v14, v25, v23, vcc_lo
	s_wait_alu 0xf1ff
	v_cndmask_b32_e64 v15, v21, v15, s0
	s_delay_alu instid0(VALU_DEP_2) | instskip(NEXT) | instid1(VALU_DEP_2)
	v_cndmask_b32_e64 v14, v20, v14, s0
	v_xor_b32_e32 v15, v15, v3
	s_delay_alu instid0(VALU_DEP_2) | instskip(NEXT) | instid1(VALU_DEP_1)
	v_xor_b32_e32 v14, v14, v3
	v_sub_co_u32 v14, vcc_lo, v14, v3
	s_wait_alu 0xfffd
	s_delay_alu instid0(VALU_DEP_3)
	v_sub_co_ci_u32_e64 v15, null, v15, v3, vcc_lo
.LBB39_27:                              ;   in Loop: Header=BB39_21 Depth=2
	s_wait_alu 0xfffe
	s_and_not1_saveexec_b32 s0, s1
	s_cbranch_execz .LBB39_20
; %bb.28:                               ;   in Loop: Header=BB39_21 Depth=2
	v_cvt_f32_u32_e32 v3, s54
	s_sub_co_i32 s1, 0, s54
	s_delay_alu instid0(VALU_DEP_1) | instskip(NEXT) | instid1(TRANS32_DEP_1)
	v_rcp_iflag_f32_e32 v3, v3
	v_mul_f32_e32 v3, 0x4f7ffffe, v3
	s_delay_alu instid0(VALU_DEP_1) | instskip(SKIP_1) | instid1(VALU_DEP_1)
	v_cvt_u32_f32_e32 v3, v3
	s_wait_alu 0xfffe
	v_mul_lo_u32 v14, s1, v3
	s_delay_alu instid0(VALU_DEP_1) | instskip(NEXT) | instid1(VALU_DEP_1)
	v_mul_hi_u32 v14, v3, v14
	v_add_nc_u32_e32 v3, v3, v14
	s_delay_alu instid0(VALU_DEP_1) | instskip(NEXT) | instid1(VALU_DEP_1)
	v_mul_hi_u32 v3, v12, v3
	v_mul_lo_u32 v14, v3, s54
	v_add_nc_u32_e32 v15, 1, v3
	s_delay_alu instid0(VALU_DEP_2) | instskip(NEXT) | instid1(VALU_DEP_1)
	v_sub_nc_u32_e32 v14, v12, v14
	v_subrev_nc_u32_e32 v20, s54, v14
	v_cmp_le_u32_e32 vcc_lo, s54, v14
	s_wait_alu 0xfffd
	s_delay_alu instid0(VALU_DEP_2) | instskip(NEXT) | instid1(VALU_DEP_1)
	v_dual_cndmask_b32 v14, v14, v20 :: v_dual_cndmask_b32 v3, v3, v15
	v_cmp_le_u32_e32 vcc_lo, s54, v14
	s_delay_alu instid0(VALU_DEP_2) | instskip(SKIP_1) | instid1(VALU_DEP_1)
	v_add_nc_u32_e32 v15, 1, v3
	s_wait_alu 0xfffd
	v_dual_cndmask_b32 v14, v3, v15 :: v_dual_mov_b32 v15, v2
	s_branch .LBB39_20
.LBB39_29:                              ;   in Loop: Header=BB39_3 Depth=1
	v_sub_co_u32 v10, vcc_lo, v4, v18
	s_wait_alu 0xfffd
	v_sub_co_ci_u32_e64 v11, null, v5, v19, vcc_lo
	v_dual_mov_b32 v12, 0 :: v_dual_mov_b32 v13, 0
	v_dual_mov_b32 v15, 0 :: v_dual_mov_b32 v14, 0
	s_mov_b32 s0, exec_lo
	s_delay_alu instid0(VALU_DEP_3)
	v_cmpx_ge_i64_e64 s[4:5], v[10:11]
	s_cbranch_execz .LBB39_35
; %bb.30:                               ;   in Loop: Header=BB39_3 Depth=1
	v_dual_mov_b32 v14, 0 :: v_dual_mov_b32 v3, 0
	v_dual_mov_b32 v13, 0 :: v_dual_mov_b32 v12, 0
	s_mov_b32 s1, exec_lo
	v_cmpx_gt_i64_e64 s[10:11], v[4:5]
	s_cbranch_execz .LBB39_34
; %bb.31:                               ;   in Loop: Header=BB39_3 Depth=1
	v_lshlrev_b64_e32 v[8:9], 2, v[8:9]
	s_delay_alu instid0(VALU_DEP_1) | instskip(SKIP_1) | instid1(VALU_DEP_2)
	v_add_co_u32 v8, vcc_lo, s2, v8
	s_wait_alu 0xfffd
	v_add_co_ci_u32_e64 v9, null, s3, v9, vcc_lo
	v_add_co_u32 v12, vcc_lo, v4, 1
	s_wait_alu 0xfffd
	v_add_co_ci_u32_e64 v13, null, 0, v5, vcc_lo
	global_load_b32 v3, v[8:9], off
	v_cmp_gt_i64_e32 vcc_lo, s[10:11], v[12:13]
	v_dual_mov_b32 v12, 0 :: v_dual_mov_b32 v13, 0
	s_and_saveexec_b32 s26, vcc_lo
	s_cbranch_execz .LBB39_33
; %bb.32:                               ;   in Loop: Header=BB39_3 Depth=1
	s_lshl_b64 s[42:43], s[14:15], 2
	s_wait_alu 0xfffe
	v_add_co_u32 v8, vcc_lo, v8, s42
	s_wait_alu 0xfffd
	v_add_co_ci_u32_e64 v9, null, s43, v9, vcc_lo
	global_load_b32 v8, v[8:9], off
	s_wait_loadcnt 0x0
	v_and_b32_e32 v13, 0xffff0000, v8
	v_and_b32_e32 v12, 0xffff, v8
.LBB39_33:                              ;   in Loop: Header=BB39_3 Depth=1
	s_wait_alu 0xfffe
	s_or_b32 exec_lo, exec_lo, s26
	s_wait_loadcnt 0x0
	v_lshrrev_b32_e32 v14, 16, v3
.LBB39_34:                              ;   in Loop: Header=BB39_3 Depth=1
	s_wait_alu 0xfffe
	s_or_b32 exec_lo, exec_lo, s1
	v_add_co_u32 v8, vcc_lo, v10, 1
	s_wait_alu 0xfffd
	v_add_co_ci_u32_e64 v9, null, 0, v11, vcc_lo
	v_lshlrev_b32_e32 v14, 16, v14
	v_and_b32_e32 v15, 0xffff, v3
	s_delay_alu instid0(VALU_DEP_3)
	v_cmp_lt_i64_e32 vcc_lo, s[4:5], v[8:9]
	s_wait_alu 0xfffd
	v_cndmask_b32_e64 v12, v12, 0, vcc_lo
	v_cndmask_b32_e64 v13, v13, 0, vcc_lo
.LBB39_35:                              ;   in Loop: Header=BB39_3 Depth=1
	s_wait_alu 0xfffe
	s_or_b32 exec_lo, exec_lo, s0
	s_delay_alu instid0(SALU_CYCLE_1)
	s_mov_b32 s0, exec_lo
	v_cmpx_gt_i64_e64 s[10:11], v[4:5]
	s_cbranch_execz .LBB39_2
; %bb.36:                               ;   in Loop: Header=BB39_3 Depth=1
	v_lshlrev_b64_e32 v[6:7], 2, v[6:7]
	v_add_co_u32 v8, vcc_lo, v4, 1
	s_wait_alu 0xfffd
	v_add_co_ci_u32_e64 v9, null, 0, v5, vcc_lo
	v_or_b32_e32 v5, v14, v15
	s_delay_alu instid0(VALU_DEP_4)
	v_add_co_u32 v3, vcc_lo, s24, v6
	s_wait_alu 0xfffd
	v_add_co_ci_u32_e64 v4, null, s25, v7, vcc_lo
	s_mov_b32 s1, exec_lo
	global_store_b32 v[3:4], v5, off
	v_cmpx_gt_i64_e64 s[10:11], v[8:9]
	s_wait_alu 0xfffe
	s_xor_b32 s1, exec_lo, s1
	s_cbranch_execz .LBB39_2
; %bb.37:                               ;   in Loop: Header=BB39_3 Depth=1
	s_lshl_b64 s[42:43], s[18:19], 2
	v_or_b32_e32 v5, v13, v12
	s_wait_alu 0xfffe
	v_add_co_u32 v3, vcc_lo, v3, s42
	s_wait_alu 0xfffd
	v_add_co_ci_u32_e64 v4, null, s43, v4, vcc_lo
	global_store_b32 v[3:4], v5, off
	s_branch .LBB39_2
.LBB39_38:
	s_endpgm
	.section	.rodata,"a",@progbits
	.p2align	6, 0x0
	.amdhsa_kernel _ZN2at6native16triu_tril_kernelIN3c107complexINS2_4HalfEEElLb0ELi2ELb0EEEvNS_4cuda6detail10TensorInfoIT_T0_EENS8_IKS9_SA_EEllSA_
		.amdhsa_group_segment_fixed_size 0
		.amdhsa_private_segment_fixed_size 0
		.amdhsa_kernarg_size 1112
		.amdhsa_user_sgpr_count 2
		.amdhsa_user_sgpr_dispatch_ptr 0
		.amdhsa_user_sgpr_queue_ptr 0
		.amdhsa_user_sgpr_kernarg_segment_ptr 1
		.amdhsa_user_sgpr_dispatch_id 0
		.amdhsa_user_sgpr_private_segment_size 0
		.amdhsa_wavefront_size32 1
		.amdhsa_uses_dynamic_stack 0
		.amdhsa_enable_private_segment 0
		.amdhsa_system_sgpr_workgroup_id_x 1
		.amdhsa_system_sgpr_workgroup_id_y 0
		.amdhsa_system_sgpr_workgroup_id_z 0
		.amdhsa_system_sgpr_workgroup_info 0
		.amdhsa_system_vgpr_workitem_id 0
		.amdhsa_next_free_vgpr 28
		.amdhsa_next_free_sgpr 72
		.amdhsa_reserve_vcc 1
		.amdhsa_float_round_mode_32 0
		.amdhsa_float_round_mode_16_64 0
		.amdhsa_float_denorm_mode_32 3
		.amdhsa_float_denorm_mode_16_64 3
		.amdhsa_fp16_overflow 0
		.amdhsa_workgroup_processor_mode 1
		.amdhsa_memory_ordered 1
		.amdhsa_forward_progress 1
		.amdhsa_inst_pref_size 52
		.amdhsa_round_robin_scheduling 0
		.amdhsa_exception_fp_ieee_invalid_op 0
		.amdhsa_exception_fp_denorm_src 0
		.amdhsa_exception_fp_ieee_div_zero 0
		.amdhsa_exception_fp_ieee_overflow 0
		.amdhsa_exception_fp_ieee_underflow 0
		.amdhsa_exception_fp_ieee_inexact 0
		.amdhsa_exception_int_div_zero 0
	.end_amdhsa_kernel
	.section	.text._ZN2at6native16triu_tril_kernelIN3c107complexINS2_4HalfEEElLb0ELi2ELb0EEEvNS_4cuda6detail10TensorInfoIT_T0_EENS8_IKS9_SA_EEllSA_,"axG",@progbits,_ZN2at6native16triu_tril_kernelIN3c107complexINS2_4HalfEEElLb0ELi2ELb0EEEvNS_4cuda6detail10TensorInfoIT_T0_EENS8_IKS9_SA_EEllSA_,comdat
.Lfunc_end39:
	.size	_ZN2at6native16triu_tril_kernelIN3c107complexINS2_4HalfEEElLb0ELi2ELb0EEEvNS_4cuda6detail10TensorInfoIT_T0_EENS8_IKS9_SA_EEllSA_, .Lfunc_end39-_ZN2at6native16triu_tril_kernelIN3c107complexINS2_4HalfEEElLb0ELi2ELb0EEEvNS_4cuda6detail10TensorInfoIT_T0_EENS8_IKS9_SA_EEllSA_
                                        ; -- End function
	.set _ZN2at6native16triu_tril_kernelIN3c107complexINS2_4HalfEEElLb0ELi2ELb0EEEvNS_4cuda6detail10TensorInfoIT_T0_EENS8_IKS9_SA_EEllSA_.num_vgpr, 28
	.set _ZN2at6native16triu_tril_kernelIN3c107complexINS2_4HalfEEElLb0ELi2ELb0EEEvNS_4cuda6detail10TensorInfoIT_T0_EENS8_IKS9_SA_EEllSA_.num_agpr, 0
	.set _ZN2at6native16triu_tril_kernelIN3c107complexINS2_4HalfEEElLb0ELi2ELb0EEEvNS_4cuda6detail10TensorInfoIT_T0_EENS8_IKS9_SA_EEllSA_.numbered_sgpr, 72
	.set _ZN2at6native16triu_tril_kernelIN3c107complexINS2_4HalfEEElLb0ELi2ELb0EEEvNS_4cuda6detail10TensorInfoIT_T0_EENS8_IKS9_SA_EEllSA_.num_named_barrier, 0
	.set _ZN2at6native16triu_tril_kernelIN3c107complexINS2_4HalfEEElLb0ELi2ELb0EEEvNS_4cuda6detail10TensorInfoIT_T0_EENS8_IKS9_SA_EEllSA_.private_seg_size, 0
	.set _ZN2at6native16triu_tril_kernelIN3c107complexINS2_4HalfEEElLb0ELi2ELb0EEEvNS_4cuda6detail10TensorInfoIT_T0_EENS8_IKS9_SA_EEllSA_.uses_vcc, 1
	.set _ZN2at6native16triu_tril_kernelIN3c107complexINS2_4HalfEEElLb0ELi2ELb0EEEvNS_4cuda6detail10TensorInfoIT_T0_EENS8_IKS9_SA_EEllSA_.uses_flat_scratch, 0
	.set _ZN2at6native16triu_tril_kernelIN3c107complexINS2_4HalfEEElLb0ELi2ELb0EEEvNS_4cuda6detail10TensorInfoIT_T0_EENS8_IKS9_SA_EEllSA_.has_dyn_sized_stack, 0
	.set _ZN2at6native16triu_tril_kernelIN3c107complexINS2_4HalfEEElLb0ELi2ELb0EEEvNS_4cuda6detail10TensorInfoIT_T0_EENS8_IKS9_SA_EEllSA_.has_recursion, 0
	.set _ZN2at6native16triu_tril_kernelIN3c107complexINS2_4HalfEEElLb0ELi2ELb0EEEvNS_4cuda6detail10TensorInfoIT_T0_EENS8_IKS9_SA_EEllSA_.has_indirect_call, 0
	.section	.AMDGPU.csdata,"",@progbits
; Kernel info:
; codeLenInByte = 6540
; TotalNumSgprs: 74
; NumVgprs: 28
; ScratchSize: 0
; MemoryBound: 0
; FloatMode: 240
; IeeeMode: 1
; LDSByteSize: 0 bytes/workgroup (compile time only)
; SGPRBlocks: 0
; VGPRBlocks: 3
; NumSGPRsForWavesPerEU: 74
; NumVGPRsForWavesPerEU: 28
; Occupancy: 16
; WaveLimiterHint : 0
; COMPUTE_PGM_RSRC2:SCRATCH_EN: 0
; COMPUTE_PGM_RSRC2:USER_SGPR: 2
; COMPUTE_PGM_RSRC2:TRAP_HANDLER: 0
; COMPUTE_PGM_RSRC2:TGID_X_EN: 1
; COMPUTE_PGM_RSRC2:TGID_Y_EN: 0
; COMPUTE_PGM_RSRC2:TGID_Z_EN: 0
; COMPUTE_PGM_RSRC2:TIDIG_COMP_CNT: 0
	.section	.text._ZN2at6native16triu_tril_kernelIN3c104HalfEiLb0ELi4ELb1EEEvNS_4cuda6detail10TensorInfoIT_T0_EENS6_IKS7_S8_EEllS8_,"axG",@progbits,_ZN2at6native16triu_tril_kernelIN3c104HalfEiLb0ELi4ELb1EEEvNS_4cuda6detail10TensorInfoIT_T0_EENS6_IKS7_S8_EEllS8_,comdat
	.protected	_ZN2at6native16triu_tril_kernelIN3c104HalfEiLb0ELi4ELb1EEEvNS_4cuda6detail10TensorInfoIT_T0_EENS6_IKS7_S8_EEllS8_ ; -- Begin function _ZN2at6native16triu_tril_kernelIN3c104HalfEiLb0ELi4ELb1EEEvNS_4cuda6detail10TensorInfoIT_T0_EENS6_IKS7_S8_EEllS8_
	.globl	_ZN2at6native16triu_tril_kernelIN3c104HalfEiLb0ELi4ELb1EEEvNS_4cuda6detail10TensorInfoIT_T0_EENS6_IKS7_S8_EEllS8_
	.p2align	8
	.type	_ZN2at6native16triu_tril_kernelIN3c104HalfEiLb0ELi4ELb1EEEvNS_4cuda6detail10TensorInfoIT_T0_EENS6_IKS7_S8_EEllS8_,@function
_ZN2at6native16triu_tril_kernelIN3c104HalfEiLb0ELi4ELb1EEEvNS_4cuda6detail10TensorInfoIT_T0_EENS6_IKS7_S8_EEllS8_: ; @_ZN2at6native16triu_tril_kernelIN3c104HalfEiLb0ELi4ELb1EEEvNS_4cuda6detail10TensorInfoIT_T0_EENS6_IKS7_S8_EEllS8_
; %bb.0:
	s_clause 0x1
	s_load_b32 s2, s[0:1], 0x1d4
	s_load_b128 s[4:7], s[0:1], 0x1b0
	v_mov_b32_e32 v2, 0
	s_mov_b32 s3, exec_lo
	s_delay_alu instid0(VALU_DEP_1)
	v_mov_b32_e32 v1, v2
	s_wait_kmcnt 0x0
	s_and_b32 s2, s2, 0xffff
	s_delay_alu instid0(VALU_DEP_1) | instid1(SALU_CYCLE_1)
	v_mad_co_u64_u32 v[0:1], null, s2, ttmp9, v[0:1]
	s_delay_alu instid0(VALU_DEP_1) | instskip(NEXT) | instid1(VALU_DEP_1)
	v_lshlrev_b64_e32 v[0:1], 2, v[0:1]
	v_cmpx_gt_i64_e64 s[6:7], v[0:1]
	s_cbranch_execz .LBB40_68
; %bb.1:
	s_clause 0x1
	s_load_b32 s20, s[0:1], 0x1a8
	s_load_b32 s8, s[0:1], 0x1c0
	s_add_nc_u64 s[12:13], s[0:1], 0x1c8
	s_add_nc_u64 s[10:11], s[0:1], 0xd8
	s_load_b32 s3, s[12:13], 0x0
	s_mov_b32 s19, 0
	s_mov_b32 s57, 0
	s_wait_kmcnt 0x0
	s_ashr_i32 s21, s20, 31
	v_cvt_f32_u32_e32 v3, s8
	s_lshl_b64 s[22:23], s[20:21], 2
	s_add_co_i32 s9, s20, 6
	s_add_nc_u64 s[12:13], s[10:11], s[22:23]
	s_mul_i32 s3, s3, s2
	s_clause 0x1
	s_load_b32 s14, s[12:13], 0x0
	s_load_b64 s[16:17], s[0:1], 0x0
	v_rcp_iflag_f32_e32 v3, v3
	s_and_b32 s18, s20, 7
	s_add_co_i32 s33, s20, -3
	s_and_b32 s52, s9, 7
	s_lshl_b32 s53, s3, 2
	s_ashr_i32 s9, s8, 31
	v_cmp_gt_i64_e64 s56, s[20:21], 2
	s_add_nc_u64 s[20:21], s[0:1], s[22:23]
	s_wait_kmcnt 0x0
	v_cvt_f32_u32_e32 v4, s14
	s_ashr_i32 s15, s14, 31
	s_cmp_lg_u32 s18, 2
	s_cselect_b32 s54, -1, 0
	s_delay_alu instid0(VALU_DEP_1)
	v_rcp_iflag_f32_e32 v4, v4
	v_mul_f32_e32 v3, 0x4f7ffffe, v3
	s_cmp_gt_u32 s33, 6
	s_cselect_b32 s55, -1, 0
	s_sub_co_i32 s2, 0, s8
	s_wait_alu 0xfffe
	s_ashr_i32 s22, s9, 31
	s_ashr_i32 s24, s15, 31
	s_delay_alu instid0(TRANS32_DEP_1) | instskip(SKIP_1) | instid1(VALU_DEP_2)
	v_mul_f32_e32 v4, 0x4f7ffffe, v4
	v_cvt_u32_f32_e32 v3, v3
	v_cvt_u32_f32_e32 v25, v4
	s_delay_alu instid0(VALU_DEP_2) | instskip(NEXT) | instid1(VALU_DEP_1)
	v_mul_lo_u32 v5, s2, v3
	v_mul_hi_u32 v5, v3, v5
	s_delay_alu instid0(VALU_DEP_1)
	v_add_nc_u32_e32 v26, v3, v5
	s_branch .LBB40_3
.LBB40_2:                               ;   in Loop: Header=BB40_3 Depth=1
	s_wait_alu 0xfffe
	s_or_b32 exec_lo, exec_lo, s23
	v_add_co_u32 v0, vcc_lo, v0, s53
	s_wait_alu 0xfffd
	v_add_co_ci_u32_e64 v1, null, 0, v1, vcc_lo
	s_delay_alu instid0(VALU_DEP_1) | instskip(SKIP_1) | instid1(SALU_CYCLE_1)
	v_cmp_le_i64_e32 vcc_lo, s[6:7], v[0:1]
	s_or_b32 s57, vcc_lo, s57
	s_and_not1_b32 exec_lo, exec_lo, s57
	s_cbranch_execz .LBB40_68
.LBB40_3:                               ; =>This Loop Header: Depth=1
                                        ;     Child Loop BB40_16 Depth 2
                                        ;     Child Loop BB40_22 Depth 2
	v_or_b32_e32 v3, s9, v1
                                        ; implicit-def: $vgpr4_vgpr5
	s_mov_b32 s2, exec_lo
	s_delay_alu instid0(VALU_DEP_1)
	v_cmpx_ne_u64_e32 0, v[2:3]
	s_wait_alu 0xfffe
	s_xor_b32 s3, exec_lo, s2
	s_cbranch_execz .LBB40_5
; %bb.4:                                ;   in Loop: Header=BB40_3 Depth=1
	s_mov_b32 s23, s22
	v_ashrrev_i32_e32 v9, 31, v1
	s_wait_alu 0xfffe
	s_add_nc_u64 s[26:27], s[8:9], s[22:23]
	s_wait_alu 0xfffe
	s_xor_b64 s[26:27], s[26:27], s[22:23]
	v_add_co_u32 v3, vcc_lo, v0, v9
	s_wait_alu 0xfffe
	s_cvt_f32_u32 s2, s26
	s_cvt_f32_u32 s18, s27
	s_sub_nc_u64 s[30:31], 0, s[26:27]
	s_wait_alu 0xfffd
	v_add_co_ci_u32_e64 v4, null, v1, v9, vcc_lo
	s_wait_alu 0xfffe
	s_fmamk_f32 s2, s18, 0x4f800000, s2
	v_xor_b32_e32 v10, v3, v9
	s_delay_alu instid0(VALU_DEP_2) | instskip(SKIP_2) | instid1(TRANS32_DEP_1)
	v_xor_b32_e32 v11, v4, v9
	s_wait_alu 0xfffe
	v_s_rcp_f32 s2, s2
	s_mul_f32 s2, s2, 0x5f7ffffc
	s_wait_alu 0xfffe
	s_delay_alu instid0(SALU_CYCLE_2) | instskip(SKIP_1) | instid1(SALU_CYCLE_2)
	s_mul_f32 s18, s2, 0x2f800000
	s_wait_alu 0xfffe
	s_trunc_f32 s18, s18
	s_wait_alu 0xfffe
	s_delay_alu instid0(SALU_CYCLE_2) | instskip(SKIP_2) | instid1(SALU_CYCLE_1)
	s_fmamk_f32 s2, s18, 0xcf800000, s2
	s_cvt_u32_f32 s29, s18
	s_wait_alu 0xfffe
	s_cvt_u32_f32 s28, s2
	s_wait_alu 0xfffe
	s_delay_alu instid0(SALU_CYCLE_2)
	s_mul_u64 s[34:35], s[30:31], s[28:29]
	s_wait_alu 0xfffe
	s_mul_hi_u32 s37, s28, s35
	s_mul_i32 s36, s28, s35
	s_mul_hi_u32 s18, s28, s34
	s_mul_i32 s23, s29, s34
	s_wait_alu 0xfffe
	s_add_nc_u64 s[36:37], s[18:19], s[36:37]
	s_mul_hi_u32 s2, s29, s34
	s_mul_hi_u32 s25, s29, s35
	s_wait_alu 0xfffe
	s_add_co_u32 s18, s36, s23
	s_add_co_ci_u32 s18, s37, s2
	s_mul_i32 s34, s29, s35
	s_add_co_ci_u32 s35, s25, 0
	s_wait_alu 0xfffe
	s_add_nc_u64 s[34:35], s[18:19], s[34:35]
	s_wait_alu 0xfffe
	s_add_co_u32 s28, s28, s34
	s_cselect_b32 s2, -1, 0
	s_wait_alu 0xfffe
	s_cmp_lg_u32 s2, 0
	s_add_co_ci_u32 s29, s29, s35
	s_wait_alu 0xfffe
	s_mul_u64 s[30:31], s[30:31], s[28:29]
	s_wait_alu 0xfffe
	s_mul_hi_u32 s35, s28, s31
	s_mul_i32 s34, s28, s31
	s_mul_hi_u32 s18, s28, s30
	s_mul_i32 s23, s29, s30
	s_wait_alu 0xfffe
	s_add_nc_u64 s[34:35], s[18:19], s[34:35]
	s_mul_hi_u32 s2, s29, s30
	s_mul_hi_u32 s25, s29, s31
	s_wait_alu 0xfffe
	s_add_co_u32 s18, s34, s23
	s_add_co_ci_u32 s18, s35, s2
	s_mul_i32 s30, s29, s31
	s_add_co_ci_u32 s31, s25, 0
	s_wait_alu 0xfffe
	s_add_nc_u64 s[30:31], s[18:19], s[30:31]
	s_wait_alu 0xfffe
	s_add_co_u32 s2, s28, s30
	s_cselect_b32 s18, -1, 0
	s_wait_alu 0xfffe
	v_mul_hi_u32 v12, v10, s2
	s_cmp_lg_u32 s18, 0
	v_mad_co_u64_u32 v[5:6], null, v11, s2, 0
	s_add_co_ci_u32 s18, s29, s31
	s_wait_alu 0xfffe
	v_mad_co_u64_u32 v[3:4], null, v10, s18, 0
	v_mad_co_u64_u32 v[7:8], null, v11, s18, 0
	s_delay_alu instid0(VALU_DEP_2) | instskip(SKIP_1) | instid1(VALU_DEP_3)
	v_add_co_u32 v3, vcc_lo, v12, v3
	s_wait_alu 0xfffd
	v_add_co_ci_u32_e64 v4, null, 0, v4, vcc_lo
	s_delay_alu instid0(VALU_DEP_2) | instskip(SKIP_1) | instid1(VALU_DEP_2)
	v_add_co_u32 v3, vcc_lo, v3, v5
	s_wait_alu 0xfffd
	v_add_co_ci_u32_e32 v3, vcc_lo, v4, v6, vcc_lo
	s_wait_alu 0xfffd
	v_add_co_ci_u32_e32 v4, vcc_lo, 0, v8, vcc_lo
	s_delay_alu instid0(VALU_DEP_2) | instskip(SKIP_1) | instid1(VALU_DEP_2)
	v_add_co_u32 v5, vcc_lo, v3, v7
	s_wait_alu 0xfffd
	v_add_co_ci_u32_e64 v6, null, 0, v4, vcc_lo
	s_delay_alu instid0(VALU_DEP_2) | instskip(SKIP_1) | instid1(VALU_DEP_3)
	v_mul_lo_u32 v7, s27, v5
	v_mad_co_u64_u32 v[3:4], null, s26, v5, 0
	v_mul_lo_u32 v8, s26, v6
	s_delay_alu instid0(VALU_DEP_2) | instskip(NEXT) | instid1(VALU_DEP_2)
	v_sub_co_u32 v3, vcc_lo, v10, v3
	v_add3_u32 v4, v4, v8, v7
	v_add_co_u32 v8, s2, v5, 2
	s_wait_alu 0xf1ff
	v_add_co_ci_u32_e64 v10, null, 0, v6, s2
	s_delay_alu instid0(VALU_DEP_3) | instskip(SKIP_3) | instid1(VALU_DEP_3)
	v_sub_nc_u32_e32 v7, v11, v4
	v_sub_co_u32 v12, s2, v3, s26
	s_wait_alu 0xfffd
	v_sub_co_ci_u32_e64 v4, null, v11, v4, vcc_lo
	v_subrev_co_ci_u32_e64 v7, null, s27, v7, vcc_lo
	s_delay_alu instid0(VALU_DEP_3) | instskip(SKIP_1) | instid1(VALU_DEP_2)
	v_cmp_le_u32_e32 vcc_lo, s26, v12
	s_wait_alu 0xf1ff
	v_subrev_co_ci_u32_e64 v7, null, 0, v7, s2
	s_wait_alu 0xfffd
	v_cndmask_b32_e64 v11, 0, -1, vcc_lo
	s_delay_alu instid0(VALU_DEP_2)
	v_cmp_le_u32_e32 vcc_lo, s27, v7
	s_wait_alu 0xfffd
	v_cndmask_b32_e64 v12, 0, -1, vcc_lo
	v_cmp_le_u32_e32 vcc_lo, s26, v3
	s_wait_alu 0xfffd
	v_cndmask_b32_e64 v3, 0, -1, vcc_lo
	;; [unrolled: 3-line block ×3, first 2 shown]
	v_cmp_eq_u32_e32 vcc_lo, s27, v7
	s_wait_alu 0xfffd
	v_cndmask_b32_e32 v7, v12, v11, vcc_lo
	v_add_co_u32 v11, vcc_lo, v5, 1
	s_wait_alu 0xfffd
	v_add_co_ci_u32_e64 v12, null, 0, v6, vcc_lo
	v_cmp_eq_u32_e32 vcc_lo, s27, v4
	s_wait_alu 0xfffd
	v_cndmask_b32_e32 v3, v13, v3, vcc_lo
	v_cmp_ne_u32_e32 vcc_lo, 0, v7
	v_xor_b32_e32 v7, s22, v9
	s_wait_alu 0xfffd
	v_cndmask_b32_e32 v4, v12, v10, vcc_lo
	v_cmp_ne_u32_e64 s2, 0, v3
	v_cndmask_b32_e32 v3, v11, v8, vcc_lo
	s_wait_alu 0xf1ff
	s_delay_alu instid0(VALU_DEP_2) | instskip(NEXT) | instid1(VALU_DEP_2)
	v_cndmask_b32_e64 v4, v6, v4, s2
	v_cndmask_b32_e64 v3, v5, v3, s2
	s_delay_alu instid0(VALU_DEP_2) | instskip(NEXT) | instid1(VALU_DEP_2)
	v_xor_b32_e32 v5, v4, v7
	v_xor_b32_e32 v3, v3, v7
	s_delay_alu instid0(VALU_DEP_1) | instskip(SKIP_1) | instid1(VALU_DEP_3)
	v_sub_co_u32 v4, vcc_lo, v3, v7
	s_wait_alu 0xfffd
	v_sub_co_ci_u32_e64 v5, null, v5, v7, vcc_lo
.LBB40_5:                               ;   in Loop: Header=BB40_3 Depth=1
	s_wait_alu 0xfffe
	s_and_not1_saveexec_b32 s2, s3
	s_cbranch_execz .LBB40_7
; %bb.6:                                ;   in Loop: Header=BB40_3 Depth=1
	v_mul_hi_u32 v3, v0, v26
	s_delay_alu instid0(VALU_DEP_1) | instskip(NEXT) | instid1(VALU_DEP_1)
	v_mul_lo_u32 v4, v3, s8
	v_sub_nc_u32_e32 v4, v0, v4
	s_delay_alu instid0(VALU_DEP_1) | instskip(SKIP_2) | instid1(VALU_DEP_2)
	v_subrev_nc_u32_e32 v6, s8, v4
	v_cmp_le_u32_e32 vcc_lo, s8, v4
	s_wait_alu 0xfffd
	v_dual_cndmask_b32 v4, v4, v6 :: v_dual_add_nc_u32 v5, 1, v3
	s_delay_alu instid0(VALU_DEP_1) | instskip(NEXT) | instid1(VALU_DEP_2)
	v_cndmask_b32_e32 v3, v3, v5, vcc_lo
	v_cmp_le_u32_e32 vcc_lo, s8, v4
	s_delay_alu instid0(VALU_DEP_2) | instskip(SKIP_1) | instid1(VALU_DEP_1)
	v_add_nc_u32_e32 v5, 1, v3
	s_wait_alu 0xfffd
	v_dual_cndmask_b32 v4, v3, v5 :: v_dual_mov_b32 v5, v2
.LBB40_7:                               ;   in Loop: Header=BB40_3 Depth=1
	s_wait_alu 0xfffe
	s_or_b32 exec_lo, exec_lo, s2
	s_delay_alu instid0(VALU_DEP_1) | instskip(SKIP_1) | instid1(VALU_DEP_1)
	v_or_b32_e32 v3, s15, v5
                                        ; implicit-def: $vgpr7_vgpr8
	s_mov_b32 s2, exec_lo
	v_cmpx_ne_u64_e32 0, v[2:3]
	s_wait_alu 0xfffe
	s_xor_b32 s3, exec_lo, s2
	s_cbranch_execz .LBB40_9
; %bb.8:                                ;   in Loop: Header=BB40_3 Depth=1
	s_mov_b32 s25, s24
	v_ashrrev_i32_e32 v3, 31, v5
	s_wait_alu 0xfffe
	s_add_nc_u64 s[26:27], s[14:15], s[24:25]
	s_wait_alu 0xfffe
	s_xor_b64 s[26:27], s[26:27], s[24:25]
	v_add_co_u32 v6, vcc_lo, v4, v3
	s_wait_alu 0xfffe
	s_cvt_f32_u32 s2, s26
	s_cvt_f32_u32 s18, s27
	s_sub_nc_u64 s[30:31], 0, s[26:27]
	s_wait_alu 0xfffd
	v_add_co_ci_u32_e64 v5, null, v5, v3, vcc_lo
	s_wait_alu 0xfffe
	s_fmamk_f32 s2, s18, 0x4f800000, s2
	v_xor_b32_e32 v11, v6, v3
	s_delay_alu instid0(VALU_DEP_2) | instskip(SKIP_3) | instid1(TRANS32_DEP_1)
	v_xor_b32_e32 v12, v5, v3
	s_wait_alu 0xfffe
	v_s_rcp_f32 s2, s2
	v_xor_b32_e32 v3, s24, v3
	s_mul_f32 s2, s2, 0x5f7ffffc
	s_wait_alu 0xfffe
	s_delay_alu instid0(SALU_CYCLE_2) | instskip(SKIP_1) | instid1(SALU_CYCLE_2)
	s_mul_f32 s18, s2, 0x2f800000
	s_wait_alu 0xfffe
	s_trunc_f32 s18, s18
	s_wait_alu 0xfffe
	s_delay_alu instid0(SALU_CYCLE_2) | instskip(SKIP_2) | instid1(SALU_CYCLE_1)
	s_fmamk_f32 s2, s18, 0xcf800000, s2
	s_cvt_u32_f32 s29, s18
	s_wait_alu 0xfffe
	s_cvt_u32_f32 s28, s2
	s_wait_alu 0xfffe
	s_delay_alu instid0(SALU_CYCLE_2)
	s_mul_u64 s[34:35], s[30:31], s[28:29]
	s_wait_alu 0xfffe
	s_mul_hi_u32 s37, s28, s35
	s_mul_i32 s36, s28, s35
	s_mul_hi_u32 s18, s28, s34
	s_mul_i32 s23, s29, s34
	s_wait_alu 0xfffe
	s_add_nc_u64 s[36:37], s[18:19], s[36:37]
	s_mul_hi_u32 s2, s29, s34
	s_mul_hi_u32 s25, s29, s35
	s_wait_alu 0xfffe
	s_add_co_u32 s18, s36, s23
	s_add_co_ci_u32 s18, s37, s2
	s_mul_i32 s34, s29, s35
	s_add_co_ci_u32 s35, s25, 0
	s_wait_alu 0xfffe
	s_add_nc_u64 s[34:35], s[18:19], s[34:35]
	s_wait_alu 0xfffe
	s_add_co_u32 s28, s28, s34
	s_cselect_b32 s2, -1, 0
	s_wait_alu 0xfffe
	s_cmp_lg_u32 s2, 0
	s_add_co_ci_u32 s29, s29, s35
	s_wait_alu 0xfffe
	s_mul_u64 s[30:31], s[30:31], s[28:29]
	s_wait_alu 0xfffe
	s_mul_hi_u32 s35, s28, s31
	s_mul_i32 s34, s28, s31
	s_mul_hi_u32 s18, s28, s30
	s_mul_i32 s23, s29, s30
	s_wait_alu 0xfffe
	s_add_nc_u64 s[34:35], s[18:19], s[34:35]
	s_mul_hi_u32 s2, s29, s30
	s_mul_hi_u32 s25, s29, s31
	s_wait_alu 0xfffe
	s_add_co_u32 s18, s34, s23
	s_add_co_ci_u32 s18, s35, s2
	s_mul_i32 s30, s29, s31
	s_add_co_ci_u32 s31, s25, 0
	s_wait_alu 0xfffe
	s_add_nc_u64 s[30:31], s[18:19], s[30:31]
	s_wait_alu 0xfffe
	s_add_co_u32 s2, s28, s30
	s_cselect_b32 s18, -1, 0
	s_wait_alu 0xfffe
	v_mul_hi_u32 v13, v11, s2
	s_cmp_lg_u32 s18, 0
	v_mad_co_u64_u32 v[7:8], null, v12, s2, 0
	s_add_co_ci_u32 s18, s29, s31
	s_wait_alu 0xfffe
	v_mad_co_u64_u32 v[5:6], null, v11, s18, 0
	v_mad_co_u64_u32 v[9:10], null, v12, s18, 0
	s_delay_alu instid0(VALU_DEP_2) | instskip(SKIP_1) | instid1(VALU_DEP_3)
	v_add_co_u32 v5, vcc_lo, v13, v5
	s_wait_alu 0xfffd
	v_add_co_ci_u32_e64 v6, null, 0, v6, vcc_lo
	s_delay_alu instid0(VALU_DEP_2) | instskip(SKIP_1) | instid1(VALU_DEP_2)
	v_add_co_u32 v5, vcc_lo, v5, v7
	s_wait_alu 0xfffd
	v_add_co_ci_u32_e32 v5, vcc_lo, v6, v8, vcc_lo
	s_wait_alu 0xfffd
	v_add_co_ci_u32_e32 v6, vcc_lo, 0, v10, vcc_lo
	s_delay_alu instid0(VALU_DEP_2) | instskip(SKIP_1) | instid1(VALU_DEP_2)
	v_add_co_u32 v7, vcc_lo, v5, v9
	s_wait_alu 0xfffd
	v_add_co_ci_u32_e64 v8, null, 0, v6, vcc_lo
	s_delay_alu instid0(VALU_DEP_2) | instskip(SKIP_1) | instid1(VALU_DEP_3)
	v_mul_lo_u32 v9, s27, v7
	v_mad_co_u64_u32 v[5:6], null, s26, v7, 0
	v_mul_lo_u32 v10, s26, v8
	s_delay_alu instid0(VALU_DEP_2) | instskip(NEXT) | instid1(VALU_DEP_2)
	v_sub_co_u32 v5, vcc_lo, v11, v5
	v_add3_u32 v6, v6, v10, v9
	v_add_co_u32 v10, s2, v7, 2
	s_wait_alu 0xf1ff
	v_add_co_ci_u32_e64 v11, null, 0, v8, s2
	s_delay_alu instid0(VALU_DEP_3) | instskip(SKIP_3) | instid1(VALU_DEP_3)
	v_sub_nc_u32_e32 v9, v12, v6
	v_sub_co_u32 v13, s2, v5, s26
	s_wait_alu 0xfffd
	v_sub_co_ci_u32_e64 v6, null, v12, v6, vcc_lo
	v_subrev_co_ci_u32_e64 v9, null, s27, v9, vcc_lo
	s_delay_alu instid0(VALU_DEP_3) | instskip(SKIP_1) | instid1(VALU_DEP_2)
	v_cmp_le_u32_e32 vcc_lo, s26, v13
	s_wait_alu 0xf1ff
	v_subrev_co_ci_u32_e64 v9, null, 0, v9, s2
	s_wait_alu 0xfffd
	v_cndmask_b32_e64 v12, 0, -1, vcc_lo
	s_delay_alu instid0(VALU_DEP_2)
	v_cmp_le_u32_e32 vcc_lo, s27, v9
	s_wait_alu 0xfffd
	v_cndmask_b32_e64 v13, 0, -1, vcc_lo
	v_cmp_le_u32_e32 vcc_lo, s26, v5
	s_wait_alu 0xfffd
	v_cndmask_b32_e64 v5, 0, -1, vcc_lo
	;; [unrolled: 3-line block ×3, first 2 shown]
	v_cmp_eq_u32_e32 vcc_lo, s27, v9
	s_wait_alu 0xfffd
	v_cndmask_b32_e32 v9, v13, v12, vcc_lo
	v_add_co_u32 v12, vcc_lo, v7, 1
	s_wait_alu 0xfffd
	v_add_co_ci_u32_e64 v13, null, 0, v8, vcc_lo
	v_cmp_eq_u32_e32 vcc_lo, s27, v6
	s_wait_alu 0xfffd
	v_cndmask_b32_e32 v5, v14, v5, vcc_lo
	v_cmp_ne_u32_e32 vcc_lo, 0, v9
	s_wait_alu 0xfffd
	v_cndmask_b32_e32 v6, v13, v11, vcc_lo
	s_delay_alu instid0(VALU_DEP_3) | instskip(SKIP_2) | instid1(VALU_DEP_2)
	v_cmp_ne_u32_e64 s2, 0, v5
	v_cndmask_b32_e32 v5, v12, v10, vcc_lo
	s_wait_alu 0xf1ff
	v_cndmask_b32_e64 v6, v8, v6, s2
	s_delay_alu instid0(VALU_DEP_2) | instskip(NEXT) | instid1(VALU_DEP_2)
	v_cndmask_b32_e64 v5, v7, v5, s2
	v_xor_b32_e32 v6, v6, v3
	s_delay_alu instid0(VALU_DEP_2) | instskip(NEXT) | instid1(VALU_DEP_1)
	v_xor_b32_e32 v5, v5, v3
	v_sub_co_u32 v7, vcc_lo, v5, v3
	s_wait_alu 0xfffd
	s_delay_alu instid0(VALU_DEP_3)
	v_sub_co_ci_u32_e64 v8, null, v6, v3, vcc_lo
.LBB40_9:                               ;   in Loop: Header=BB40_3 Depth=1
	s_wait_alu 0xfffe
	s_and_not1_saveexec_b32 s2, s3
	s_cbranch_execz .LBB40_11
; %bb.10:                               ;   in Loop: Header=BB40_3 Depth=1
	s_sub_co_i32 s3, 0, s14
	v_mov_b32_e32 v8, v2
	s_wait_alu 0xfffe
	v_mul_lo_u32 v3, s3, v25
	s_delay_alu instid0(VALU_DEP_1) | instskip(NEXT) | instid1(VALU_DEP_1)
	v_mul_hi_u32 v3, v25, v3
	v_add_nc_u32_e32 v3, v25, v3
	s_delay_alu instid0(VALU_DEP_1) | instskip(NEXT) | instid1(VALU_DEP_1)
	v_mul_hi_u32 v3, v4, v3
	v_mul_lo_u32 v5, v3, s14
	v_add_nc_u32_e32 v6, 1, v3
	s_delay_alu instid0(VALU_DEP_2) | instskip(NEXT) | instid1(VALU_DEP_1)
	v_sub_nc_u32_e32 v5, v4, v5
	v_subrev_nc_u32_e32 v7, s14, v5
	v_cmp_le_u32_e32 vcc_lo, s14, v5
	s_wait_alu 0xfffd
	s_delay_alu instid0(VALU_DEP_2) | instskip(SKIP_1) | instid1(VALU_DEP_2)
	v_cndmask_b32_e32 v5, v5, v7, vcc_lo
	v_cndmask_b32_e32 v3, v3, v6, vcc_lo
	v_cmp_le_u32_e32 vcc_lo, s14, v5
	s_delay_alu instid0(VALU_DEP_2) | instskip(SKIP_1) | instid1(VALU_DEP_1)
	v_add_nc_u32_e32 v6, 1, v3
	s_wait_alu 0xfffd
	v_cndmask_b32_e32 v7, v3, v6, vcc_lo
.LBB40_11:                              ;   in Loop: Header=BB40_3 Depth=1
	s_wait_alu 0xfffe
	s_or_b32 exec_lo, exec_lo, s2
	v_mad_co_u64_u32 v[5:6], null, v4, s8, 0
	s_delay_alu instid0(VALU_DEP_2) | instskip(SKIP_3) | instid1(VALU_DEP_1)
	v_mad_co_u64_u32 v[9:10], null, v7, s14, 0
	s_mov_b32 s23, exec_lo
	v_sub_co_u32 v28, null, v0, v5
	v_sub_co_u32 v27, null, v4, v9
	v_sub_nc_u32_e32 v6, v28, v27
	s_delay_alu instid0(VALU_DEP_1) | instskip(NEXT) | instid1(VALU_DEP_1)
	v_add_nc_u32_e32 v3, 4, v6
	v_ashrrev_i32_e32 v4, 31, v3
	s_delay_alu instid0(VALU_DEP_1)
	v_cmpx_lt_i64_e64 s[4:5], v[3:4]
	s_cbranch_execz .LBB40_2
; %bb.12:                               ;   in Loop: Header=BB40_3 Depth=1
	s_load_b64 s[2:3], s[20:21], 0x64
	s_and_not1_b32 vcc_lo, exec_lo, s56
	s_wait_kmcnt 0x0
	v_mul_lo_u32 v3, s3, v28
	s_delay_alu instid0(VALU_DEP_1)
	v_mad_co_u64_u32 v[4:5], null, s2, v27, v[3:4]
	s_wait_alu 0xfffe
	s_cbranch_vccnz .LBB40_56
; %bb.13:                               ;   in Loop: Header=BB40_3 Depth=1
	s_mov_b32 s25, s52
	s_and_not1_b32 vcc_lo, exec_lo, s54
	s_mov_b32 s18, s33
	s_mov_b32 s2, s33
	s_wait_alu 0xfffe
	s_cbranch_vccz .LBB40_16
; %bb.14:                               ;   in Loop: Header=BB40_3 Depth=1
	s_and_not1_b32 vcc_lo, exec_lo, s55
	s_wait_alu 0xfffe
	s_cbranch_vccz .LBB40_21
	s_branch .LBB40_56
.LBB40_15:                              ;   in Loop: Header=BB40_16 Depth=2
	s_wait_alu 0xfffe
	s_or_b32 exec_lo, exec_lo, s2
	s_add_nc_u64 s[26:27], s[0:1], s[26:27]
	v_mul_lo_u32 v3, v9, s28
	s_load_b32 s2, s[26:27], 0x6c
	s_add_co_i32 s25, s25, -1
	s_add_co_i32 s18, s18, -1
	s_wait_alu 0xfffe
	s_cmp_lg_u32 s25, 0
	s_delay_alu instid0(VALU_DEP_1) | instskip(SKIP_2) | instid1(VALU_DEP_2)
	v_sub_nc_u32_e32 v3, v7, v3
	v_dual_mov_b32 v7, v9 :: v_dual_mov_b32 v8, v10
	s_wait_kmcnt 0x0
	v_mad_co_u64_u32 v[4:5], null, s2, v3, v[4:5]
	s_cbranch_scc0 .LBB40_20
.LBB40_16:                              ;   Parent Loop BB40_3 Depth=1
                                        ; =>  This Inner Loop Header: Depth=2
	s_lshl_b64 s[26:27], s[18:19], 2
                                        ; implicit-def: $vgpr9_vgpr10
	s_mov_b32 s2, exec_lo
	s_wait_alu 0xfffe
	s_add_nc_u64 s[28:29], s[10:11], s[26:27]
	s_load_b32 s28, s[28:29], 0x8
	s_wait_kmcnt 0x0
	s_ashr_i32 s29, s28, 31
	s_wait_alu 0xfffe
	v_or_b32_e32 v3, s29, v8
	s_delay_alu instid0(VALU_DEP_1)
	v_cmpx_ne_u64_e32 0, v[2:3]
	s_xor_b32 s36, exec_lo, s2
	s_cbranch_execz .LBB40_18
; %bb.17:                               ;   in Loop: Header=BB40_16 Depth=2
	s_ashr_i32 s30, s29, 31
	s_mov_b32 s43, s19
	s_wait_alu 0xfffe
	s_mov_b32 s31, s30
	s_mov_b32 s47, s19
	s_wait_alu 0xfffe
	s_add_nc_u64 s[34:35], s[28:29], s[30:31]
	v_ashrrev_i32_e32 v3, 31, v8
	s_wait_alu 0xfffe
	s_xor_b64 s[34:35], s[34:35], s[30:31]
	s_wait_alu 0xfffe
	s_cvt_f32_u32 s2, s34
	s_cvt_f32_u32 s29, s35
	s_sub_nc_u64 s[40:41], 0, s[34:35]
	v_add_co_u32 v5, vcc_lo, v7, v3
	s_wait_alu 0xfffe
	s_fmamk_f32 s2, s29, 0x4f800000, s2
	s_wait_alu 0xfffd
	v_add_co_ci_u32_e64 v8, null, v8, v3, vcc_lo
	v_xor_b32_e32 v5, v5, v3
	s_wait_alu 0xfffe
	v_s_rcp_f32 s2, s2
	s_delay_alu instid0(VALU_DEP_2) | instskip(SKIP_1) | instid1(TRANS32_DEP_1)
	v_xor_b32_e32 v14, v8, v3
	v_xor_b32_e32 v3, s30, v3
	s_mul_f32 s2, s2, 0x5f7ffffc
	s_wait_alu 0xfffe
	s_delay_alu instid0(SALU_CYCLE_2) | instskip(SKIP_1) | instid1(SALU_CYCLE_2)
	s_mul_f32 s29, s2, 0x2f800000
	s_wait_alu 0xfffe
	s_trunc_f32 s29, s29
	s_wait_alu 0xfffe
	s_delay_alu instid0(SALU_CYCLE_2) | instskip(SKIP_2) | instid1(SALU_CYCLE_1)
	s_fmamk_f32 s2, s29, 0xcf800000, s2
	s_cvt_u32_f32 s39, s29
	s_wait_alu 0xfffe
	s_cvt_u32_f32 s38, s2
	s_wait_alu 0xfffe
	s_delay_alu instid0(SALU_CYCLE_2)
	s_mul_u64 s[44:45], s[40:41], s[38:39]
	s_wait_alu 0xfffe
	s_mul_hi_u32 s49, s38, s45
	s_mul_i32 s48, s38, s45
	s_mul_hi_u32 s42, s38, s44
	s_mul_i32 s29, s39, s44
	s_wait_alu 0xfffe
	s_add_nc_u64 s[42:43], s[42:43], s[48:49]
	s_mul_hi_u32 s2, s39, s44
	s_mul_hi_u32 s31, s39, s45
	s_wait_alu 0xfffe
	s_add_co_u32 s29, s42, s29
	s_add_co_ci_u32 s46, s43, s2
	s_mul_i32 s44, s39, s45
	s_add_co_ci_u32 s45, s31, 0
	s_wait_alu 0xfffe
	s_add_nc_u64 s[42:43], s[46:47], s[44:45]
	s_mov_b32 s45, s19
	s_wait_alu 0xfffe
	s_add_co_u32 s38, s38, s42
	s_cselect_b32 s2, -1, 0
	s_wait_alu 0xfffe
	s_cmp_lg_u32 s2, 0
	s_add_co_ci_u32 s39, s39, s43
	s_mov_b32 s43, s19
	s_wait_alu 0xfffe
	s_mul_u64 s[40:41], s[40:41], s[38:39]
	s_wait_alu 0xfffe
	s_mul_hi_u32 s47, s38, s41
	s_mul_i32 s46, s38, s41
	s_mul_hi_u32 s44, s38, s40
	s_mul_i32 s29, s39, s40
	s_wait_alu 0xfffe
	s_add_nc_u64 s[44:45], s[44:45], s[46:47]
	s_mul_hi_u32 s2, s39, s40
	s_mul_hi_u32 s31, s39, s41
	s_wait_alu 0xfffe
	s_add_co_u32 s29, s44, s29
	s_add_co_ci_u32 s42, s45, s2
	s_mul_i32 s40, s39, s41
	s_add_co_ci_u32 s41, s31, 0
	s_wait_alu 0xfffe
	s_add_nc_u64 s[40:41], s[42:43], s[40:41]
	s_wait_alu 0xfffe
	s_add_co_u32 s2, s38, s40
	s_cselect_b32 s29, -1, 0
	s_wait_alu 0xfffe
	v_mul_hi_u32 v15, v5, s2
	s_cmp_lg_u32 s29, 0
	v_mad_co_u64_u32 v[10:11], null, v14, s2, 0
	s_add_co_ci_u32 s29, s39, s41
	s_wait_alu 0xfffe
	v_mad_co_u64_u32 v[8:9], null, v5, s29, 0
	v_mad_co_u64_u32 v[12:13], null, v14, s29, 0
	s_delay_alu instid0(VALU_DEP_2) | instskip(SKIP_1) | instid1(VALU_DEP_3)
	v_add_co_u32 v8, vcc_lo, v15, v8
	s_wait_alu 0xfffd
	v_add_co_ci_u32_e64 v9, null, 0, v9, vcc_lo
	s_delay_alu instid0(VALU_DEP_2) | instskip(SKIP_1) | instid1(VALU_DEP_2)
	v_add_co_u32 v8, vcc_lo, v8, v10
	s_wait_alu 0xfffd
	v_add_co_ci_u32_e32 v8, vcc_lo, v9, v11, vcc_lo
	s_wait_alu 0xfffd
	v_add_co_ci_u32_e32 v9, vcc_lo, 0, v13, vcc_lo
	s_delay_alu instid0(VALU_DEP_2) | instskip(SKIP_1) | instid1(VALU_DEP_2)
	v_add_co_u32 v10, vcc_lo, v8, v12
	s_wait_alu 0xfffd
	v_add_co_ci_u32_e64 v11, null, 0, v9, vcc_lo
	s_delay_alu instid0(VALU_DEP_2) | instskip(SKIP_1) | instid1(VALU_DEP_3)
	v_mul_lo_u32 v12, s35, v10
	v_mad_co_u64_u32 v[8:9], null, s34, v10, 0
	v_mul_lo_u32 v13, s34, v11
	s_delay_alu instid0(VALU_DEP_2) | instskip(NEXT) | instid1(VALU_DEP_2)
	v_sub_co_u32 v5, vcc_lo, v5, v8
	v_add3_u32 v9, v9, v13, v12
	s_delay_alu instid0(VALU_DEP_1) | instskip(SKIP_2) | instid1(VALU_DEP_2)
	v_sub_nc_u32_e32 v12, v14, v9
	s_wait_alu 0xfffd
	v_sub_co_ci_u32_e64 v9, null, v14, v9, vcc_lo
	v_subrev_co_ci_u32_e64 v8, null, s35, v12, vcc_lo
	v_add_co_u32 v12, s2, v10, 2
	s_wait_alu 0xf1ff
	v_add_co_ci_u32_e64 v13, null, 0, v11, s2
	v_sub_co_u32 v15, s2, v5, s34
	s_wait_alu 0xf1ff
	v_subrev_co_ci_u32_e64 v8, null, 0, v8, s2
	s_delay_alu instid0(VALU_DEP_2) | instskip(SKIP_2) | instid1(VALU_DEP_3)
	v_cmp_le_u32_e32 vcc_lo, s34, v15
	s_wait_alu 0xfffd
	v_cndmask_b32_e64 v14, 0, -1, vcc_lo
	v_cmp_le_u32_e32 vcc_lo, s35, v8
	s_wait_alu 0xfffd
	v_cndmask_b32_e64 v15, 0, -1, vcc_lo
	;; [unrolled: 3-line block ×4, first 2 shown]
	v_cmp_eq_u32_e32 vcc_lo, s35, v8
	s_wait_alu 0xfffd
	v_cndmask_b32_e32 v8, v15, v14, vcc_lo
	v_add_co_u32 v14, vcc_lo, v10, 1
	s_wait_alu 0xfffd
	v_add_co_ci_u32_e64 v15, null, 0, v11, vcc_lo
	v_cmp_eq_u32_e32 vcc_lo, s35, v9
	s_wait_alu 0xfffd
	v_cndmask_b32_e32 v5, v16, v5, vcc_lo
	v_cmp_ne_u32_e32 vcc_lo, 0, v8
	s_delay_alu instid0(VALU_DEP_2) | instskip(SKIP_3) | instid1(VALU_DEP_1)
	v_cmp_ne_u32_e64 s2, 0, v5
	s_wait_alu 0xfffd
	v_dual_cndmask_b32 v8, v15, v13 :: v_dual_cndmask_b32 v5, v14, v12
	s_wait_alu 0xf1ff
	v_cndmask_b32_e64 v8, v11, v8, s2
	s_delay_alu instid0(VALU_DEP_2) | instskip(NEXT) | instid1(VALU_DEP_2)
	v_cndmask_b32_e64 v5, v10, v5, s2
	v_xor_b32_e32 v8, v8, v3
	s_delay_alu instid0(VALU_DEP_2) | instskip(NEXT) | instid1(VALU_DEP_1)
	v_xor_b32_e32 v5, v5, v3
	v_sub_co_u32 v9, vcc_lo, v5, v3
	s_wait_alu 0xfffd
	s_delay_alu instid0(VALU_DEP_3)
	v_sub_co_ci_u32_e64 v10, null, v8, v3, vcc_lo
.LBB40_18:                              ;   in Loop: Header=BB40_16 Depth=2
	s_wait_alu 0xfffe
	s_and_not1_saveexec_b32 s2, s36
	s_cbranch_execz .LBB40_15
; %bb.19:                               ;   in Loop: Header=BB40_16 Depth=2
	v_cvt_f32_u32_e32 v3, s28
	s_sub_co_i32 s29, 0, s28
	v_mov_b32_e32 v10, v2
	s_delay_alu instid0(VALU_DEP_2) | instskip(NEXT) | instid1(TRANS32_DEP_1)
	v_rcp_iflag_f32_e32 v3, v3
	v_mul_f32_e32 v3, 0x4f7ffffe, v3
	s_delay_alu instid0(VALU_DEP_1) | instskip(SKIP_1) | instid1(VALU_DEP_1)
	v_cvt_u32_f32_e32 v3, v3
	s_wait_alu 0xfffe
	v_mul_lo_u32 v5, s29, v3
	s_delay_alu instid0(VALU_DEP_1) | instskip(NEXT) | instid1(VALU_DEP_1)
	v_mul_hi_u32 v5, v3, v5
	v_add_nc_u32_e32 v3, v3, v5
	s_delay_alu instid0(VALU_DEP_1) | instskip(NEXT) | instid1(VALU_DEP_1)
	v_mul_hi_u32 v3, v7, v3
	v_mul_lo_u32 v5, v3, s28
	s_delay_alu instid0(VALU_DEP_1) | instskip(NEXT) | instid1(VALU_DEP_1)
	v_sub_nc_u32_e32 v5, v7, v5
	v_subrev_nc_u32_e32 v9, s28, v5
	v_cmp_le_u32_e32 vcc_lo, s28, v5
	s_wait_alu 0xfffd
	s_delay_alu instid0(VALU_DEP_2) | instskip(NEXT) | instid1(VALU_DEP_1)
	v_dual_cndmask_b32 v5, v5, v9 :: v_dual_add_nc_u32 v8, 1, v3
	v_cndmask_b32_e32 v3, v3, v8, vcc_lo
	s_delay_alu instid0(VALU_DEP_2) | instskip(NEXT) | instid1(VALU_DEP_2)
	v_cmp_le_u32_e32 vcc_lo, s28, v5
	v_add_nc_u32_e32 v8, 1, v3
	s_wait_alu 0xfffd
	s_delay_alu instid0(VALU_DEP_1)
	v_cndmask_b32_e32 v9, v3, v8, vcc_lo
	s_branch .LBB40_15
.LBB40_20:                              ;   in Loop: Header=BB40_3 Depth=1
	s_mov_b32 s2, s18
	s_and_not1_b32 vcc_lo, exec_lo, s55
	s_wait_alu 0xfffe
	s_cbranch_vccnz .LBB40_56
.LBB40_21:                              ;   in Loop: Header=BB40_3 Depth=1
	s_add_co_i32 s26, s2, -7
.LBB40_22:                              ;   Parent Loop BB40_3 Depth=1
                                        ; =>  This Inner Loop Header: Depth=2
	s_wait_alu 0xfffe
	s_add_co_i32 s18, s26, 7
                                        ; implicit-def: $vgpr9_vgpr10
	s_mov_b32 s2, exec_lo
	s_wait_alu 0xfffe
	s_lshl_b64 s[34:35], s[18:19], 2
	s_wait_alu 0xfffe
	s_add_nc_u64 s[28:29], s[10:11], s[34:35]
	s_load_b32 s28, s[28:29], 0x8
	s_wait_kmcnt 0x0
	s_ashr_i32 s29, s28, 31
	s_wait_alu 0xfffe
	v_or_b32_e32 v3, s29, v8
	s_delay_alu instid0(VALU_DEP_1)
	v_cmpx_ne_u64_e32 0, v[2:3]
	s_xor_b32 s25, exec_lo, s2
	s_cbranch_execz .LBB40_24
; %bb.23:                               ;   in Loop: Header=BB40_22 Depth=2
	s_ashr_i32 s30, s29, 31
	v_ashrrev_i32_e32 v3, 31, v8
	s_wait_alu 0xfffe
	s_mov_b32 s31, s30
	s_wait_alu 0xfffe
	s_add_nc_u64 s[36:37], s[28:29], s[30:31]
	v_add_co_u32 v5, vcc_lo, v7, v3
	s_wait_alu 0xfffe
	s_xor_b64 s[36:37], s[36:37], s[30:31]
	s_wait_alu 0xfffd
	v_add_co_ci_u32_e64 v8, null, v8, v3, vcc_lo
	s_wait_alu 0xfffe
	s_cvt_f32_u32 s2, s36
	s_cvt_f32_u32 s18, s37
	s_sub_nc_u64 s[40:41], 0, s[36:37]
	v_xor_b32_e32 v5, v5, v3
	v_xor_b32_e32 v14, v8, v3
	s_wait_alu 0xfffe
	s_fmamk_f32 s2, s18, 0x4f800000, s2
	v_xor_b32_e32 v3, s30, v3
	s_wait_alu 0xfffe
	s_delay_alu instid0(SALU_CYCLE_1) | instskip(NEXT) | instid1(TRANS32_DEP_1)
	v_s_rcp_f32 s2, s2
	s_mul_f32 s2, s2, 0x5f7ffffc
	s_wait_alu 0xfffe
	s_delay_alu instid0(SALU_CYCLE_2) | instskip(SKIP_1) | instid1(SALU_CYCLE_2)
	s_mul_f32 s18, s2, 0x2f800000
	s_wait_alu 0xfffe
	s_trunc_f32 s18, s18
	s_wait_alu 0xfffe
	s_delay_alu instid0(SALU_CYCLE_2) | instskip(SKIP_2) | instid1(SALU_CYCLE_1)
	s_fmamk_f32 s2, s18, 0xcf800000, s2
	s_cvt_u32_f32 s39, s18
	s_wait_alu 0xfffe
	s_cvt_u32_f32 s38, s2
	s_wait_alu 0xfffe
	s_delay_alu instid0(SALU_CYCLE_2)
	s_mul_u64 s[42:43], s[40:41], s[38:39]
	s_wait_alu 0xfffe
	s_mul_hi_u32 s45, s38, s43
	s_mul_i32 s44, s38, s43
	s_mul_hi_u32 s18, s38, s42
	s_mul_i32 s27, s39, s42
	s_wait_alu 0xfffe
	s_add_nc_u64 s[44:45], s[18:19], s[44:45]
	s_mul_hi_u32 s2, s39, s42
	s_mul_hi_u32 s29, s39, s43
	s_wait_alu 0xfffe
	s_add_co_u32 s18, s44, s27
	s_add_co_ci_u32 s18, s45, s2
	s_mul_i32 s42, s39, s43
	s_add_co_ci_u32 s43, s29, 0
	s_wait_alu 0xfffe
	s_add_nc_u64 s[42:43], s[18:19], s[42:43]
	s_wait_alu 0xfffe
	s_add_co_u32 s38, s38, s42
	s_cselect_b32 s2, -1, 0
	s_wait_alu 0xfffe
	s_cmp_lg_u32 s2, 0
	s_add_co_ci_u32 s39, s39, s43
	s_wait_alu 0xfffe
	s_mul_u64 s[40:41], s[40:41], s[38:39]
	s_wait_alu 0xfffe
	s_mul_hi_u32 s43, s38, s41
	s_mul_i32 s42, s38, s41
	s_mul_hi_u32 s18, s38, s40
	s_mul_i32 s27, s39, s40
	s_wait_alu 0xfffe
	s_add_nc_u64 s[42:43], s[18:19], s[42:43]
	s_mul_hi_u32 s2, s39, s40
	s_mul_hi_u32 s29, s39, s41
	s_wait_alu 0xfffe
	s_add_co_u32 s18, s42, s27
	s_add_co_ci_u32 s18, s43, s2
	s_mul_i32 s40, s39, s41
	s_add_co_ci_u32 s41, s29, 0
	s_wait_alu 0xfffe
	s_add_nc_u64 s[40:41], s[18:19], s[40:41]
	s_wait_alu 0xfffe
	s_add_co_u32 s2, s38, s40
	s_cselect_b32 s18, -1, 0
	s_wait_alu 0xfffe
	v_mul_hi_u32 v15, v5, s2
	s_cmp_lg_u32 s18, 0
	v_mad_co_u64_u32 v[10:11], null, v14, s2, 0
	s_add_co_ci_u32 s18, s39, s41
	s_wait_alu 0xfffe
	v_mad_co_u64_u32 v[8:9], null, v5, s18, 0
	v_mad_co_u64_u32 v[12:13], null, v14, s18, 0
	s_delay_alu instid0(VALU_DEP_2) | instskip(SKIP_1) | instid1(VALU_DEP_3)
	v_add_co_u32 v8, vcc_lo, v15, v8
	s_wait_alu 0xfffd
	v_add_co_ci_u32_e64 v9, null, 0, v9, vcc_lo
	s_delay_alu instid0(VALU_DEP_2) | instskip(SKIP_1) | instid1(VALU_DEP_2)
	v_add_co_u32 v8, vcc_lo, v8, v10
	s_wait_alu 0xfffd
	v_add_co_ci_u32_e32 v8, vcc_lo, v9, v11, vcc_lo
	s_wait_alu 0xfffd
	v_add_co_ci_u32_e32 v9, vcc_lo, 0, v13, vcc_lo
	s_delay_alu instid0(VALU_DEP_2) | instskip(SKIP_1) | instid1(VALU_DEP_2)
	v_add_co_u32 v10, vcc_lo, v8, v12
	s_wait_alu 0xfffd
	v_add_co_ci_u32_e64 v11, null, 0, v9, vcc_lo
	s_delay_alu instid0(VALU_DEP_2) | instskip(SKIP_1) | instid1(VALU_DEP_3)
	v_mul_lo_u32 v12, s37, v10
	v_mad_co_u64_u32 v[8:9], null, s36, v10, 0
	v_mul_lo_u32 v13, s36, v11
	s_delay_alu instid0(VALU_DEP_2) | instskip(NEXT) | instid1(VALU_DEP_2)
	v_sub_co_u32 v5, vcc_lo, v5, v8
	v_add3_u32 v9, v9, v13, v12
	s_delay_alu instid0(VALU_DEP_1) | instskip(SKIP_2) | instid1(VALU_DEP_2)
	v_sub_nc_u32_e32 v12, v14, v9
	s_wait_alu 0xfffd
	v_sub_co_ci_u32_e64 v9, null, v14, v9, vcc_lo
	v_subrev_co_ci_u32_e64 v8, null, s37, v12, vcc_lo
	v_add_co_u32 v12, s2, v10, 2
	s_wait_alu 0xf1ff
	v_add_co_ci_u32_e64 v13, null, 0, v11, s2
	v_sub_co_u32 v15, s2, v5, s36
	s_wait_alu 0xf1ff
	v_subrev_co_ci_u32_e64 v8, null, 0, v8, s2
	s_delay_alu instid0(VALU_DEP_2) | instskip(SKIP_2) | instid1(VALU_DEP_3)
	v_cmp_le_u32_e32 vcc_lo, s36, v15
	s_wait_alu 0xfffd
	v_cndmask_b32_e64 v14, 0, -1, vcc_lo
	v_cmp_le_u32_e32 vcc_lo, s37, v8
	s_wait_alu 0xfffd
	v_cndmask_b32_e64 v15, 0, -1, vcc_lo
	;; [unrolled: 3-line block ×4, first 2 shown]
	v_cmp_eq_u32_e32 vcc_lo, s37, v8
	s_wait_alu 0xfffd
	v_cndmask_b32_e32 v8, v15, v14, vcc_lo
	v_add_co_u32 v14, vcc_lo, v10, 1
	s_wait_alu 0xfffd
	v_add_co_ci_u32_e64 v15, null, 0, v11, vcc_lo
	v_cmp_eq_u32_e32 vcc_lo, s37, v9
	s_wait_alu 0xfffd
	v_cndmask_b32_e32 v5, v16, v5, vcc_lo
	v_cmp_ne_u32_e32 vcc_lo, 0, v8
	s_delay_alu instid0(VALU_DEP_2) | instskip(SKIP_3) | instid1(VALU_DEP_1)
	v_cmp_ne_u32_e64 s2, 0, v5
	s_wait_alu 0xfffd
	v_dual_cndmask_b32 v8, v15, v13 :: v_dual_cndmask_b32 v5, v14, v12
	s_wait_alu 0xf1ff
	v_cndmask_b32_e64 v8, v11, v8, s2
	s_delay_alu instid0(VALU_DEP_2) | instskip(NEXT) | instid1(VALU_DEP_2)
	v_cndmask_b32_e64 v5, v10, v5, s2
	v_xor_b32_e32 v8, v8, v3
	s_delay_alu instid0(VALU_DEP_2) | instskip(NEXT) | instid1(VALU_DEP_1)
	v_xor_b32_e32 v5, v5, v3
	v_sub_co_u32 v9, vcc_lo, v5, v3
	s_wait_alu 0xfffd
	s_delay_alu instid0(VALU_DEP_3)
	v_sub_co_ci_u32_e64 v10, null, v8, v3, vcc_lo
.LBB40_24:                              ;   in Loop: Header=BB40_22 Depth=2
	s_wait_alu 0xfffe
	s_and_not1_saveexec_b32 s2, s25
	s_cbranch_execz .LBB40_26
; %bb.25:                               ;   in Loop: Header=BB40_22 Depth=2
	v_cvt_f32_u32_e32 v3, s28
	s_sub_co_i32 s18, 0, s28
	v_mov_b32_e32 v10, v2
	s_delay_alu instid0(VALU_DEP_2) | instskip(NEXT) | instid1(TRANS32_DEP_1)
	v_rcp_iflag_f32_e32 v3, v3
	v_mul_f32_e32 v3, 0x4f7ffffe, v3
	s_delay_alu instid0(VALU_DEP_1) | instskip(SKIP_1) | instid1(VALU_DEP_1)
	v_cvt_u32_f32_e32 v3, v3
	s_wait_alu 0xfffe
	v_mul_lo_u32 v5, s18, v3
	s_delay_alu instid0(VALU_DEP_1) | instskip(NEXT) | instid1(VALU_DEP_1)
	v_mul_hi_u32 v5, v3, v5
	v_add_nc_u32_e32 v3, v3, v5
	s_delay_alu instid0(VALU_DEP_1) | instskip(NEXT) | instid1(VALU_DEP_1)
	v_mul_hi_u32 v3, v7, v3
	v_mul_lo_u32 v5, v3, s28
	s_delay_alu instid0(VALU_DEP_1) | instskip(NEXT) | instid1(VALU_DEP_1)
	v_sub_nc_u32_e32 v5, v7, v5
	v_subrev_nc_u32_e32 v9, s28, v5
	v_cmp_le_u32_e32 vcc_lo, s28, v5
	s_wait_alu 0xfffd
	s_delay_alu instid0(VALU_DEP_2) | instskip(NEXT) | instid1(VALU_DEP_1)
	v_dual_cndmask_b32 v5, v5, v9 :: v_dual_add_nc_u32 v8, 1, v3
	v_cndmask_b32_e32 v3, v3, v8, vcc_lo
	s_delay_alu instid0(VALU_DEP_2) | instskip(NEXT) | instid1(VALU_DEP_2)
	v_cmp_le_u32_e32 vcc_lo, s28, v5
	v_add_nc_u32_e32 v8, 1, v3
	s_wait_alu 0xfffd
	s_delay_alu instid0(VALU_DEP_1)
	v_cndmask_b32_e32 v9, v3, v8, vcc_lo
.LBB40_26:                              ;   in Loop: Header=BB40_22 Depth=2
	s_wait_alu 0xfffe
	s_or_b32 exec_lo, exec_lo, s2
	s_add_co_i32 s18, s26, 6
	s_add_nc_u64 s[34:35], s[0:1], s[34:35]
	s_wait_alu 0xfffe
	s_lshl_b64 s[36:37], s[18:19], 2
                                        ; implicit-def: $vgpr11_vgpr12
	s_mov_b32 s2, exec_lo
	s_wait_alu 0xfffe
	s_add_nc_u64 s[30:31], s[10:11], s[36:37]
	s_clause 0x1
	s_load_b32 s25, s[34:35], 0x6c
	s_load_b32 s30, s[30:31], 0x8
	s_wait_kmcnt 0x0
	s_ashr_i32 s31, s30, 31
	s_wait_alu 0xfffe
	v_or_b32_e32 v3, s31, v10
	s_delay_alu instid0(VALU_DEP_1)
	v_cmpx_ne_u64_e32 0, v[2:3]
	s_xor_b32 s27, exec_lo, s2
	s_cbranch_execz .LBB40_28
; %bb.27:                               ;   in Loop: Header=BB40_22 Depth=2
	s_ashr_i32 s34, s31, 31
	v_ashrrev_i32_e32 v3, 31, v10
	s_wait_alu 0xfffe
	s_mov_b32 s35, s34
	s_wait_alu 0xfffe
	s_add_nc_u64 s[38:39], s[30:31], s[34:35]
	v_add_co_u32 v5, vcc_lo, v9, v3
	s_wait_alu 0xfffe
	s_xor_b64 s[38:39], s[38:39], s[34:35]
	s_wait_alu 0xfffd
	v_add_co_ci_u32_e64 v8, null, v10, v3, vcc_lo
	s_wait_alu 0xfffe
	s_cvt_f32_u32 s2, s38
	s_cvt_f32_u32 s18, s39
	s_sub_nc_u64 s[42:43], 0, s[38:39]
	v_xor_b32_e32 v5, v5, v3
	v_xor_b32_e32 v8, v8, v3
	s_wait_alu 0xfffe
	s_fmamk_f32 s2, s18, 0x4f800000, s2
	v_xor_b32_e32 v3, s34, v3
	s_wait_alu 0xfffe
	s_delay_alu instid0(SALU_CYCLE_1) | instskip(NEXT) | instid1(TRANS32_DEP_1)
	v_s_rcp_f32 s2, s2
	s_mul_f32 s2, s2, 0x5f7ffffc
	s_wait_alu 0xfffe
	s_delay_alu instid0(SALU_CYCLE_2) | instskip(SKIP_1) | instid1(SALU_CYCLE_2)
	s_mul_f32 s18, s2, 0x2f800000
	s_wait_alu 0xfffe
	s_trunc_f32 s18, s18
	s_wait_alu 0xfffe
	s_delay_alu instid0(SALU_CYCLE_2) | instskip(SKIP_2) | instid1(SALU_CYCLE_1)
	s_fmamk_f32 s2, s18, 0xcf800000, s2
	s_cvt_u32_f32 s41, s18
	s_wait_alu 0xfffe
	s_cvt_u32_f32 s40, s2
	s_wait_alu 0xfffe
	s_delay_alu instid0(SALU_CYCLE_2)
	s_mul_u64 s[44:45], s[42:43], s[40:41]
	s_wait_alu 0xfffe
	s_mul_hi_u32 s47, s40, s45
	s_mul_i32 s46, s40, s45
	s_mul_hi_u32 s18, s40, s44
	s_mul_i32 s29, s41, s44
	s_wait_alu 0xfffe
	s_add_nc_u64 s[46:47], s[18:19], s[46:47]
	s_mul_hi_u32 s2, s41, s44
	s_mul_hi_u32 s31, s41, s45
	s_wait_alu 0xfffe
	s_add_co_u32 s18, s46, s29
	s_add_co_ci_u32 s18, s47, s2
	s_mul_i32 s44, s41, s45
	s_add_co_ci_u32 s45, s31, 0
	s_wait_alu 0xfffe
	s_add_nc_u64 s[44:45], s[18:19], s[44:45]
	s_wait_alu 0xfffe
	s_add_co_u32 s40, s40, s44
	s_cselect_b32 s2, -1, 0
	s_wait_alu 0xfffe
	s_cmp_lg_u32 s2, 0
	s_add_co_ci_u32 s41, s41, s45
	s_wait_alu 0xfffe
	s_mul_u64 s[42:43], s[42:43], s[40:41]
	s_wait_alu 0xfffe
	s_mul_hi_u32 s45, s40, s43
	s_mul_i32 s44, s40, s43
	s_mul_hi_u32 s18, s40, s42
	s_mul_i32 s29, s41, s42
	s_wait_alu 0xfffe
	s_add_nc_u64 s[44:45], s[18:19], s[44:45]
	s_mul_hi_u32 s2, s41, s42
	s_mul_hi_u32 s31, s41, s43
	s_wait_alu 0xfffe
	s_add_co_u32 s18, s44, s29
	s_add_co_ci_u32 s18, s45, s2
	s_mul_i32 s42, s41, s43
	s_add_co_ci_u32 s43, s31, 0
	s_wait_alu 0xfffe
	s_add_nc_u64 s[42:43], s[18:19], s[42:43]
	s_wait_alu 0xfffe
	s_add_co_u32 s2, s40, s42
	s_cselect_b32 s18, -1, 0
	s_wait_alu 0xfffe
	v_mul_hi_u32 v16, v5, s2
	s_cmp_lg_u32 s18, 0
	v_mad_co_u64_u32 v[12:13], null, v8, s2, 0
	s_add_co_ci_u32 s18, s41, s43
	s_wait_alu 0xfffe
	v_mad_co_u64_u32 v[10:11], null, v5, s18, 0
	v_mad_co_u64_u32 v[14:15], null, v8, s18, 0
	s_delay_alu instid0(VALU_DEP_2) | instskip(SKIP_1) | instid1(VALU_DEP_3)
	v_add_co_u32 v10, vcc_lo, v16, v10
	s_wait_alu 0xfffd
	v_add_co_ci_u32_e64 v11, null, 0, v11, vcc_lo
	s_delay_alu instid0(VALU_DEP_2) | instskip(SKIP_1) | instid1(VALU_DEP_2)
	v_add_co_u32 v10, vcc_lo, v10, v12
	s_wait_alu 0xfffd
	v_add_co_ci_u32_e32 v10, vcc_lo, v11, v13, vcc_lo
	s_wait_alu 0xfffd
	v_add_co_ci_u32_e32 v11, vcc_lo, 0, v15, vcc_lo
	s_delay_alu instid0(VALU_DEP_2) | instskip(SKIP_1) | instid1(VALU_DEP_2)
	v_add_co_u32 v12, vcc_lo, v10, v14
	s_wait_alu 0xfffd
	v_add_co_ci_u32_e64 v13, null, 0, v11, vcc_lo
	s_delay_alu instid0(VALU_DEP_2) | instskip(SKIP_1) | instid1(VALU_DEP_3)
	v_mul_lo_u32 v14, s39, v12
	v_mad_co_u64_u32 v[10:11], null, s38, v12, 0
	v_mul_lo_u32 v15, s38, v13
	s_delay_alu instid0(VALU_DEP_2) | instskip(NEXT) | instid1(VALU_DEP_2)
	v_sub_co_u32 v5, vcc_lo, v5, v10
	v_add3_u32 v11, v11, v15, v14
	s_delay_alu instid0(VALU_DEP_1) | instskip(SKIP_2) | instid1(VALU_DEP_2)
	v_sub_nc_u32_e32 v14, v8, v11
	s_wait_alu 0xfffd
	v_sub_co_ci_u32_e64 v8, null, v8, v11, vcc_lo
	v_subrev_co_ci_u32_e64 v10, null, s39, v14, vcc_lo
	v_add_co_u32 v14, s2, v12, 2
	s_wait_alu 0xf1ff
	v_add_co_ci_u32_e64 v15, null, 0, v13, s2
	v_sub_co_u32 v16, s2, v5, s38
	s_wait_alu 0xf1ff
	v_subrev_co_ci_u32_e64 v10, null, 0, v10, s2
	s_delay_alu instid0(VALU_DEP_2) | instskip(SKIP_2) | instid1(VALU_DEP_3)
	v_cmp_le_u32_e32 vcc_lo, s38, v16
	s_wait_alu 0xfffd
	v_cndmask_b32_e64 v11, 0, -1, vcc_lo
	v_cmp_le_u32_e32 vcc_lo, s39, v10
	s_wait_alu 0xfffd
	v_cndmask_b32_e64 v16, 0, -1, vcc_lo
	;; [unrolled: 3-line block ×4, first 2 shown]
	v_cmp_eq_u32_e32 vcc_lo, s39, v10
	s_wait_alu 0xfffd
	v_cndmask_b32_e32 v10, v16, v11, vcc_lo
	v_add_co_u32 v11, vcc_lo, v12, 1
	s_wait_alu 0xfffd
	v_add_co_ci_u32_e64 v16, null, 0, v13, vcc_lo
	v_cmp_eq_u32_e32 vcc_lo, s39, v8
	s_wait_alu 0xfffd
	v_cndmask_b32_e32 v5, v17, v5, vcc_lo
	v_cmp_ne_u32_e32 vcc_lo, 0, v10
	s_delay_alu instid0(VALU_DEP_2) | instskip(SKIP_3) | instid1(VALU_DEP_1)
	v_cmp_ne_u32_e64 s2, 0, v5
	s_wait_alu 0xfffd
	v_dual_cndmask_b32 v8, v16, v15 :: v_dual_cndmask_b32 v5, v11, v14
	s_wait_alu 0xf1ff
	v_cndmask_b32_e64 v8, v13, v8, s2
	s_delay_alu instid0(VALU_DEP_2) | instskip(NEXT) | instid1(VALU_DEP_2)
	v_cndmask_b32_e64 v5, v12, v5, s2
	v_xor_b32_e32 v8, v8, v3
	s_delay_alu instid0(VALU_DEP_2) | instskip(NEXT) | instid1(VALU_DEP_1)
	v_xor_b32_e32 v5, v5, v3
	v_sub_co_u32 v11, vcc_lo, v5, v3
	s_wait_alu 0xfffd
	s_delay_alu instid0(VALU_DEP_3)
	v_sub_co_ci_u32_e64 v12, null, v8, v3, vcc_lo
.LBB40_28:                              ;   in Loop: Header=BB40_22 Depth=2
	s_wait_alu 0xfffe
	s_and_not1_saveexec_b32 s2, s27
	s_cbranch_execz .LBB40_30
; %bb.29:                               ;   in Loop: Header=BB40_22 Depth=2
	v_cvt_f32_u32_e32 v3, s30
	s_sub_co_i32 s18, 0, s30
	v_mov_b32_e32 v12, v2
	s_delay_alu instid0(VALU_DEP_2) | instskip(NEXT) | instid1(TRANS32_DEP_1)
	v_rcp_iflag_f32_e32 v3, v3
	v_mul_f32_e32 v3, 0x4f7ffffe, v3
	s_delay_alu instid0(VALU_DEP_1) | instskip(SKIP_1) | instid1(VALU_DEP_1)
	v_cvt_u32_f32_e32 v3, v3
	s_wait_alu 0xfffe
	v_mul_lo_u32 v5, s18, v3
	s_delay_alu instid0(VALU_DEP_1) | instskip(NEXT) | instid1(VALU_DEP_1)
	v_mul_hi_u32 v5, v3, v5
	v_add_nc_u32_e32 v3, v3, v5
	s_delay_alu instid0(VALU_DEP_1) | instskip(NEXT) | instid1(VALU_DEP_1)
	v_mul_hi_u32 v3, v9, v3
	v_mul_lo_u32 v5, v3, s30
	s_delay_alu instid0(VALU_DEP_1) | instskip(NEXT) | instid1(VALU_DEP_1)
	v_sub_nc_u32_e32 v5, v9, v5
	v_subrev_nc_u32_e32 v10, s30, v5
	v_cmp_le_u32_e32 vcc_lo, s30, v5
	s_wait_alu 0xfffd
	s_delay_alu instid0(VALU_DEP_2) | instskip(NEXT) | instid1(VALU_DEP_1)
	v_dual_cndmask_b32 v5, v5, v10 :: v_dual_add_nc_u32 v8, 1, v3
	v_cndmask_b32_e32 v3, v3, v8, vcc_lo
	s_delay_alu instid0(VALU_DEP_2) | instskip(NEXT) | instid1(VALU_DEP_2)
	v_cmp_le_u32_e32 vcc_lo, s30, v5
	v_add_nc_u32_e32 v8, 1, v3
	s_wait_alu 0xfffd
	s_delay_alu instid0(VALU_DEP_1)
	v_cndmask_b32_e32 v11, v3, v8, vcc_lo
.LBB40_30:                              ;   in Loop: Header=BB40_22 Depth=2
	s_wait_alu 0xfffe
	s_or_b32 exec_lo, exec_lo, s2
	s_add_co_i32 s18, s26, 5
	s_add_nc_u64 s[36:37], s[0:1], s[36:37]
	s_wait_alu 0xfffe
	s_lshl_b64 s[38:39], s[18:19], 2
                                        ; implicit-def: $vgpr13_vgpr14
	s_mov_b32 s2, exec_lo
	s_wait_alu 0xfffe
	s_add_nc_u64 s[34:35], s[10:11], s[38:39]
	s_clause 0x1
	s_load_b32 s29, s[36:37], 0x6c
	s_load_b32 s34, s[34:35], 0x8
	s_wait_kmcnt 0x0
	s_ashr_i32 s35, s34, 31
	s_wait_alu 0xfffe
	v_or_b32_e32 v3, s35, v12
	s_delay_alu instid0(VALU_DEP_1)
	v_cmpx_ne_u64_e32 0, v[2:3]
	s_xor_b32 s27, exec_lo, s2
	s_cbranch_execz .LBB40_32
; %bb.31:                               ;   in Loop: Header=BB40_22 Depth=2
	s_ashr_i32 s36, s35, 31
	v_ashrrev_i32_e32 v3, 31, v12
	s_wait_alu 0xfffe
	s_mov_b32 s37, s36
	s_wait_alu 0xfffe
	s_add_nc_u64 s[40:41], s[34:35], s[36:37]
	v_add_co_u32 v5, vcc_lo, v11, v3
	s_wait_alu 0xfffe
	s_xor_b64 s[40:41], s[40:41], s[36:37]
	s_wait_alu 0xfffd
	v_add_co_ci_u32_e64 v8, null, v12, v3, vcc_lo
	s_wait_alu 0xfffe
	s_cvt_f32_u32 s2, s40
	s_cvt_f32_u32 s18, s41
	s_sub_nc_u64 s[44:45], 0, s[40:41]
	v_xor_b32_e32 v5, v5, v3
	v_xor_b32_e32 v8, v8, v3
	s_wait_alu 0xfffe
	s_fmamk_f32 s2, s18, 0x4f800000, s2
	v_xor_b32_e32 v3, s36, v3
	s_wait_alu 0xfffe
	s_delay_alu instid0(SALU_CYCLE_1) | instskip(NEXT) | instid1(TRANS32_DEP_1)
	v_s_rcp_f32 s2, s2
	s_mul_f32 s2, s2, 0x5f7ffffc
	s_wait_alu 0xfffe
	s_delay_alu instid0(SALU_CYCLE_2) | instskip(SKIP_1) | instid1(SALU_CYCLE_2)
	s_mul_f32 s18, s2, 0x2f800000
	s_wait_alu 0xfffe
	s_trunc_f32 s18, s18
	s_wait_alu 0xfffe
	s_delay_alu instid0(SALU_CYCLE_2) | instskip(SKIP_2) | instid1(SALU_CYCLE_1)
	s_fmamk_f32 s2, s18, 0xcf800000, s2
	s_cvt_u32_f32 s43, s18
	s_wait_alu 0xfffe
	s_cvt_u32_f32 s42, s2
	s_wait_alu 0xfffe
	s_delay_alu instid0(SALU_CYCLE_2)
	s_mul_u64 s[46:47], s[44:45], s[42:43]
	s_wait_alu 0xfffe
	s_mul_hi_u32 s49, s42, s47
	s_mul_i32 s48, s42, s47
	s_mul_hi_u32 s18, s42, s46
	s_mul_i32 s31, s43, s46
	s_wait_alu 0xfffe
	s_add_nc_u64 s[48:49], s[18:19], s[48:49]
	s_mul_hi_u32 s2, s43, s46
	s_mul_hi_u32 s35, s43, s47
	s_wait_alu 0xfffe
	s_add_co_u32 s18, s48, s31
	s_add_co_ci_u32 s18, s49, s2
	s_mul_i32 s46, s43, s47
	s_add_co_ci_u32 s47, s35, 0
	s_wait_alu 0xfffe
	s_add_nc_u64 s[46:47], s[18:19], s[46:47]
	s_wait_alu 0xfffe
	s_add_co_u32 s42, s42, s46
	s_cselect_b32 s2, -1, 0
	s_wait_alu 0xfffe
	s_cmp_lg_u32 s2, 0
	s_add_co_ci_u32 s43, s43, s47
	s_wait_alu 0xfffe
	s_mul_u64 s[44:45], s[44:45], s[42:43]
	s_wait_alu 0xfffe
	s_mul_hi_u32 s47, s42, s45
	s_mul_i32 s46, s42, s45
	s_mul_hi_u32 s18, s42, s44
	s_mul_i32 s31, s43, s44
	s_wait_alu 0xfffe
	s_add_nc_u64 s[46:47], s[18:19], s[46:47]
	s_mul_hi_u32 s2, s43, s44
	s_mul_hi_u32 s35, s43, s45
	s_wait_alu 0xfffe
	s_add_co_u32 s18, s46, s31
	s_add_co_ci_u32 s18, s47, s2
	s_mul_i32 s44, s43, s45
	s_add_co_ci_u32 s45, s35, 0
	s_wait_alu 0xfffe
	s_add_nc_u64 s[44:45], s[18:19], s[44:45]
	s_wait_alu 0xfffe
	s_add_co_u32 s2, s42, s44
	s_cselect_b32 s18, -1, 0
	s_wait_alu 0xfffe
	v_mul_hi_u32 v10, v5, s2
	s_cmp_lg_u32 s18, 0
	v_mad_co_u64_u32 v[14:15], null, v8, s2, 0
	s_add_co_ci_u32 s18, s43, s45
	s_wait_alu 0xfffe
	v_mad_co_u64_u32 v[12:13], null, v5, s18, 0
	v_mad_co_u64_u32 v[16:17], null, v8, s18, 0
	s_delay_alu instid0(VALU_DEP_2) | instskip(SKIP_1) | instid1(VALU_DEP_3)
	v_add_co_u32 v10, vcc_lo, v10, v12
	s_wait_alu 0xfffd
	v_add_co_ci_u32_e64 v12, null, 0, v13, vcc_lo
	s_delay_alu instid0(VALU_DEP_2) | instskip(SKIP_1) | instid1(VALU_DEP_2)
	v_add_co_u32 v10, vcc_lo, v10, v14
	s_wait_alu 0xfffd
	v_add_co_ci_u32_e32 v10, vcc_lo, v12, v15, vcc_lo
	s_wait_alu 0xfffd
	v_add_co_ci_u32_e32 v12, vcc_lo, 0, v17, vcc_lo
	s_delay_alu instid0(VALU_DEP_2) | instskip(SKIP_1) | instid1(VALU_DEP_2)
	v_add_co_u32 v10, vcc_lo, v10, v16
	s_wait_alu 0xfffd
	v_add_co_ci_u32_e64 v14, null, 0, v12, vcc_lo
	s_delay_alu instid0(VALU_DEP_2) | instskip(SKIP_1) | instid1(VALU_DEP_3)
	v_mul_lo_u32 v15, s41, v10
	v_mad_co_u64_u32 v[12:13], null, s40, v10, 0
	v_mul_lo_u32 v16, s40, v14
	s_delay_alu instid0(VALU_DEP_2) | instskip(NEXT) | instid1(VALU_DEP_2)
	v_sub_co_u32 v5, vcc_lo, v5, v12
	v_add3_u32 v13, v13, v16, v15
	s_delay_alu instid0(VALU_DEP_1) | instskip(SKIP_2) | instid1(VALU_DEP_2)
	v_sub_nc_u32_e32 v15, v8, v13
	s_wait_alu 0xfffd
	v_sub_co_ci_u32_e64 v8, null, v8, v13, vcc_lo
	v_subrev_co_ci_u32_e64 v12, null, s41, v15, vcc_lo
	v_add_co_u32 v15, s2, v10, 2
	s_wait_alu 0xf1ff
	v_add_co_ci_u32_e64 v16, null, 0, v14, s2
	v_sub_co_u32 v17, s2, v5, s40
	s_wait_alu 0xf1ff
	v_subrev_co_ci_u32_e64 v12, null, 0, v12, s2
	s_delay_alu instid0(VALU_DEP_2) | instskip(SKIP_2) | instid1(VALU_DEP_3)
	v_cmp_le_u32_e32 vcc_lo, s40, v17
	s_wait_alu 0xfffd
	v_cndmask_b32_e64 v13, 0, -1, vcc_lo
	v_cmp_le_u32_e32 vcc_lo, s41, v12
	s_wait_alu 0xfffd
	v_cndmask_b32_e64 v17, 0, -1, vcc_lo
	v_cmp_le_u32_e32 vcc_lo, s40, v5
	s_wait_alu 0xfffd
	v_cndmask_b32_e64 v5, 0, -1, vcc_lo
	v_cmp_le_u32_e32 vcc_lo, s41, v8
	s_wait_alu 0xfffd
	v_cndmask_b32_e64 v18, 0, -1, vcc_lo
	v_cmp_eq_u32_e32 vcc_lo, s41, v12
	s_wait_alu 0xfffd
	v_cndmask_b32_e32 v12, v17, v13, vcc_lo
	v_add_co_u32 v13, vcc_lo, v10, 1
	s_wait_alu 0xfffd
	v_add_co_ci_u32_e64 v17, null, 0, v14, vcc_lo
	v_cmp_eq_u32_e32 vcc_lo, s41, v8
	s_wait_alu 0xfffd
	v_cndmask_b32_e32 v5, v18, v5, vcc_lo
	v_cmp_ne_u32_e32 vcc_lo, 0, v12
	s_wait_alu 0xfffd
	v_cndmask_b32_e32 v8, v17, v16, vcc_lo
	s_delay_alu instid0(VALU_DEP_3) | instskip(SKIP_2) | instid1(VALU_DEP_2)
	v_cmp_ne_u32_e64 s2, 0, v5
	v_cndmask_b32_e32 v5, v13, v15, vcc_lo
	s_wait_alu 0xf1ff
	v_cndmask_b32_e64 v8, v14, v8, s2
	s_delay_alu instid0(VALU_DEP_2) | instskip(NEXT) | instid1(VALU_DEP_2)
	v_cndmask_b32_e64 v5, v10, v5, s2
	v_xor_b32_e32 v8, v8, v3
	s_delay_alu instid0(VALU_DEP_2) | instskip(NEXT) | instid1(VALU_DEP_1)
	v_xor_b32_e32 v5, v5, v3
	v_sub_co_u32 v13, vcc_lo, v5, v3
	s_wait_alu 0xfffd
	s_delay_alu instid0(VALU_DEP_3)
	v_sub_co_ci_u32_e64 v14, null, v8, v3, vcc_lo
.LBB40_32:                              ;   in Loop: Header=BB40_22 Depth=2
	s_wait_alu 0xfffe
	s_and_not1_saveexec_b32 s2, s27
	s_cbranch_execz .LBB40_34
; %bb.33:                               ;   in Loop: Header=BB40_22 Depth=2
	v_cvt_f32_u32_e32 v3, s34
	s_sub_co_i32 s18, 0, s34
	v_mov_b32_e32 v14, v2
	s_delay_alu instid0(VALU_DEP_2) | instskip(NEXT) | instid1(TRANS32_DEP_1)
	v_rcp_iflag_f32_e32 v3, v3
	v_mul_f32_e32 v3, 0x4f7ffffe, v3
	s_delay_alu instid0(VALU_DEP_1) | instskip(SKIP_1) | instid1(VALU_DEP_1)
	v_cvt_u32_f32_e32 v3, v3
	s_wait_alu 0xfffe
	v_mul_lo_u32 v5, s18, v3
	s_delay_alu instid0(VALU_DEP_1) | instskip(NEXT) | instid1(VALU_DEP_1)
	v_mul_hi_u32 v5, v3, v5
	v_add_nc_u32_e32 v3, v3, v5
	s_delay_alu instid0(VALU_DEP_1) | instskip(NEXT) | instid1(VALU_DEP_1)
	v_mul_hi_u32 v3, v11, v3
	v_mul_lo_u32 v5, v3, s34
	s_delay_alu instid0(VALU_DEP_1) | instskip(NEXT) | instid1(VALU_DEP_1)
	v_sub_nc_u32_e32 v5, v11, v5
	v_subrev_nc_u32_e32 v10, s34, v5
	v_cmp_le_u32_e32 vcc_lo, s34, v5
	s_wait_alu 0xfffd
	s_delay_alu instid0(VALU_DEP_2) | instskip(NEXT) | instid1(VALU_DEP_1)
	v_dual_cndmask_b32 v5, v5, v10 :: v_dual_add_nc_u32 v8, 1, v3
	v_cndmask_b32_e32 v3, v3, v8, vcc_lo
	s_delay_alu instid0(VALU_DEP_2) | instskip(NEXT) | instid1(VALU_DEP_2)
	v_cmp_le_u32_e32 vcc_lo, s34, v5
	v_add_nc_u32_e32 v8, 1, v3
	s_wait_alu 0xfffd
	s_delay_alu instid0(VALU_DEP_1)
	v_cndmask_b32_e32 v13, v3, v8, vcc_lo
.LBB40_34:                              ;   in Loop: Header=BB40_22 Depth=2
	s_wait_alu 0xfffe
	s_or_b32 exec_lo, exec_lo, s2
	s_add_co_i32 s18, s26, 4
	s_add_nc_u64 s[38:39], s[0:1], s[38:39]
	s_wait_alu 0xfffe
	s_lshl_b64 s[40:41], s[18:19], 2
                                        ; implicit-def: $vgpr15_vgpr16
	s_mov_b32 s2, exec_lo
	s_wait_alu 0xfffe
	s_add_nc_u64 s[36:37], s[10:11], s[40:41]
	s_clause 0x1
	s_load_b32 s31, s[38:39], 0x6c
	s_load_b32 s36, s[36:37], 0x8
	s_wait_kmcnt 0x0
	s_ashr_i32 s37, s36, 31
	s_wait_alu 0xfffe
	v_or_b32_e32 v3, s37, v14
	s_delay_alu instid0(VALU_DEP_1)
	v_cmpx_ne_u64_e32 0, v[2:3]
	s_xor_b32 s27, exec_lo, s2
	s_cbranch_execz .LBB40_36
; %bb.35:                               ;   in Loop: Header=BB40_22 Depth=2
	s_ashr_i32 s38, s37, 31
	v_ashrrev_i32_e32 v3, 31, v14
	s_wait_alu 0xfffe
	s_mov_b32 s39, s38
	s_wait_alu 0xfffe
	s_add_nc_u64 s[42:43], s[36:37], s[38:39]
	v_add_co_u32 v5, vcc_lo, v13, v3
	s_wait_alu 0xfffe
	s_xor_b64 s[42:43], s[42:43], s[38:39]
	s_wait_alu 0xfffd
	v_add_co_ci_u32_e64 v8, null, v14, v3, vcc_lo
	s_wait_alu 0xfffe
	s_cvt_f32_u32 s2, s42
	s_cvt_f32_u32 s18, s43
	s_sub_nc_u64 s[46:47], 0, s[42:43]
	v_xor_b32_e32 v5, v5, v3
	v_xor_b32_e32 v8, v8, v3
	s_wait_alu 0xfffe
	s_fmamk_f32 s2, s18, 0x4f800000, s2
	v_xor_b32_e32 v3, s38, v3
	s_wait_alu 0xfffe
	s_delay_alu instid0(SALU_CYCLE_1) | instskip(NEXT) | instid1(TRANS32_DEP_1)
	v_s_rcp_f32 s2, s2
	s_mul_f32 s2, s2, 0x5f7ffffc
	s_wait_alu 0xfffe
	s_delay_alu instid0(SALU_CYCLE_2) | instskip(SKIP_1) | instid1(SALU_CYCLE_2)
	s_mul_f32 s18, s2, 0x2f800000
	s_wait_alu 0xfffe
	s_trunc_f32 s18, s18
	s_wait_alu 0xfffe
	s_delay_alu instid0(SALU_CYCLE_2) | instskip(SKIP_2) | instid1(SALU_CYCLE_1)
	s_fmamk_f32 s2, s18, 0xcf800000, s2
	s_cvt_u32_f32 s45, s18
	s_wait_alu 0xfffe
	s_cvt_u32_f32 s44, s2
	s_wait_alu 0xfffe
	s_delay_alu instid0(SALU_CYCLE_2)
	s_mul_u64 s[48:49], s[46:47], s[44:45]
	s_wait_alu 0xfffe
	s_mul_hi_u32 s51, s44, s49
	s_mul_i32 s50, s44, s49
	s_mul_hi_u32 s18, s44, s48
	s_mul_i32 s35, s45, s48
	s_wait_alu 0xfffe
	s_add_nc_u64 s[50:51], s[18:19], s[50:51]
	s_mul_hi_u32 s2, s45, s48
	s_mul_hi_u32 s37, s45, s49
	s_wait_alu 0xfffe
	s_add_co_u32 s18, s50, s35
	s_add_co_ci_u32 s18, s51, s2
	s_mul_i32 s48, s45, s49
	s_add_co_ci_u32 s49, s37, 0
	s_wait_alu 0xfffe
	s_add_nc_u64 s[48:49], s[18:19], s[48:49]
	s_wait_alu 0xfffe
	s_add_co_u32 s44, s44, s48
	s_cselect_b32 s2, -1, 0
	s_wait_alu 0xfffe
	s_cmp_lg_u32 s2, 0
	s_add_co_ci_u32 s45, s45, s49
	s_wait_alu 0xfffe
	s_mul_u64 s[46:47], s[46:47], s[44:45]
	s_wait_alu 0xfffe
	s_mul_hi_u32 s49, s44, s47
	s_mul_i32 s48, s44, s47
	s_mul_hi_u32 s18, s44, s46
	s_mul_i32 s35, s45, s46
	s_wait_alu 0xfffe
	s_add_nc_u64 s[48:49], s[18:19], s[48:49]
	s_mul_hi_u32 s2, s45, s46
	s_mul_hi_u32 s37, s45, s47
	s_wait_alu 0xfffe
	s_add_co_u32 s18, s48, s35
	s_add_co_ci_u32 s18, s49, s2
	s_mul_i32 s46, s45, s47
	s_add_co_ci_u32 s47, s37, 0
	s_wait_alu 0xfffe
	s_add_nc_u64 s[46:47], s[18:19], s[46:47]
	s_wait_alu 0xfffe
	s_add_co_u32 s2, s44, s46
	s_cselect_b32 s18, -1, 0
	s_wait_alu 0xfffe
	v_mul_hi_u32 v10, v5, s2
	s_cmp_lg_u32 s18, 0
	v_mad_co_u64_u32 v[16:17], null, v8, s2, 0
	s_add_co_ci_u32 s18, s45, s47
	s_wait_alu 0xfffe
	v_mad_co_u64_u32 v[14:15], null, v5, s18, 0
	v_mad_co_u64_u32 v[18:19], null, v8, s18, 0
	s_delay_alu instid0(VALU_DEP_2) | instskip(SKIP_1) | instid1(VALU_DEP_3)
	v_add_co_u32 v10, vcc_lo, v10, v14
	s_wait_alu 0xfffd
	v_add_co_ci_u32_e64 v12, null, 0, v15, vcc_lo
	s_delay_alu instid0(VALU_DEP_2) | instskip(SKIP_1) | instid1(VALU_DEP_2)
	v_add_co_u32 v10, vcc_lo, v10, v16
	s_wait_alu 0xfffd
	v_add_co_ci_u32_e32 v10, vcc_lo, v12, v17, vcc_lo
	s_wait_alu 0xfffd
	v_add_co_ci_u32_e32 v12, vcc_lo, 0, v19, vcc_lo
	s_delay_alu instid0(VALU_DEP_2) | instskip(SKIP_1) | instid1(VALU_DEP_2)
	v_add_co_u32 v10, vcc_lo, v10, v18
	s_wait_alu 0xfffd
	v_add_co_ci_u32_e64 v12, null, 0, v12, vcc_lo
	s_delay_alu instid0(VALU_DEP_2) | instskip(SKIP_1) | instid1(VALU_DEP_3)
	v_mul_lo_u32 v16, s43, v10
	v_mad_co_u64_u32 v[14:15], null, s42, v10, 0
	v_mul_lo_u32 v17, s42, v12
	s_delay_alu instid0(VALU_DEP_2) | instskip(NEXT) | instid1(VALU_DEP_2)
	v_sub_co_u32 v5, vcc_lo, v5, v14
	v_add3_u32 v15, v15, v17, v16
	s_delay_alu instid0(VALU_DEP_1) | instskip(SKIP_2) | instid1(VALU_DEP_2)
	v_sub_nc_u32_e32 v16, v8, v15
	s_wait_alu 0xfffd
	v_sub_co_ci_u32_e64 v8, null, v8, v15, vcc_lo
	v_subrev_co_ci_u32_e64 v14, null, s43, v16, vcc_lo
	v_add_co_u32 v16, s2, v10, 2
	s_wait_alu 0xf1ff
	v_add_co_ci_u32_e64 v17, null, 0, v12, s2
	v_sub_co_u32 v18, s2, v5, s42
	s_wait_alu 0xf1ff
	v_subrev_co_ci_u32_e64 v14, null, 0, v14, s2
	s_delay_alu instid0(VALU_DEP_2) | instskip(SKIP_2) | instid1(VALU_DEP_3)
	v_cmp_le_u32_e32 vcc_lo, s42, v18
	s_wait_alu 0xfffd
	v_cndmask_b32_e64 v15, 0, -1, vcc_lo
	v_cmp_le_u32_e32 vcc_lo, s43, v14
	s_wait_alu 0xfffd
	v_cndmask_b32_e64 v18, 0, -1, vcc_lo
	;; [unrolled: 3-line block ×4, first 2 shown]
	v_cmp_eq_u32_e32 vcc_lo, s43, v14
	s_wait_alu 0xfffd
	v_cndmask_b32_e32 v14, v18, v15, vcc_lo
	v_add_co_u32 v15, vcc_lo, v10, 1
	s_wait_alu 0xfffd
	v_add_co_ci_u32_e64 v18, null, 0, v12, vcc_lo
	v_cmp_eq_u32_e32 vcc_lo, s43, v8
	s_wait_alu 0xfffd
	v_cndmask_b32_e32 v5, v19, v5, vcc_lo
	v_cmp_ne_u32_e32 vcc_lo, 0, v14
	s_delay_alu instid0(VALU_DEP_2) | instskip(SKIP_3) | instid1(VALU_DEP_1)
	v_cmp_ne_u32_e64 s2, 0, v5
	s_wait_alu 0xfffd
	v_dual_cndmask_b32 v8, v18, v17 :: v_dual_cndmask_b32 v5, v15, v16
	s_wait_alu 0xf1ff
	v_cndmask_b32_e64 v8, v12, v8, s2
	s_delay_alu instid0(VALU_DEP_2) | instskip(NEXT) | instid1(VALU_DEP_2)
	v_cndmask_b32_e64 v5, v10, v5, s2
	v_xor_b32_e32 v8, v8, v3
	s_delay_alu instid0(VALU_DEP_2) | instskip(NEXT) | instid1(VALU_DEP_1)
	v_xor_b32_e32 v5, v5, v3
	v_sub_co_u32 v15, vcc_lo, v5, v3
	s_wait_alu 0xfffd
	s_delay_alu instid0(VALU_DEP_3)
	v_sub_co_ci_u32_e64 v16, null, v8, v3, vcc_lo
.LBB40_36:                              ;   in Loop: Header=BB40_22 Depth=2
	s_wait_alu 0xfffe
	s_and_not1_saveexec_b32 s2, s27
	s_cbranch_execz .LBB40_38
; %bb.37:                               ;   in Loop: Header=BB40_22 Depth=2
	v_cvt_f32_u32_e32 v3, s36
	s_sub_co_i32 s18, 0, s36
	v_mov_b32_e32 v16, v2
	s_delay_alu instid0(VALU_DEP_2) | instskip(NEXT) | instid1(TRANS32_DEP_1)
	v_rcp_iflag_f32_e32 v3, v3
	v_mul_f32_e32 v3, 0x4f7ffffe, v3
	s_delay_alu instid0(VALU_DEP_1) | instskip(SKIP_1) | instid1(VALU_DEP_1)
	v_cvt_u32_f32_e32 v3, v3
	s_wait_alu 0xfffe
	v_mul_lo_u32 v5, s18, v3
	s_delay_alu instid0(VALU_DEP_1) | instskip(NEXT) | instid1(VALU_DEP_1)
	v_mul_hi_u32 v5, v3, v5
	v_add_nc_u32_e32 v3, v3, v5
	s_delay_alu instid0(VALU_DEP_1) | instskip(NEXT) | instid1(VALU_DEP_1)
	v_mul_hi_u32 v3, v13, v3
	v_mul_lo_u32 v5, v3, s36
	s_delay_alu instid0(VALU_DEP_1) | instskip(NEXT) | instid1(VALU_DEP_1)
	v_sub_nc_u32_e32 v5, v13, v5
	v_subrev_nc_u32_e32 v10, s36, v5
	v_cmp_le_u32_e32 vcc_lo, s36, v5
	s_wait_alu 0xfffd
	s_delay_alu instid0(VALU_DEP_2) | instskip(NEXT) | instid1(VALU_DEP_1)
	v_dual_cndmask_b32 v5, v5, v10 :: v_dual_add_nc_u32 v8, 1, v3
	v_cndmask_b32_e32 v3, v3, v8, vcc_lo
	s_delay_alu instid0(VALU_DEP_2) | instskip(NEXT) | instid1(VALU_DEP_2)
	v_cmp_le_u32_e32 vcc_lo, s36, v5
	v_add_nc_u32_e32 v8, 1, v3
	s_wait_alu 0xfffd
	s_delay_alu instid0(VALU_DEP_1)
	v_cndmask_b32_e32 v15, v3, v8, vcc_lo
.LBB40_38:                              ;   in Loop: Header=BB40_22 Depth=2
	s_wait_alu 0xfffe
	s_or_b32 exec_lo, exec_lo, s2
	s_add_co_i32 s18, s26, 3
	s_add_nc_u64 s[40:41], s[0:1], s[40:41]
	s_wait_alu 0xfffe
	s_lshl_b64 s[42:43], s[18:19], 2
                                        ; implicit-def: $vgpr17_vgpr18
	s_mov_b32 s2, exec_lo
	s_wait_alu 0xfffe
	s_add_nc_u64 s[38:39], s[10:11], s[42:43]
	s_clause 0x1
	s_load_b32 s35, s[40:41], 0x6c
	s_load_b32 s38, s[38:39], 0x8
	s_wait_kmcnt 0x0
	s_ashr_i32 s39, s38, 31
	s_wait_alu 0xfffe
	v_or_b32_e32 v3, s39, v16
	s_delay_alu instid0(VALU_DEP_1)
	v_cmpx_ne_u64_e32 0, v[2:3]
	s_xor_b32 s27, exec_lo, s2
	s_cbranch_execz .LBB40_40
; %bb.39:                               ;   in Loop: Header=BB40_22 Depth=2
	s_ashr_i32 s40, s39, 31
	v_ashrrev_i32_e32 v3, 31, v16
	s_wait_alu 0xfffe
	s_mov_b32 s41, s40
	s_wait_alu 0xfffe
	s_add_nc_u64 s[44:45], s[38:39], s[40:41]
	v_add_co_u32 v5, vcc_lo, v15, v3
	s_wait_alu 0xfffe
	s_xor_b64 s[44:45], s[44:45], s[40:41]
	s_wait_alu 0xfffd
	v_add_co_ci_u32_e64 v8, null, v16, v3, vcc_lo
	s_wait_alu 0xfffe
	s_cvt_f32_u32 s2, s44
	s_cvt_f32_u32 s18, s45
	s_sub_nc_u64 s[48:49], 0, s[44:45]
	v_xor_b32_e32 v5, v5, v3
	v_xor_b32_e32 v8, v8, v3
	s_wait_alu 0xfffe
	s_fmamk_f32 s2, s18, 0x4f800000, s2
	v_xor_b32_e32 v3, s40, v3
	s_wait_alu 0xfffe
	s_delay_alu instid0(SALU_CYCLE_1) | instskip(NEXT) | instid1(TRANS32_DEP_1)
	v_s_rcp_f32 s2, s2
	s_mul_f32 s2, s2, 0x5f7ffffc
	s_wait_alu 0xfffe
	s_delay_alu instid0(SALU_CYCLE_2) | instskip(SKIP_1) | instid1(SALU_CYCLE_2)
	s_mul_f32 s18, s2, 0x2f800000
	s_wait_alu 0xfffe
	s_trunc_f32 s18, s18
	s_wait_alu 0xfffe
	s_delay_alu instid0(SALU_CYCLE_2) | instskip(SKIP_2) | instid1(SALU_CYCLE_1)
	s_fmamk_f32 s2, s18, 0xcf800000, s2
	s_cvt_u32_f32 s47, s18
	s_wait_alu 0xfffe
	s_cvt_u32_f32 s46, s2
	s_wait_alu 0xfffe
	s_delay_alu instid0(SALU_CYCLE_2)
	s_mul_u64 s[50:51], s[48:49], s[46:47]
	s_wait_alu 0xfffe
	s_mul_hi_u32 s59, s46, s51
	s_mul_i32 s58, s46, s51
	s_mul_hi_u32 s18, s46, s50
	s_mul_i32 s37, s47, s50
	s_wait_alu 0xfffe
	s_add_nc_u64 s[58:59], s[18:19], s[58:59]
	s_mul_hi_u32 s2, s47, s50
	s_mul_hi_u32 s39, s47, s51
	s_add_co_u32 s18, s58, s37
	s_wait_alu 0xfffe
	s_add_co_ci_u32 s18, s59, s2
	s_mul_i32 s50, s47, s51
	s_add_co_ci_u32 s51, s39, 0
	s_wait_alu 0xfffe
	s_add_nc_u64 s[50:51], s[18:19], s[50:51]
	s_wait_alu 0xfffe
	s_add_co_u32 s46, s46, s50
	s_cselect_b32 s2, -1, 0
	s_wait_alu 0xfffe
	s_cmp_lg_u32 s2, 0
	s_add_co_ci_u32 s47, s47, s51
	s_wait_alu 0xfffe
	s_mul_u64 s[48:49], s[48:49], s[46:47]
	s_wait_alu 0xfffe
	s_mul_hi_u32 s51, s46, s49
	s_mul_i32 s50, s46, s49
	s_mul_hi_u32 s18, s46, s48
	s_mul_i32 s37, s47, s48
	s_wait_alu 0xfffe
	s_add_nc_u64 s[50:51], s[18:19], s[50:51]
	s_mul_hi_u32 s2, s47, s48
	s_mul_hi_u32 s39, s47, s49
	s_wait_alu 0xfffe
	s_add_co_u32 s18, s50, s37
	s_add_co_ci_u32 s18, s51, s2
	s_mul_i32 s48, s47, s49
	s_add_co_ci_u32 s49, s39, 0
	s_wait_alu 0xfffe
	s_add_nc_u64 s[48:49], s[18:19], s[48:49]
	s_wait_alu 0xfffe
	s_add_co_u32 s2, s46, s48
	s_cselect_b32 s18, -1, 0
	s_wait_alu 0xfffe
	v_mul_hi_u32 v10, v5, s2
	s_cmp_lg_u32 s18, 0
	v_mad_co_u64_u32 v[18:19], null, v8, s2, 0
	s_add_co_ci_u32 s18, s47, s49
	s_wait_alu 0xfffe
	v_mad_co_u64_u32 v[16:17], null, v5, s18, 0
	v_mad_co_u64_u32 v[20:21], null, v8, s18, 0
	s_delay_alu instid0(VALU_DEP_2) | instskip(SKIP_1) | instid1(VALU_DEP_3)
	v_add_co_u32 v10, vcc_lo, v10, v16
	s_wait_alu 0xfffd
	v_add_co_ci_u32_e64 v12, null, 0, v17, vcc_lo
	s_delay_alu instid0(VALU_DEP_2) | instskip(SKIP_1) | instid1(VALU_DEP_2)
	v_add_co_u32 v10, vcc_lo, v10, v18
	s_wait_alu 0xfffd
	v_add_co_ci_u32_e32 v10, vcc_lo, v12, v19, vcc_lo
	s_wait_alu 0xfffd
	v_add_co_ci_u32_e32 v12, vcc_lo, 0, v21, vcc_lo
	s_delay_alu instid0(VALU_DEP_2) | instskip(SKIP_1) | instid1(VALU_DEP_2)
	v_add_co_u32 v10, vcc_lo, v10, v20
	s_wait_alu 0xfffd
	v_add_co_ci_u32_e64 v12, null, 0, v12, vcc_lo
	s_delay_alu instid0(VALU_DEP_2) | instskip(SKIP_1) | instid1(VALU_DEP_3)
	v_mul_lo_u32 v14, s45, v10
	v_mad_co_u64_u32 v[16:17], null, s44, v10, 0
	v_mul_lo_u32 v18, s44, v12
	s_delay_alu instid0(VALU_DEP_2) | instskip(NEXT) | instid1(VALU_DEP_2)
	v_sub_co_u32 v5, vcc_lo, v5, v16
	v_add3_u32 v14, v17, v18, v14
	s_delay_alu instid0(VALU_DEP_1) | instskip(SKIP_2) | instid1(VALU_DEP_2)
	v_sub_nc_u32_e32 v17, v8, v14
	s_wait_alu 0xfffd
	v_sub_co_ci_u32_e64 v8, null, v8, v14, vcc_lo
	v_subrev_co_ci_u32_e64 v16, null, s45, v17, vcc_lo
	v_add_co_u32 v17, s2, v10, 2
	s_wait_alu 0xf1ff
	v_add_co_ci_u32_e64 v18, null, 0, v12, s2
	v_sub_co_u32 v19, s2, v5, s44
	s_wait_alu 0xf1ff
	v_subrev_co_ci_u32_e64 v16, null, 0, v16, s2
	s_delay_alu instid0(VALU_DEP_2) | instskip(SKIP_2) | instid1(VALU_DEP_3)
	v_cmp_le_u32_e32 vcc_lo, s44, v19
	s_wait_alu 0xfffd
	v_cndmask_b32_e64 v14, 0, -1, vcc_lo
	v_cmp_le_u32_e32 vcc_lo, s45, v16
	s_wait_alu 0xfffd
	v_cndmask_b32_e64 v19, 0, -1, vcc_lo
	;; [unrolled: 3-line block ×4, first 2 shown]
	v_cmp_eq_u32_e32 vcc_lo, s45, v16
	s_wait_alu 0xfffd
	v_cndmask_b32_e32 v14, v19, v14, vcc_lo
	v_add_co_u32 v16, vcc_lo, v10, 1
	s_wait_alu 0xfffd
	v_add_co_ci_u32_e64 v19, null, 0, v12, vcc_lo
	v_cmp_eq_u32_e32 vcc_lo, s45, v8
	s_wait_alu 0xfffd
	v_cndmask_b32_e32 v5, v20, v5, vcc_lo
	v_cmp_ne_u32_e32 vcc_lo, 0, v14
	s_delay_alu instid0(VALU_DEP_2) | instskip(SKIP_3) | instid1(VALU_DEP_1)
	v_cmp_ne_u32_e64 s2, 0, v5
	s_wait_alu 0xfffd
	v_dual_cndmask_b32 v8, v19, v18 :: v_dual_cndmask_b32 v5, v16, v17
	s_wait_alu 0xf1ff
	v_cndmask_b32_e64 v8, v12, v8, s2
	s_delay_alu instid0(VALU_DEP_2) | instskip(NEXT) | instid1(VALU_DEP_2)
	v_cndmask_b32_e64 v5, v10, v5, s2
	v_xor_b32_e32 v8, v8, v3
	s_delay_alu instid0(VALU_DEP_2) | instskip(NEXT) | instid1(VALU_DEP_1)
	v_xor_b32_e32 v5, v5, v3
	v_sub_co_u32 v17, vcc_lo, v5, v3
	s_wait_alu 0xfffd
	s_delay_alu instid0(VALU_DEP_3)
	v_sub_co_ci_u32_e64 v18, null, v8, v3, vcc_lo
.LBB40_40:                              ;   in Loop: Header=BB40_22 Depth=2
	s_wait_alu 0xfffe
	s_and_not1_saveexec_b32 s2, s27
	s_cbranch_execz .LBB40_42
; %bb.41:                               ;   in Loop: Header=BB40_22 Depth=2
	v_cvt_f32_u32_e32 v3, s38
	s_sub_co_i32 s18, 0, s38
	v_mov_b32_e32 v18, v2
	s_delay_alu instid0(VALU_DEP_2) | instskip(NEXT) | instid1(TRANS32_DEP_1)
	v_rcp_iflag_f32_e32 v3, v3
	v_mul_f32_e32 v3, 0x4f7ffffe, v3
	s_delay_alu instid0(VALU_DEP_1) | instskip(SKIP_1) | instid1(VALU_DEP_1)
	v_cvt_u32_f32_e32 v3, v3
	s_wait_alu 0xfffe
	v_mul_lo_u32 v5, s18, v3
	s_delay_alu instid0(VALU_DEP_1) | instskip(NEXT) | instid1(VALU_DEP_1)
	v_mul_hi_u32 v5, v3, v5
	v_add_nc_u32_e32 v3, v3, v5
	s_delay_alu instid0(VALU_DEP_1) | instskip(NEXT) | instid1(VALU_DEP_1)
	v_mul_hi_u32 v3, v15, v3
	v_mul_lo_u32 v5, v3, s38
	s_delay_alu instid0(VALU_DEP_1) | instskip(NEXT) | instid1(VALU_DEP_1)
	v_sub_nc_u32_e32 v5, v15, v5
	v_subrev_nc_u32_e32 v10, s38, v5
	v_cmp_le_u32_e32 vcc_lo, s38, v5
	s_wait_alu 0xfffd
	s_delay_alu instid0(VALU_DEP_2) | instskip(NEXT) | instid1(VALU_DEP_1)
	v_dual_cndmask_b32 v5, v5, v10 :: v_dual_add_nc_u32 v8, 1, v3
	v_cndmask_b32_e32 v3, v3, v8, vcc_lo
	s_delay_alu instid0(VALU_DEP_2) | instskip(NEXT) | instid1(VALU_DEP_2)
	v_cmp_le_u32_e32 vcc_lo, s38, v5
	v_add_nc_u32_e32 v8, 1, v3
	s_wait_alu 0xfffd
	s_delay_alu instid0(VALU_DEP_1)
	v_cndmask_b32_e32 v17, v3, v8, vcc_lo
.LBB40_42:                              ;   in Loop: Header=BB40_22 Depth=2
	s_wait_alu 0xfffe
	s_or_b32 exec_lo, exec_lo, s2
	s_add_co_i32 s18, s26, 2
	s_add_nc_u64 s[42:43], s[0:1], s[42:43]
	s_wait_alu 0xfffe
	s_lshl_b64 s[44:45], s[18:19], 2
                                        ; implicit-def: $vgpr19_vgpr20
	s_mov_b32 s2, exec_lo
	s_wait_alu 0xfffe
	s_add_nc_u64 s[40:41], s[10:11], s[44:45]
	s_clause 0x1
	s_load_b32 s37, s[42:43], 0x6c
	s_load_b32 s40, s[40:41], 0x8
	s_wait_kmcnt 0x0
	s_ashr_i32 s41, s40, 31
	s_wait_alu 0xfffe
	v_or_b32_e32 v3, s41, v18
	s_delay_alu instid0(VALU_DEP_1)
	v_cmpx_ne_u64_e32 0, v[2:3]
	s_xor_b32 s27, exec_lo, s2
	s_cbranch_execz .LBB40_44
; %bb.43:                               ;   in Loop: Header=BB40_22 Depth=2
	s_ashr_i32 s42, s41, 31
	v_ashrrev_i32_e32 v3, 31, v18
	s_wait_alu 0xfffe
	s_mov_b32 s43, s42
	s_wait_alu 0xfffe
	s_add_nc_u64 s[46:47], s[40:41], s[42:43]
	v_add_co_u32 v5, vcc_lo, v17, v3
	s_wait_alu 0xfffe
	s_xor_b64 s[46:47], s[46:47], s[42:43]
	s_wait_alu 0xfffd
	v_add_co_ci_u32_e64 v8, null, v18, v3, vcc_lo
	s_wait_alu 0xfffe
	s_cvt_f32_u32 s2, s46
	s_cvt_f32_u32 s18, s47
	s_sub_nc_u64 s[50:51], 0, s[46:47]
	v_xor_b32_e32 v5, v5, v3
	v_xor_b32_e32 v8, v8, v3
	s_wait_alu 0xfffe
	s_fmamk_f32 s2, s18, 0x4f800000, s2
	v_xor_b32_e32 v3, s42, v3
	s_wait_alu 0xfffe
	s_delay_alu instid0(SALU_CYCLE_1) | instskip(NEXT) | instid1(TRANS32_DEP_1)
	v_s_rcp_f32 s2, s2
	s_mul_f32 s2, s2, 0x5f7ffffc
	s_wait_alu 0xfffe
	s_delay_alu instid0(SALU_CYCLE_2) | instskip(SKIP_1) | instid1(SALU_CYCLE_2)
	s_mul_f32 s18, s2, 0x2f800000
	s_wait_alu 0xfffe
	s_trunc_f32 s18, s18
	s_wait_alu 0xfffe
	s_delay_alu instid0(SALU_CYCLE_2) | instskip(SKIP_2) | instid1(SALU_CYCLE_1)
	s_fmamk_f32 s2, s18, 0xcf800000, s2
	s_cvt_u32_f32 s49, s18
	s_wait_alu 0xfffe
	s_cvt_u32_f32 s48, s2
	s_wait_alu 0xfffe
	s_delay_alu instid0(SALU_CYCLE_2) | instskip(NEXT) | instid1(SALU_CYCLE_1)
	s_mul_u64 s[58:59], s[50:51], s[48:49]
	s_mul_hi_u32 s61, s48, s59
	s_mul_i32 s60, s48, s59
	s_mul_hi_u32 s18, s48, s58
	s_mul_i32 s39, s49, s58
	s_wait_alu 0xfffe
	s_add_nc_u64 s[60:61], s[18:19], s[60:61]
	s_mul_hi_u32 s2, s49, s58
	s_mul_hi_u32 s41, s49, s59
	s_add_co_u32 s18, s60, s39
	s_wait_alu 0xfffe
	s_add_co_ci_u32 s18, s61, s2
	s_mul_i32 s58, s49, s59
	s_add_co_ci_u32 s59, s41, 0
	s_wait_alu 0xfffe
	s_add_nc_u64 s[58:59], s[18:19], s[58:59]
	s_delay_alu instid0(SALU_CYCLE_1)
	s_add_co_u32 s48, s48, s58
	s_cselect_b32 s2, -1, 0
	s_wait_alu 0xfffe
	s_cmp_lg_u32 s2, 0
	s_add_co_ci_u32 s49, s49, s59
	s_wait_alu 0xfffe
	s_mul_u64 s[50:51], s[50:51], s[48:49]
	s_wait_alu 0xfffe
	s_mul_hi_u32 s59, s48, s51
	s_mul_i32 s58, s48, s51
	s_mul_hi_u32 s18, s48, s50
	s_mul_i32 s39, s49, s50
	s_wait_alu 0xfffe
	s_add_nc_u64 s[58:59], s[18:19], s[58:59]
	s_mul_hi_u32 s2, s49, s50
	s_mul_hi_u32 s41, s49, s51
	s_add_co_u32 s18, s58, s39
	s_wait_alu 0xfffe
	s_add_co_ci_u32 s18, s59, s2
	s_mul_i32 s50, s49, s51
	s_add_co_ci_u32 s51, s41, 0
	s_wait_alu 0xfffe
	s_add_nc_u64 s[50:51], s[18:19], s[50:51]
	s_wait_alu 0xfffe
	s_add_co_u32 s2, s48, s50
	s_cselect_b32 s18, -1, 0
	s_wait_alu 0xfffe
	v_mul_hi_u32 v10, v5, s2
	s_cmp_lg_u32 s18, 0
	v_mad_co_u64_u32 v[20:21], null, v8, s2, 0
	s_add_co_ci_u32 s18, s49, s51
	s_wait_alu 0xfffe
	v_mad_co_u64_u32 v[18:19], null, v5, s18, 0
	v_mad_co_u64_u32 v[22:23], null, v8, s18, 0
	s_delay_alu instid0(VALU_DEP_2) | instskip(SKIP_1) | instid1(VALU_DEP_3)
	v_add_co_u32 v10, vcc_lo, v10, v18
	s_wait_alu 0xfffd
	v_add_co_ci_u32_e64 v12, null, 0, v19, vcc_lo
	s_delay_alu instid0(VALU_DEP_2) | instskip(SKIP_1) | instid1(VALU_DEP_2)
	v_add_co_u32 v10, vcc_lo, v10, v20
	s_wait_alu 0xfffd
	v_add_co_ci_u32_e32 v10, vcc_lo, v12, v21, vcc_lo
	s_wait_alu 0xfffd
	v_add_co_ci_u32_e32 v12, vcc_lo, 0, v23, vcc_lo
	s_delay_alu instid0(VALU_DEP_2) | instskip(SKIP_1) | instid1(VALU_DEP_2)
	v_add_co_u32 v10, vcc_lo, v10, v22
	s_wait_alu 0xfffd
	v_add_co_ci_u32_e64 v12, null, 0, v12, vcc_lo
	s_delay_alu instid0(VALU_DEP_2) | instskip(SKIP_1) | instid1(VALU_DEP_3)
	v_mul_lo_u32 v14, s47, v10
	v_mad_co_u64_u32 v[18:19], null, s46, v10, 0
	v_mul_lo_u32 v16, s46, v12
	s_delay_alu instid0(VALU_DEP_2) | instskip(NEXT) | instid1(VALU_DEP_2)
	v_sub_co_u32 v5, vcc_lo, v5, v18
	v_add3_u32 v14, v19, v16, v14
	v_add_co_u32 v18, s2, v10, 2
	s_wait_alu 0xf1ff
	v_add_co_ci_u32_e64 v19, null, 0, v12, s2
	s_delay_alu instid0(VALU_DEP_3) | instskip(SKIP_3) | instid1(VALU_DEP_3)
	v_sub_nc_u32_e32 v16, v8, v14
	v_sub_co_u32 v20, s2, v5, s46
	s_wait_alu 0xfffd
	v_sub_co_ci_u32_e64 v8, null, v8, v14, vcc_lo
	v_subrev_co_ci_u32_e64 v16, null, s47, v16, vcc_lo
	s_delay_alu instid0(VALU_DEP_3) | instskip(SKIP_1) | instid1(VALU_DEP_2)
	v_cmp_le_u32_e32 vcc_lo, s46, v20
	s_wait_alu 0xf1ff
	v_subrev_co_ci_u32_e64 v16, null, 0, v16, s2
	s_wait_alu 0xfffd
	v_cndmask_b32_e64 v14, 0, -1, vcc_lo
	s_delay_alu instid0(VALU_DEP_2)
	v_cmp_le_u32_e32 vcc_lo, s47, v16
	s_wait_alu 0xfffd
	v_cndmask_b32_e64 v20, 0, -1, vcc_lo
	v_cmp_le_u32_e32 vcc_lo, s46, v5
	s_wait_alu 0xfffd
	v_cndmask_b32_e64 v5, 0, -1, vcc_lo
	;; [unrolled: 3-line block ×3, first 2 shown]
	v_cmp_eq_u32_e32 vcc_lo, s47, v16
	s_wait_alu 0xfffd
	v_cndmask_b32_e32 v14, v20, v14, vcc_lo
	v_add_co_u32 v16, vcc_lo, v10, 1
	s_wait_alu 0xfffd
	v_add_co_ci_u32_e64 v20, null, 0, v12, vcc_lo
	v_cmp_eq_u32_e32 vcc_lo, s47, v8
	s_wait_alu 0xfffd
	v_cndmask_b32_e32 v5, v21, v5, vcc_lo
	v_cmp_ne_u32_e32 vcc_lo, 0, v14
	s_delay_alu instid0(VALU_DEP_2) | instskip(SKIP_4) | instid1(VALU_DEP_2)
	v_cmp_ne_u32_e64 s2, 0, v5
	s_wait_alu 0xfffd
	v_cndmask_b32_e32 v5, v16, v18, vcc_lo
	v_cndmask_b32_e32 v8, v20, v19, vcc_lo
	s_wait_alu 0xf1ff
	v_cndmask_b32_e64 v5, v10, v5, s2
	s_delay_alu instid0(VALU_DEP_2) | instskip(NEXT) | instid1(VALU_DEP_2)
	v_cndmask_b32_e64 v8, v12, v8, s2
	v_xor_b32_e32 v5, v5, v3
	s_delay_alu instid0(VALU_DEP_2) | instskip(NEXT) | instid1(VALU_DEP_2)
	v_xor_b32_e32 v8, v8, v3
	v_sub_co_u32 v19, vcc_lo, v5, v3
	s_wait_alu 0xfffd
	s_delay_alu instid0(VALU_DEP_2)
	v_sub_co_ci_u32_e64 v20, null, v8, v3, vcc_lo
.LBB40_44:                              ;   in Loop: Header=BB40_22 Depth=2
	s_wait_alu 0xfffe
	s_and_not1_saveexec_b32 s2, s27
	s_cbranch_execz .LBB40_46
; %bb.45:                               ;   in Loop: Header=BB40_22 Depth=2
	v_cvt_f32_u32_e32 v3, s40
	s_sub_co_i32 s18, 0, s40
	v_mov_b32_e32 v20, v2
	s_delay_alu instid0(VALU_DEP_2) | instskip(NEXT) | instid1(TRANS32_DEP_1)
	v_rcp_iflag_f32_e32 v3, v3
	v_mul_f32_e32 v3, 0x4f7ffffe, v3
	s_delay_alu instid0(VALU_DEP_1) | instskip(SKIP_1) | instid1(VALU_DEP_1)
	v_cvt_u32_f32_e32 v3, v3
	s_wait_alu 0xfffe
	v_mul_lo_u32 v5, s18, v3
	s_delay_alu instid0(VALU_DEP_1) | instskip(NEXT) | instid1(VALU_DEP_1)
	v_mul_hi_u32 v5, v3, v5
	v_add_nc_u32_e32 v3, v3, v5
	s_delay_alu instid0(VALU_DEP_1) | instskip(NEXT) | instid1(VALU_DEP_1)
	v_mul_hi_u32 v3, v17, v3
	v_mul_lo_u32 v5, v3, s40
	s_delay_alu instid0(VALU_DEP_1) | instskip(NEXT) | instid1(VALU_DEP_1)
	v_sub_nc_u32_e32 v5, v17, v5
	v_subrev_nc_u32_e32 v10, s40, v5
	v_cmp_le_u32_e32 vcc_lo, s40, v5
	s_wait_alu 0xfffd
	s_delay_alu instid0(VALU_DEP_2) | instskip(NEXT) | instid1(VALU_DEP_1)
	v_dual_cndmask_b32 v5, v5, v10 :: v_dual_add_nc_u32 v8, 1, v3
	v_cndmask_b32_e32 v3, v3, v8, vcc_lo
	s_delay_alu instid0(VALU_DEP_2) | instskip(NEXT) | instid1(VALU_DEP_2)
	v_cmp_le_u32_e32 vcc_lo, s40, v5
	v_add_nc_u32_e32 v8, 1, v3
	s_wait_alu 0xfffd
	s_delay_alu instid0(VALU_DEP_1)
	v_cndmask_b32_e32 v19, v3, v8, vcc_lo
.LBB40_46:                              ;   in Loop: Header=BB40_22 Depth=2
	s_wait_alu 0xfffe
	s_or_b32 exec_lo, exec_lo, s2
	s_add_co_i32 s18, s26, 1
	s_add_nc_u64 s[44:45], s[0:1], s[44:45]
	s_wait_alu 0xfffe
	s_lshl_b64 s[48:49], s[18:19], 2
                                        ; implicit-def: $vgpr21_vgpr22
	s_mov_b32 s2, exec_lo
	s_wait_alu 0xfffe
	s_add_nc_u64 s[42:43], s[10:11], s[48:49]
	s_clause 0x1
	s_load_b32 s39, s[44:45], 0x6c
	s_load_b32 s42, s[42:43], 0x8
	s_wait_kmcnt 0x0
	s_ashr_i32 s43, s42, 31
	s_wait_alu 0xfffe
	v_or_b32_e32 v3, s43, v20
	s_delay_alu instid0(VALU_DEP_1)
	v_cmpx_ne_u64_e32 0, v[2:3]
	s_xor_b32 s27, exec_lo, s2
	s_cbranch_execz .LBB40_48
; %bb.47:                               ;   in Loop: Header=BB40_22 Depth=2
	s_ashr_i32 s44, s43, 31
	v_ashrrev_i32_e32 v3, 31, v20
	s_wait_alu 0xfffe
	s_mov_b32 s45, s44
	s_wait_alu 0xfffe
	s_add_nc_u64 s[46:47], s[42:43], s[44:45]
	v_add_co_u32 v5, vcc_lo, v19, v3
	s_wait_alu 0xfffe
	s_xor_b64 s[46:47], s[46:47], s[44:45]
	s_wait_alu 0xfffd
	v_add_co_ci_u32_e64 v8, null, v20, v3, vcc_lo
	s_wait_alu 0xfffe
	s_cvt_f32_u32 s2, s46
	s_cvt_f32_u32 s18, s47
	s_sub_nc_u64 s[58:59], 0, s[46:47]
	v_xor_b32_e32 v5, v5, v3
	v_xor_b32_e32 v8, v8, v3
	s_wait_alu 0xfffe
	s_fmamk_f32 s2, s18, 0x4f800000, s2
	v_xor_b32_e32 v3, s44, v3
	s_wait_alu 0xfffe
	s_delay_alu instid0(SALU_CYCLE_1) | instskip(NEXT) | instid1(TRANS32_DEP_1)
	v_s_rcp_f32 s2, s2
	s_mul_f32 s2, s2, 0x5f7ffffc
	s_wait_alu 0xfffe
	s_delay_alu instid0(SALU_CYCLE_2) | instskip(SKIP_1) | instid1(SALU_CYCLE_2)
	s_mul_f32 s18, s2, 0x2f800000
	s_wait_alu 0xfffe
	s_trunc_f32 s18, s18
	s_wait_alu 0xfffe
	s_delay_alu instid0(SALU_CYCLE_2) | instskip(SKIP_2) | instid1(SALU_CYCLE_1)
	s_fmamk_f32 s2, s18, 0xcf800000, s2
	s_cvt_u32_f32 s51, s18
	s_wait_alu 0xfffe
	s_cvt_u32_f32 s50, s2
	s_wait_alu 0xfffe
	s_delay_alu instid0(SALU_CYCLE_2) | instskip(NEXT) | instid1(SALU_CYCLE_1)
	s_mul_u64 s[60:61], s[58:59], s[50:51]
	s_mul_hi_u32 s63, s50, s61
	s_mul_i32 s62, s50, s61
	s_mul_hi_u32 s18, s50, s60
	s_mul_i32 s41, s51, s60
	s_wait_alu 0xfffe
	s_add_nc_u64 s[62:63], s[18:19], s[62:63]
	s_mul_hi_u32 s2, s51, s60
	s_mul_hi_u32 s43, s51, s61
	s_add_co_u32 s18, s62, s41
	s_wait_alu 0xfffe
	s_add_co_ci_u32 s18, s63, s2
	s_mul_i32 s60, s51, s61
	s_add_co_ci_u32 s61, s43, 0
	s_wait_alu 0xfffe
	s_add_nc_u64 s[60:61], s[18:19], s[60:61]
	s_delay_alu instid0(SALU_CYCLE_1)
	s_add_co_u32 s50, s50, s60
	s_cselect_b32 s2, -1, 0
	s_wait_alu 0xfffe
	s_cmp_lg_u32 s2, 0
	s_add_co_ci_u32 s51, s51, s61
	s_wait_alu 0xfffe
	s_mul_u64 s[58:59], s[58:59], s[50:51]
	s_delay_alu instid0(SALU_CYCLE_1)
	s_mul_hi_u32 s61, s50, s59
	s_mul_i32 s60, s50, s59
	s_mul_hi_u32 s18, s50, s58
	s_mul_i32 s41, s51, s58
	s_wait_alu 0xfffe
	s_add_nc_u64 s[60:61], s[18:19], s[60:61]
	s_mul_hi_u32 s2, s51, s58
	s_mul_hi_u32 s43, s51, s59
	s_add_co_u32 s18, s60, s41
	s_wait_alu 0xfffe
	s_add_co_ci_u32 s18, s61, s2
	s_mul_i32 s58, s51, s59
	s_add_co_ci_u32 s59, s43, 0
	s_wait_alu 0xfffe
	s_add_nc_u64 s[58:59], s[18:19], s[58:59]
	s_delay_alu instid0(SALU_CYCLE_1)
	s_add_co_u32 s2, s50, s58
	s_cselect_b32 s18, -1, 0
	s_wait_alu 0xfffe
	v_mul_hi_u32 v10, v5, s2
	s_cmp_lg_u32 s18, 0
	v_mad_co_u64_u32 v[22:23], null, v8, s2, 0
	s_add_co_ci_u32 s18, s51, s59
	s_wait_alu 0xfffe
	v_mad_co_u64_u32 v[20:21], null, v5, s18, 0
	v_mad_co_u64_u32 v[29:30], null, v8, s18, 0
	s_delay_alu instid0(VALU_DEP_2) | instskip(SKIP_1) | instid1(VALU_DEP_3)
	v_add_co_u32 v10, vcc_lo, v10, v20
	s_wait_alu 0xfffd
	v_add_co_ci_u32_e64 v12, null, 0, v21, vcc_lo
	s_delay_alu instid0(VALU_DEP_2) | instskip(SKIP_1) | instid1(VALU_DEP_2)
	v_add_co_u32 v10, vcc_lo, v10, v22
	s_wait_alu 0xfffd
	v_add_co_ci_u32_e32 v10, vcc_lo, v12, v23, vcc_lo
	s_wait_alu 0xfffd
	v_add_co_ci_u32_e32 v12, vcc_lo, 0, v30, vcc_lo
	s_delay_alu instid0(VALU_DEP_2) | instskip(SKIP_1) | instid1(VALU_DEP_2)
	v_add_co_u32 v10, vcc_lo, v10, v29
	s_wait_alu 0xfffd
	v_add_co_ci_u32_e64 v12, null, 0, v12, vcc_lo
	s_delay_alu instid0(VALU_DEP_2) | instskip(SKIP_1) | instid1(VALU_DEP_3)
	v_mul_lo_u32 v14, s47, v10
	v_mad_co_u64_u32 v[20:21], null, s46, v10, 0
	v_mul_lo_u32 v16, s46, v12
	v_add_co_u32 v18, s2, v10, 2
	s_delay_alu instid0(VALU_DEP_3) | instskip(NEXT) | instid1(VALU_DEP_3)
	v_sub_co_u32 v5, vcc_lo, v5, v20
	v_add3_u32 v14, v21, v16, v14
	s_wait_alu 0xf1ff
	v_add_co_ci_u32_e64 v20, null, 0, v12, s2
	s_delay_alu instid0(VALU_DEP_3) | instskip(NEXT) | instid1(VALU_DEP_3)
	v_sub_co_u32 v21, s2, v5, s46
	v_sub_nc_u32_e32 v16, v8, v14
	s_wait_alu 0xfffd
	v_sub_co_ci_u32_e64 v8, null, v8, v14, vcc_lo
	s_delay_alu instid0(VALU_DEP_2) | instskip(SKIP_2) | instid1(VALU_DEP_2)
	v_subrev_co_ci_u32_e64 v16, null, s47, v16, vcc_lo
	v_cmp_le_u32_e32 vcc_lo, s46, v21
	s_wait_alu 0xf1ff
	v_subrev_co_ci_u32_e64 v16, null, 0, v16, s2
	s_wait_alu 0xfffd
	v_cndmask_b32_e64 v14, 0, -1, vcc_lo
	s_delay_alu instid0(VALU_DEP_2)
	v_cmp_le_u32_e32 vcc_lo, s47, v16
	s_wait_alu 0xfffd
	v_cndmask_b32_e64 v21, 0, -1, vcc_lo
	v_cmp_le_u32_e32 vcc_lo, s46, v5
	s_wait_alu 0xfffd
	v_cndmask_b32_e64 v5, 0, -1, vcc_lo
	;; [unrolled: 3-line block ×3, first 2 shown]
	v_cmp_eq_u32_e32 vcc_lo, s47, v16
	s_wait_alu 0xfffd
	v_cndmask_b32_e32 v14, v21, v14, vcc_lo
	v_add_co_u32 v16, vcc_lo, v10, 1
	s_wait_alu 0xfffd
	v_add_co_ci_u32_e64 v21, null, 0, v12, vcc_lo
	v_cmp_eq_u32_e32 vcc_lo, s47, v8
	s_wait_alu 0xfffd
	v_cndmask_b32_e32 v5, v22, v5, vcc_lo
	v_cmp_ne_u32_e32 vcc_lo, 0, v14
	s_delay_alu instid0(VALU_DEP_2) | instskip(SKIP_3) | instid1(VALU_DEP_1)
	v_cmp_ne_u32_e64 s2, 0, v5
	s_wait_alu 0xfffd
	v_dual_cndmask_b32 v8, v21, v20 :: v_dual_cndmask_b32 v5, v16, v18
	s_wait_alu 0xf1ff
	v_cndmask_b32_e64 v8, v12, v8, s2
	s_delay_alu instid0(VALU_DEP_2) | instskip(NEXT) | instid1(VALU_DEP_2)
	v_cndmask_b32_e64 v5, v10, v5, s2
	v_xor_b32_e32 v8, v8, v3
	s_delay_alu instid0(VALU_DEP_2) | instskip(NEXT) | instid1(VALU_DEP_1)
	v_xor_b32_e32 v5, v5, v3
	v_sub_co_u32 v21, vcc_lo, v5, v3
	s_wait_alu 0xfffd
	s_delay_alu instid0(VALU_DEP_3)
	v_sub_co_ci_u32_e64 v22, null, v8, v3, vcc_lo
.LBB40_48:                              ;   in Loop: Header=BB40_22 Depth=2
	s_wait_alu 0xfffe
	s_and_not1_saveexec_b32 s2, s27
	s_cbranch_execz .LBB40_50
; %bb.49:                               ;   in Loop: Header=BB40_22 Depth=2
	v_cvt_f32_u32_e32 v3, s42
	s_sub_co_i32 s18, 0, s42
	v_mov_b32_e32 v22, v2
	s_delay_alu instid0(VALU_DEP_2) | instskip(NEXT) | instid1(TRANS32_DEP_1)
	v_rcp_iflag_f32_e32 v3, v3
	v_mul_f32_e32 v3, 0x4f7ffffe, v3
	s_delay_alu instid0(VALU_DEP_1) | instskip(SKIP_1) | instid1(VALU_DEP_1)
	v_cvt_u32_f32_e32 v3, v3
	s_wait_alu 0xfffe
	v_mul_lo_u32 v5, s18, v3
	s_delay_alu instid0(VALU_DEP_1) | instskip(NEXT) | instid1(VALU_DEP_1)
	v_mul_hi_u32 v5, v3, v5
	v_add_nc_u32_e32 v3, v3, v5
	s_delay_alu instid0(VALU_DEP_1) | instskip(NEXT) | instid1(VALU_DEP_1)
	v_mul_hi_u32 v3, v19, v3
	v_mul_lo_u32 v5, v3, s42
	s_delay_alu instid0(VALU_DEP_1) | instskip(NEXT) | instid1(VALU_DEP_1)
	v_sub_nc_u32_e32 v5, v19, v5
	v_subrev_nc_u32_e32 v10, s42, v5
	v_cmp_le_u32_e32 vcc_lo, s42, v5
	s_wait_alu 0xfffd
	s_delay_alu instid0(VALU_DEP_2) | instskip(NEXT) | instid1(VALU_DEP_1)
	v_dual_cndmask_b32 v5, v5, v10 :: v_dual_add_nc_u32 v8, 1, v3
	v_cndmask_b32_e32 v3, v3, v8, vcc_lo
	s_delay_alu instid0(VALU_DEP_2) | instskip(NEXT) | instid1(VALU_DEP_2)
	v_cmp_le_u32_e32 vcc_lo, s42, v5
	v_add_nc_u32_e32 v8, 1, v3
	s_wait_alu 0xfffd
	s_delay_alu instid0(VALU_DEP_1)
	v_cndmask_b32_e32 v21, v3, v8, vcc_lo
.LBB40_50:                              ;   in Loop: Header=BB40_22 Depth=2
	s_wait_alu 0xfffe
	s_or_b32 exec_lo, exec_lo, s2
	s_mov_b32 s27, s19
	s_add_nc_u64 s[48:49], s[0:1], s[48:49]
	s_wait_alu 0xfffe
	s_lshl_b64 s[46:47], s[26:27], 2
                                        ; implicit-def: $vgpr23_vgpr24
	s_mov_b32 s2, exec_lo
	s_wait_alu 0xfffe
	s_add_nc_u64 s[44:45], s[10:11], s[46:47]
	s_clause 0x1
	s_load_b32 s27, s[48:49], 0x6c
	s_load_b32 s44, s[44:45], 0x8
	s_wait_kmcnt 0x0
	s_ashr_i32 s45, s44, 31
	s_wait_alu 0xfffe
	v_or_b32_e32 v3, s45, v22
	s_delay_alu instid0(VALU_DEP_1)
	v_cmpx_ne_u64_e32 0, v[2:3]
	s_xor_b32 s41, exec_lo, s2
	s_cbranch_execz .LBB40_52
; %bb.51:                               ;   in Loop: Header=BB40_22 Depth=2
	s_ashr_i32 s48, s45, 31
	v_ashrrev_i32_e32 v3, 31, v22
	s_wait_alu 0xfffe
	s_mov_b32 s49, s48
	s_wait_alu 0xfffe
	s_add_nc_u64 s[50:51], s[44:45], s[48:49]
	v_add_co_u32 v5, vcc_lo, v21, v3
	s_wait_alu 0xfffe
	s_xor_b64 s[50:51], s[50:51], s[48:49]
	s_wait_alu 0xfffd
	v_add_co_ci_u32_e64 v8, null, v22, v3, vcc_lo
	s_wait_alu 0xfffe
	s_cvt_f32_u32 s2, s50
	s_cvt_f32_u32 s18, s51
	s_sub_nc_u64 s[60:61], 0, s[50:51]
	v_xor_b32_e32 v5, v5, v3
	v_xor_b32_e32 v8, v8, v3
	s_wait_alu 0xfffe
	s_fmamk_f32 s2, s18, 0x4f800000, s2
	v_xor_b32_e32 v3, s48, v3
	s_wait_alu 0xfffe
	s_delay_alu instid0(SALU_CYCLE_1) | instskip(NEXT) | instid1(TRANS32_DEP_1)
	v_s_rcp_f32 s2, s2
	s_mul_f32 s2, s2, 0x5f7ffffc
	s_wait_alu 0xfffe
	s_delay_alu instid0(SALU_CYCLE_2) | instskip(SKIP_1) | instid1(SALU_CYCLE_2)
	s_mul_f32 s18, s2, 0x2f800000
	s_wait_alu 0xfffe
	s_trunc_f32 s18, s18
	s_wait_alu 0xfffe
	s_delay_alu instid0(SALU_CYCLE_2) | instskip(SKIP_2) | instid1(SALU_CYCLE_1)
	s_fmamk_f32 s2, s18, 0xcf800000, s2
	s_cvt_u32_f32 s59, s18
	s_wait_alu 0xfffe
	s_cvt_u32_f32 s58, s2
	s_delay_alu instid0(SALU_CYCLE_3) | instskip(NEXT) | instid1(SALU_CYCLE_1)
	s_mul_u64 s[62:63], s[60:61], s[58:59]
	s_mul_hi_u32 s65, s58, s63
	s_mul_i32 s64, s58, s63
	s_mul_hi_u32 s18, s58, s62
	s_mul_i32 s43, s59, s62
	s_wait_alu 0xfffe
	s_add_nc_u64 s[64:65], s[18:19], s[64:65]
	s_mul_hi_u32 s2, s59, s62
	s_mul_hi_u32 s45, s59, s63
	s_add_co_u32 s18, s64, s43
	s_wait_alu 0xfffe
	s_add_co_ci_u32 s18, s65, s2
	s_mul_i32 s62, s59, s63
	s_add_co_ci_u32 s63, s45, 0
	s_wait_alu 0xfffe
	s_add_nc_u64 s[62:63], s[18:19], s[62:63]
	s_delay_alu instid0(SALU_CYCLE_1) | instskip(SKIP_4) | instid1(SALU_CYCLE_1)
	s_add_co_u32 s58, s58, s62
	s_cselect_b32 s2, -1, 0
	s_wait_alu 0xfffe
	s_cmp_lg_u32 s2, 0
	s_add_co_ci_u32 s59, s59, s63
	s_mul_u64 s[60:61], s[60:61], s[58:59]
	s_delay_alu instid0(SALU_CYCLE_1)
	s_mul_hi_u32 s63, s58, s61
	s_mul_i32 s62, s58, s61
	s_mul_hi_u32 s18, s58, s60
	s_mul_i32 s43, s59, s60
	s_wait_alu 0xfffe
	s_add_nc_u64 s[62:63], s[18:19], s[62:63]
	s_mul_hi_u32 s2, s59, s60
	s_mul_hi_u32 s45, s59, s61
	s_add_co_u32 s18, s62, s43
	s_wait_alu 0xfffe
	s_add_co_ci_u32 s18, s63, s2
	s_mul_i32 s60, s59, s61
	s_add_co_ci_u32 s61, s45, 0
	s_wait_alu 0xfffe
	s_add_nc_u64 s[60:61], s[18:19], s[60:61]
	s_delay_alu instid0(SALU_CYCLE_1)
	s_add_co_u32 s2, s58, s60
	s_cselect_b32 s18, -1, 0
	s_wait_alu 0xfffe
	v_mul_hi_u32 v10, v5, s2
	s_cmp_lg_u32 s18, 0
	v_mad_co_u64_u32 v[29:30], null, v8, s2, 0
	s_add_co_ci_u32 s18, s59, s61
	s_wait_alu 0xfffe
	v_mad_co_u64_u32 v[22:23], null, v5, s18, 0
	v_mad_co_u64_u32 v[31:32], null, v8, s18, 0
	s_delay_alu instid0(VALU_DEP_2) | instskip(SKIP_1) | instid1(VALU_DEP_3)
	v_add_co_u32 v10, vcc_lo, v10, v22
	s_wait_alu 0xfffd
	v_add_co_ci_u32_e64 v12, null, 0, v23, vcc_lo
	s_delay_alu instid0(VALU_DEP_2) | instskip(SKIP_1) | instid1(VALU_DEP_2)
	v_add_co_u32 v10, vcc_lo, v10, v29
	s_wait_alu 0xfffd
	v_add_co_ci_u32_e32 v10, vcc_lo, v12, v30, vcc_lo
	s_wait_alu 0xfffd
	v_add_co_ci_u32_e32 v12, vcc_lo, 0, v32, vcc_lo
	s_delay_alu instid0(VALU_DEP_2) | instskip(SKIP_1) | instid1(VALU_DEP_2)
	v_add_co_u32 v10, vcc_lo, v10, v31
	s_wait_alu 0xfffd
	v_add_co_ci_u32_e64 v12, null, 0, v12, vcc_lo
	s_delay_alu instid0(VALU_DEP_2) | instskip(SKIP_1) | instid1(VALU_DEP_3)
	v_mul_lo_u32 v14, s51, v10
	v_mad_co_u64_u32 v[22:23], null, s50, v10, 0
	v_mul_lo_u32 v16, s50, v12
	v_add_co_u32 v18, s2, v10, 2
	s_wait_alu 0xf1ff
	v_add_co_ci_u32_e64 v20, null, 0, v12, s2
	s_delay_alu instid0(VALU_DEP_4) | instskip(NEXT) | instid1(VALU_DEP_4)
	v_sub_co_u32 v5, vcc_lo, v5, v22
	v_add3_u32 v14, v23, v16, v14
	s_delay_alu instid0(VALU_DEP_2) | instskip(NEXT) | instid1(VALU_DEP_2)
	v_sub_co_u32 v22, s2, v5, s50
	v_sub_nc_u32_e32 v16, v8, v14
	s_wait_alu 0xfffd
	v_sub_co_ci_u32_e64 v8, null, v8, v14, vcc_lo
	s_delay_alu instid0(VALU_DEP_2) | instskip(SKIP_2) | instid1(VALU_DEP_2)
	v_subrev_co_ci_u32_e64 v16, null, s51, v16, vcc_lo
	v_cmp_le_u32_e32 vcc_lo, s50, v22
	s_wait_alu 0xf1ff
	v_subrev_co_ci_u32_e64 v16, null, 0, v16, s2
	s_wait_alu 0xfffd
	v_cndmask_b32_e64 v14, 0, -1, vcc_lo
	s_delay_alu instid0(VALU_DEP_2)
	v_cmp_le_u32_e32 vcc_lo, s51, v16
	s_wait_alu 0xfffd
	v_cndmask_b32_e64 v22, 0, -1, vcc_lo
	v_cmp_le_u32_e32 vcc_lo, s50, v5
	s_wait_alu 0xfffd
	v_cndmask_b32_e64 v5, 0, -1, vcc_lo
	;; [unrolled: 3-line block ×3, first 2 shown]
	v_cmp_eq_u32_e32 vcc_lo, s51, v16
	s_wait_alu 0xfffd
	v_cndmask_b32_e32 v14, v22, v14, vcc_lo
	v_add_co_u32 v16, vcc_lo, v10, 1
	s_wait_alu 0xfffd
	v_add_co_ci_u32_e64 v22, null, 0, v12, vcc_lo
	v_cmp_eq_u32_e32 vcc_lo, s51, v8
	s_wait_alu 0xfffd
	v_cndmask_b32_e32 v5, v23, v5, vcc_lo
	v_cmp_ne_u32_e32 vcc_lo, 0, v14
	s_delay_alu instid0(VALU_DEP_2) | instskip(SKIP_3) | instid1(VALU_DEP_1)
	v_cmp_ne_u32_e64 s2, 0, v5
	s_wait_alu 0xfffd
	v_dual_cndmask_b32 v8, v22, v20 :: v_dual_cndmask_b32 v5, v16, v18
	s_wait_alu 0xf1ff
	v_cndmask_b32_e64 v8, v12, v8, s2
	s_delay_alu instid0(VALU_DEP_2) | instskip(NEXT) | instid1(VALU_DEP_2)
	v_cndmask_b32_e64 v5, v10, v5, s2
	v_xor_b32_e32 v8, v8, v3
	s_delay_alu instid0(VALU_DEP_2) | instskip(NEXT) | instid1(VALU_DEP_1)
	v_xor_b32_e32 v5, v5, v3
	v_sub_co_u32 v23, vcc_lo, v5, v3
	s_wait_alu 0xfffd
	s_delay_alu instid0(VALU_DEP_3)
	v_sub_co_ci_u32_e64 v24, null, v8, v3, vcc_lo
.LBB40_52:                              ;   in Loop: Header=BB40_22 Depth=2
	s_wait_alu 0xfffe
	s_and_not1_saveexec_b32 s2, s41
	s_cbranch_execz .LBB40_54
; %bb.53:                               ;   in Loop: Header=BB40_22 Depth=2
	v_cvt_f32_u32_e32 v3, s44
	s_sub_co_i32 s18, 0, s44
	v_mov_b32_e32 v24, v2
	s_delay_alu instid0(VALU_DEP_2) | instskip(NEXT) | instid1(TRANS32_DEP_1)
	v_rcp_iflag_f32_e32 v3, v3
	v_mul_f32_e32 v3, 0x4f7ffffe, v3
	s_delay_alu instid0(VALU_DEP_1) | instskip(SKIP_1) | instid1(VALU_DEP_1)
	v_cvt_u32_f32_e32 v3, v3
	s_wait_alu 0xfffe
	v_mul_lo_u32 v5, s18, v3
	s_delay_alu instid0(VALU_DEP_1) | instskip(NEXT) | instid1(VALU_DEP_1)
	v_mul_hi_u32 v5, v3, v5
	v_add_nc_u32_e32 v3, v3, v5
	s_delay_alu instid0(VALU_DEP_1) | instskip(NEXT) | instid1(VALU_DEP_1)
	v_mul_hi_u32 v3, v21, v3
	v_mul_lo_u32 v5, v3, s44
	s_delay_alu instid0(VALU_DEP_1) | instskip(NEXT) | instid1(VALU_DEP_1)
	v_sub_nc_u32_e32 v5, v21, v5
	v_subrev_nc_u32_e32 v10, s44, v5
	v_cmp_le_u32_e32 vcc_lo, s44, v5
	s_wait_alu 0xfffd
	s_delay_alu instid0(VALU_DEP_2) | instskip(NEXT) | instid1(VALU_DEP_1)
	v_dual_cndmask_b32 v5, v5, v10 :: v_dual_add_nc_u32 v8, 1, v3
	v_cndmask_b32_e32 v3, v3, v8, vcc_lo
	s_delay_alu instid0(VALU_DEP_2) | instskip(NEXT) | instid1(VALU_DEP_2)
	v_cmp_le_u32_e32 vcc_lo, s44, v5
	v_add_nc_u32_e32 v8, 1, v3
	s_wait_alu 0xfffd
	s_delay_alu instid0(VALU_DEP_1)
	v_cndmask_b32_e32 v23, v3, v8, vcc_lo
.LBB40_54:                              ;   in Loop: Header=BB40_22 Depth=2
	s_wait_alu 0xfffe
	s_or_b32 exec_lo, exec_lo, s2
	v_mul_lo_u32 v3, v9, s28
	v_mul_lo_u32 v5, v11, s30
	;; [unrolled: 1-line block ×5, first 2 shown]
	s_add_nc_u64 s[40:41], s[0:1], s[46:47]
	v_mul_lo_u32 v12, v17, s38
	s_load_b32 s2, s[40:41], 0x6c
	v_sub_nc_u32_e32 v3, v7, v3
	v_sub_nc_u32_e32 v5, v9, v5
	;; [unrolled: 1-line block ×4, first 2 shown]
	v_mul_lo_u32 v9, v21, s42
	v_mul_lo_u32 v3, s25, v3
	;; [unrolled: 1-line block ×4, first 2 shown]
	v_sub_nc_u32_e32 v11, v15, v12
	v_sub_nc_u32_e32 v12, v17, v14
	v_mul_lo_u32 v7, s31, v7
	v_mul_lo_u32 v8, s35, v8
	s_add_co_i32 s26, s26, -8
	v_mul_lo_u32 v11, s37, v11
	v_add3_u32 v3, v3, v4, v5
	v_sub_nc_u32_e32 v4, v19, v9
	v_sub_nc_u32_e32 v5, v21, v10
	v_mul_lo_u32 v9, s39, v12
	s_wait_alu 0xfffe
	s_cmp_eq_u32 s26, -8
	v_add3_u32 v3, v7, v3, v8
	v_mul_lo_u32 v4, s27, v4
	s_wait_kmcnt 0x0
	v_mul_lo_u32 v5, s2, v5
	s_delay_alu instid0(VALU_DEP_3) | instskip(NEXT) | instid1(VALU_DEP_1)
	v_add3_u32 v3, v11, v3, v9
	v_add3_u32 v4, v4, v3, v5
	s_cbranch_scc1 .LBB40_56
; %bb.55:                               ;   in Loop: Header=BB40_22 Depth=2
	v_dual_mov_b32 v7, v23 :: v_dual_mov_b32 v8, v24
	s_branch .LBB40_22
.LBB40_56:                              ;   in Loop: Header=BB40_3 Depth=1
	s_load_b32 s2, s[12:13], 0x4
	s_wait_kmcnt 0x0
	v_cmp_gt_i32_e32 vcc_lo, s2, v28
	s_and_b32 exec_lo, exec_lo, vcc_lo
	s_cbranch_execz .LBB40_2
; %bb.57:                               ;   in Loop: Header=BB40_3 Depth=1
	v_ashrrev_i32_e32 v7, 31, v6
	s_mov_b32 s18, exec_lo
	s_delay_alu instid0(VALU_DEP_1)
	v_cmpx_lt_i64_e64 s[4:5], v[6:7]
	s_cbranch_execz .LBB40_59
; %bb.58:                               ;   in Loop: Header=BB40_3 Depth=1
	v_ashrrev_i32_e32 v5, 31, v4
	s_delay_alu instid0(VALU_DEP_1) | instskip(NEXT) | instid1(VALU_DEP_1)
	v_lshlrev_b64_e32 v[5:6], 1, v[4:5]
	v_add_co_u32 v5, vcc_lo, s16, v5
	s_wait_alu 0xfffd
	s_delay_alu instid0(VALU_DEP_2)
	v_add_co_ci_u32_e64 v6, null, s17, v6, vcc_lo
	global_store_b16 v[5:6], v2, off
.LBB40_59:                              ;   in Loop: Header=BB40_3 Depth=1
	s_wait_alu 0xfffe
	s_or_b32 exec_lo, exec_lo, s18
	v_add_nc_u32_e32 v3, 1, v28
	s_delay_alu instid0(VALU_DEP_1)
	v_cmp_gt_i32_e32 vcc_lo, s2, v3
	s_and_b32 exec_lo, exec_lo, vcc_lo
	s_cbranch_execz .LBB40_2
; %bb.60:                               ;   in Loop: Header=BB40_3 Depth=1
	v_sub_nc_u32_e32 v5, v3, v27
	s_mov_b32 s18, exec_lo
	s_delay_alu instid0(VALU_DEP_1) | instskip(NEXT) | instid1(VALU_DEP_1)
	v_ashrrev_i32_e32 v6, 31, v5
	v_cmpx_lt_i64_e64 s[4:5], v[5:6]
	s_cbranch_execz .LBB40_62
; %bb.61:                               ;   in Loop: Header=BB40_3 Depth=1
	v_add_nc_u32_e32 v5, s3, v4
	s_delay_alu instid0(VALU_DEP_1) | instskip(NEXT) | instid1(VALU_DEP_1)
	v_ashrrev_i32_e32 v6, 31, v5
	v_lshlrev_b64_e32 v[5:6], 1, v[5:6]
	s_delay_alu instid0(VALU_DEP_1) | instskip(SKIP_1) | instid1(VALU_DEP_2)
	v_add_co_u32 v5, vcc_lo, s16, v5
	s_wait_alu 0xfffd
	v_add_co_ci_u32_e64 v6, null, s17, v6, vcc_lo
	global_store_b16 v[5:6], v2, off
.LBB40_62:                              ;   in Loop: Header=BB40_3 Depth=1
	s_wait_alu 0xfffe
	s_or_b32 exec_lo, exec_lo, s18
	v_add_nc_u32_e32 v3, 2, v28
	s_delay_alu instid0(VALU_DEP_1)
	v_cmp_gt_i32_e32 vcc_lo, s2, v3
	s_and_b32 exec_lo, exec_lo, vcc_lo
	s_cbranch_execz .LBB40_2
; %bb.63:                               ;   in Loop: Header=BB40_3 Depth=1
	v_sub_nc_u32_e32 v5, v3, v27
	s_mov_b32 s18, exec_lo
	s_delay_alu instid0(VALU_DEP_1) | instskip(NEXT) | instid1(VALU_DEP_1)
	v_ashrrev_i32_e32 v6, 31, v5
	v_cmpx_lt_i64_e64 s[4:5], v[5:6]
	s_cbranch_execz .LBB40_65
; %bb.64:                               ;   in Loop: Header=BB40_3 Depth=1
	v_lshl_add_u32 v5, s3, 1, v4
	s_delay_alu instid0(VALU_DEP_1) | instskip(NEXT) | instid1(VALU_DEP_1)
	v_ashrrev_i32_e32 v6, 31, v5
	v_lshlrev_b64_e32 v[5:6], 1, v[5:6]
	s_delay_alu instid0(VALU_DEP_1) | instskip(SKIP_1) | instid1(VALU_DEP_2)
	v_add_co_u32 v5, vcc_lo, s16, v5
	s_wait_alu 0xfffd
	v_add_co_ci_u32_e64 v6, null, s17, v6, vcc_lo
	global_store_b16 v[5:6], v2, off
.LBB40_65:                              ;   in Loop: Header=BB40_3 Depth=1
	s_wait_alu 0xfffe
	s_or_b32 exec_lo, exec_lo, s18
	v_add_nc_u32_e32 v3, 3, v28
	s_delay_alu instid0(VALU_DEP_1)
	v_cmp_gt_i32_e32 vcc_lo, s2, v3
	s_and_b32 exec_lo, exec_lo, vcc_lo
	s_cbranch_execz .LBB40_2
; %bb.66:                               ;   in Loop: Header=BB40_3 Depth=1
	v_sub_nc_u32_e32 v5, v3, v27
	s_delay_alu instid0(VALU_DEP_1) | instskip(NEXT) | instid1(VALU_DEP_1)
	v_ashrrev_i32_e32 v6, 31, v5
	v_cmp_lt_i64_e32 vcc_lo, s[4:5], v[5:6]
	s_and_b32 exec_lo, exec_lo, vcc_lo
	s_cbranch_execz .LBB40_2
; %bb.67:                               ;   in Loop: Header=BB40_3 Depth=1
	v_mad_co_u64_u32 v[3:4], null, s3, 3, v[4:5]
	s_delay_alu instid0(VALU_DEP_1) | instskip(NEXT) | instid1(VALU_DEP_1)
	v_ashrrev_i32_e32 v4, 31, v3
	v_lshlrev_b64_e32 v[3:4], 1, v[3:4]
	s_delay_alu instid0(VALU_DEP_1) | instskip(SKIP_1) | instid1(VALU_DEP_2)
	v_add_co_u32 v3, vcc_lo, s16, v3
	s_wait_alu 0xfffd
	v_add_co_ci_u32_e64 v4, null, s17, v4, vcc_lo
	global_store_b16 v[3:4], v2, off
	s_branch .LBB40_2
.LBB40_68:
	s_endpgm
	.section	.rodata,"a",@progbits
	.p2align	6, 0x0
	.amdhsa_kernel _ZN2at6native16triu_tril_kernelIN3c104HalfEiLb0ELi4ELb1EEEvNS_4cuda6detail10TensorInfoIT_T0_EENS6_IKS7_S8_EEllS8_
		.amdhsa_group_segment_fixed_size 0
		.amdhsa_private_segment_fixed_size 0
		.amdhsa_kernarg_size 712
		.amdhsa_user_sgpr_count 2
		.amdhsa_user_sgpr_dispatch_ptr 0
		.amdhsa_user_sgpr_queue_ptr 0
		.amdhsa_user_sgpr_kernarg_segment_ptr 1
		.amdhsa_user_sgpr_dispatch_id 0
		.amdhsa_user_sgpr_private_segment_size 0
		.amdhsa_wavefront_size32 1
		.amdhsa_uses_dynamic_stack 0
		.amdhsa_enable_private_segment 0
		.amdhsa_system_sgpr_workgroup_id_x 1
		.amdhsa_system_sgpr_workgroup_id_y 0
		.amdhsa_system_sgpr_workgroup_id_z 0
		.amdhsa_system_sgpr_workgroup_info 0
		.amdhsa_system_vgpr_workitem_id 0
		.amdhsa_next_free_vgpr 33
		.amdhsa_next_free_sgpr 66
		.amdhsa_reserve_vcc 1
		.amdhsa_float_round_mode_32 0
		.amdhsa_float_round_mode_16_64 0
		.amdhsa_float_denorm_mode_32 3
		.amdhsa_float_denorm_mode_16_64 3
		.amdhsa_fp16_overflow 0
		.amdhsa_workgroup_processor_mode 1
		.amdhsa_memory_ordered 1
		.amdhsa_forward_progress 1
		.amdhsa_inst_pref_size 98
		.amdhsa_round_robin_scheduling 0
		.amdhsa_exception_fp_ieee_invalid_op 0
		.amdhsa_exception_fp_denorm_src 0
		.amdhsa_exception_fp_ieee_div_zero 0
		.amdhsa_exception_fp_ieee_overflow 0
		.amdhsa_exception_fp_ieee_underflow 0
		.amdhsa_exception_fp_ieee_inexact 0
		.amdhsa_exception_int_div_zero 0
	.end_amdhsa_kernel
	.section	.text._ZN2at6native16triu_tril_kernelIN3c104HalfEiLb0ELi4ELb1EEEvNS_4cuda6detail10TensorInfoIT_T0_EENS6_IKS7_S8_EEllS8_,"axG",@progbits,_ZN2at6native16triu_tril_kernelIN3c104HalfEiLb0ELi4ELb1EEEvNS_4cuda6detail10TensorInfoIT_T0_EENS6_IKS7_S8_EEllS8_,comdat
.Lfunc_end40:
	.size	_ZN2at6native16triu_tril_kernelIN3c104HalfEiLb0ELi4ELb1EEEvNS_4cuda6detail10TensorInfoIT_T0_EENS6_IKS7_S8_EEllS8_, .Lfunc_end40-_ZN2at6native16triu_tril_kernelIN3c104HalfEiLb0ELi4ELb1EEEvNS_4cuda6detail10TensorInfoIT_T0_EENS6_IKS7_S8_EEllS8_
                                        ; -- End function
	.set _ZN2at6native16triu_tril_kernelIN3c104HalfEiLb0ELi4ELb1EEEvNS_4cuda6detail10TensorInfoIT_T0_EENS6_IKS7_S8_EEllS8_.num_vgpr, 33
	.set _ZN2at6native16triu_tril_kernelIN3c104HalfEiLb0ELi4ELb1EEEvNS_4cuda6detail10TensorInfoIT_T0_EENS6_IKS7_S8_EEllS8_.num_agpr, 0
	.set _ZN2at6native16triu_tril_kernelIN3c104HalfEiLb0ELi4ELb1EEEvNS_4cuda6detail10TensorInfoIT_T0_EENS6_IKS7_S8_EEllS8_.numbered_sgpr, 66
	.set _ZN2at6native16triu_tril_kernelIN3c104HalfEiLb0ELi4ELb1EEEvNS_4cuda6detail10TensorInfoIT_T0_EENS6_IKS7_S8_EEllS8_.num_named_barrier, 0
	.set _ZN2at6native16triu_tril_kernelIN3c104HalfEiLb0ELi4ELb1EEEvNS_4cuda6detail10TensorInfoIT_T0_EENS6_IKS7_S8_EEllS8_.private_seg_size, 0
	.set _ZN2at6native16triu_tril_kernelIN3c104HalfEiLb0ELi4ELb1EEEvNS_4cuda6detail10TensorInfoIT_T0_EENS6_IKS7_S8_EEllS8_.uses_vcc, 1
	.set _ZN2at6native16triu_tril_kernelIN3c104HalfEiLb0ELi4ELb1EEEvNS_4cuda6detail10TensorInfoIT_T0_EENS6_IKS7_S8_EEllS8_.uses_flat_scratch, 0
	.set _ZN2at6native16triu_tril_kernelIN3c104HalfEiLb0ELi4ELb1EEEvNS_4cuda6detail10TensorInfoIT_T0_EENS6_IKS7_S8_EEllS8_.has_dyn_sized_stack, 0
	.set _ZN2at6native16triu_tril_kernelIN3c104HalfEiLb0ELi4ELb1EEEvNS_4cuda6detail10TensorInfoIT_T0_EENS6_IKS7_S8_EEllS8_.has_recursion, 0
	.set _ZN2at6native16triu_tril_kernelIN3c104HalfEiLb0ELi4ELb1EEEvNS_4cuda6detail10TensorInfoIT_T0_EENS6_IKS7_S8_EEllS8_.has_indirect_call, 0
	.section	.AMDGPU.csdata,"",@progbits
; Kernel info:
; codeLenInByte = 12452
; TotalNumSgprs: 68
; NumVgprs: 33
; ScratchSize: 0
; MemoryBound: 0
; FloatMode: 240
; IeeeMode: 1
; LDSByteSize: 0 bytes/workgroup (compile time only)
; SGPRBlocks: 0
; VGPRBlocks: 4
; NumSGPRsForWavesPerEU: 68
; NumVGPRsForWavesPerEU: 33
; Occupancy: 16
; WaveLimiterHint : 0
; COMPUTE_PGM_RSRC2:SCRATCH_EN: 0
; COMPUTE_PGM_RSRC2:USER_SGPR: 2
; COMPUTE_PGM_RSRC2:TRAP_HANDLER: 0
; COMPUTE_PGM_RSRC2:TGID_X_EN: 1
; COMPUTE_PGM_RSRC2:TGID_Y_EN: 0
; COMPUTE_PGM_RSRC2:TGID_Z_EN: 0
; COMPUTE_PGM_RSRC2:TIDIG_COMP_CNT: 0
	.section	.text._ZN2at6native16triu_tril_kernelIN3c104HalfEiLb0ELi4ELb0EEEvNS_4cuda6detail10TensorInfoIT_T0_EENS6_IKS7_S8_EEllS8_,"axG",@progbits,_ZN2at6native16triu_tril_kernelIN3c104HalfEiLb0ELi4ELb0EEEvNS_4cuda6detail10TensorInfoIT_T0_EENS6_IKS7_S8_EEllS8_,comdat
	.protected	_ZN2at6native16triu_tril_kernelIN3c104HalfEiLb0ELi4ELb0EEEvNS_4cuda6detail10TensorInfoIT_T0_EENS6_IKS7_S8_EEllS8_ ; -- Begin function _ZN2at6native16triu_tril_kernelIN3c104HalfEiLb0ELi4ELb0EEEvNS_4cuda6detail10TensorInfoIT_T0_EENS6_IKS7_S8_EEllS8_
	.globl	_ZN2at6native16triu_tril_kernelIN3c104HalfEiLb0ELi4ELb0EEEvNS_4cuda6detail10TensorInfoIT_T0_EENS6_IKS7_S8_EEllS8_
	.p2align	8
	.type	_ZN2at6native16triu_tril_kernelIN3c104HalfEiLb0ELi4ELb0EEEvNS_4cuda6detail10TensorInfoIT_T0_EENS6_IKS7_S8_EEllS8_,@function
_ZN2at6native16triu_tril_kernelIN3c104HalfEiLb0ELi4ELb0EEEvNS_4cuda6detail10TensorInfoIT_T0_EENS6_IKS7_S8_EEllS8_: ; @_ZN2at6native16triu_tril_kernelIN3c104HalfEiLb0ELi4ELb0EEEvNS_4cuda6detail10TensorInfoIT_T0_EENS6_IKS7_S8_EEllS8_
; %bb.0:
	s_clause 0x1
	s_load_b32 s2, s[0:1], 0x1d4
	s_load_b128 s[4:7], s[0:1], 0x1b0
	v_mov_b32_e32 v2, 0
	s_delay_alu instid0(VALU_DEP_1) | instskip(SKIP_3) | instid1(VALU_DEP_1)
	v_mov_b32_e32 v1, v2
	s_wait_kmcnt 0x0
	s_and_b32 s20, s2, 0xffff
	s_mov_b32 s2, exec_lo
	v_mad_co_u64_u32 v[0:1], null, s20, ttmp9, v[0:1]
	s_delay_alu instid0(VALU_DEP_1) | instskip(NEXT) | instid1(VALU_DEP_1)
	v_lshlrev_b64_e32 v[0:1], 2, v[0:1]
	v_cmpx_gt_i64_e64 s[6:7], v[0:1]
	s_cbranch_execz .LBB41_53
; %bb.1:
	s_clause 0x2
	s_load_b32 s24, s[0:1], 0x1a8
	s_load_b32 s8, s[0:1], 0x1c0
	s_load_b64 s[10:11], s[0:1], 0xd8
	s_add_nc_u64 s[12:13], s[0:1], 0xd8
	s_add_nc_u64 s[18:19], s[0:1], 0x1c8
	s_mov_b32 s21, 0
	s_load_b32 s23, s[18:19], 0x0
	s_mov_b32 s53, 0
	s_wait_kmcnt 0x0
	s_ashr_i32 s25, s24, 31
	v_cvt_f32_u32_e32 v3, s8
	s_lshl_b64 s[14:15], s[24:25], 2
	s_and_b32 s48, s24, 3
	s_add_nc_u64 s[16:17], s[12:13], s[14:15]
	s_add_nc_u64 s[18:19], s[0:1], s[14:15]
	s_load_b64 s[2:3], s[16:17], 0x0
	v_rcp_iflag_f32_e32 v3, v3
	s_clause 0x2
	s_load_b64 s[14:15], s[16:17], 0x64
	s_load_b64 s[16:17], s[18:19], 0x64
	;; [unrolled: 1-line block ×3, first 2 shown]
	s_mul_i32 s23, s23, s20
	s_ashr_i32 s9, s8, 31
	s_add_co_i32 s33, s24, -3
	s_lshl_b32 s50, s23, 2
	v_cmp_gt_i64_e64 s49, s[24:25], 2
	v_mul_f32_e32 v3, 0x4f7ffffe, v3
	s_delay_alu instid0(VALU_DEP_1)
	v_cvt_u32_f32_e32 v18, v3
	s_wait_kmcnt 0x0
	s_mov_b32 s22, s2
	s_ashr_i32 s23, s2, 31
	v_cvt_f32_u32_e32 v4, s22
	s_cmp_lg_u32 s48, 2
	s_mov_b32 s24, s15
	s_cselect_b32 s51, -1, 0
	s_cmp_gt_u32 s33, 2
	v_rcp_iflag_f32_e32 v4, v4
	s_mov_b32 s26, s17
	s_cselect_b32 s52, -1, 0
	s_ashr_i32 s25, s15, 31
	s_add_co_i32 s15, s15, s15
	s_ashr_i32 s27, s17, 31
	s_add_co_i32 s17, s17, s17
	s_wait_alu 0xfffe
	s_ashr_i32 s28, s9, 31
	s_delay_alu instid0(TRANS32_DEP_1) | instskip(NEXT) | instid1(VALU_DEP_1)
	v_mul_f32_e32 v3, 0x4f7ffffe, v4
	v_cvt_u32_f32_e32 v19, v3
	s_branch .LBB41_3
.LBB41_2:                               ;   in Loop: Header=BB41_3 Depth=1
	s_wait_alu 0xfffe
	s_or_b32 exec_lo, exec_lo, s2
	v_add_co_u32 v0, vcc_lo, v0, s50
	s_wait_alu 0xfffd
	v_add_co_ci_u32_e64 v1, null, 0, v1, vcc_lo
	s_delay_alu instid0(VALU_DEP_1) | instskip(SKIP_1) | instid1(SALU_CYCLE_1)
	v_cmp_le_i64_e32 vcc_lo, s[6:7], v[0:1]
	s_or_b32 s53, vcc_lo, s53
	s_and_not1_b32 exec_lo, exec_lo, s53
	s_cbranch_execz .LBB41_53
.LBB41_3:                               ; =>This Loop Header: Depth=1
                                        ;     Child Loop BB41_15 Depth 2
                                        ;     Child Loop BB41_20 Depth 2
	v_or_b32_e32 v3, s9, v1
                                        ; implicit-def: $vgpr4_vgpr5
	s_mov_b32 s2, exec_lo
	s_delay_alu instid0(VALU_DEP_1)
	v_cmpx_ne_u64_e32 0, v[2:3]
	s_wait_alu 0xfffe
	s_xor_b32 s34, exec_lo, s2
	s_cbranch_execz .LBB41_5
; %bb.4:                                ;   in Loop: Header=BB41_3 Depth=1
	s_mov_b32 s29, s28
	v_ashrrev_i32_e32 v9, 31, v1
	s_wait_alu 0xfffe
	s_add_nc_u64 s[30:31], s[8:9], s[28:29]
	s_wait_alu 0xfffe
	s_xor_b64 s[30:31], s[30:31], s[28:29]
	v_add_co_u32 v3, vcc_lo, v0, v9
	s_wait_alu 0xfffe
	s_cvt_f32_u32 s2, s30
	s_cvt_f32_u32 s20, s31
	s_sub_nc_u64 s[38:39], 0, s[30:31]
	s_wait_alu 0xfffd
	v_add_co_ci_u32_e64 v4, null, v1, v9, vcc_lo
	s_wait_alu 0xfffe
	s_fmamk_f32 s2, s20, 0x4f800000, s2
	v_xor_b32_e32 v10, v3, v9
	s_delay_alu instid0(VALU_DEP_2) | instskip(SKIP_2) | instid1(TRANS32_DEP_1)
	v_xor_b32_e32 v11, v4, v9
	s_wait_alu 0xfffe
	v_s_rcp_f32 s2, s2
	s_mul_f32 s2, s2, 0x5f7ffffc
	s_wait_alu 0xfffe
	s_delay_alu instid0(SALU_CYCLE_2) | instskip(SKIP_1) | instid1(SALU_CYCLE_2)
	s_mul_f32 s20, s2, 0x2f800000
	s_wait_alu 0xfffe
	s_trunc_f32 s20, s20
	s_wait_alu 0xfffe
	s_delay_alu instid0(SALU_CYCLE_2) | instskip(SKIP_2) | instid1(SALU_CYCLE_1)
	s_fmamk_f32 s2, s20, 0xcf800000, s2
	s_cvt_u32_f32 s37, s20
	s_wait_alu 0xfffe
	s_cvt_u32_f32 s36, s2
	s_wait_alu 0xfffe
	s_delay_alu instid0(SALU_CYCLE_2)
	s_mul_u64 s[40:41], s[38:39], s[36:37]
	s_wait_alu 0xfffe
	s_mul_hi_u32 s43, s36, s41
	s_mul_i32 s42, s36, s41
	s_mul_hi_u32 s20, s36, s40
	s_mul_i32 s29, s37, s40
	s_wait_alu 0xfffe
	s_add_nc_u64 s[42:43], s[20:21], s[42:43]
	s_mul_hi_u32 s2, s37, s40
	s_mul_hi_u32 s35, s37, s41
	s_wait_alu 0xfffe
	s_add_co_u32 s20, s42, s29
	s_add_co_ci_u32 s20, s43, s2
	s_mul_i32 s40, s37, s41
	s_add_co_ci_u32 s41, s35, 0
	s_wait_alu 0xfffe
	s_add_nc_u64 s[40:41], s[20:21], s[40:41]
	s_wait_alu 0xfffe
	s_add_co_u32 s36, s36, s40
	s_cselect_b32 s2, -1, 0
	s_wait_alu 0xfffe
	s_cmp_lg_u32 s2, 0
	s_add_co_ci_u32 s37, s37, s41
	s_wait_alu 0xfffe
	s_mul_u64 s[38:39], s[38:39], s[36:37]
	s_wait_alu 0xfffe
	s_mul_hi_u32 s41, s36, s39
	s_mul_i32 s40, s36, s39
	s_mul_hi_u32 s20, s36, s38
	s_mul_i32 s29, s37, s38
	s_wait_alu 0xfffe
	s_add_nc_u64 s[40:41], s[20:21], s[40:41]
	s_mul_hi_u32 s2, s37, s38
	s_mul_hi_u32 s35, s37, s39
	s_wait_alu 0xfffe
	s_add_co_u32 s20, s40, s29
	s_add_co_ci_u32 s20, s41, s2
	s_mul_i32 s38, s37, s39
	s_add_co_ci_u32 s39, s35, 0
	s_wait_alu 0xfffe
	s_add_nc_u64 s[38:39], s[20:21], s[38:39]
	s_wait_alu 0xfffe
	s_add_co_u32 s2, s36, s38
	s_cselect_b32 s20, -1, 0
	s_wait_alu 0xfffe
	v_mul_hi_u32 v12, v10, s2
	s_cmp_lg_u32 s20, 0
	v_mad_co_u64_u32 v[5:6], null, v11, s2, 0
	s_add_co_ci_u32 s20, s37, s39
	s_wait_alu 0xfffe
	v_mad_co_u64_u32 v[3:4], null, v10, s20, 0
	v_mad_co_u64_u32 v[7:8], null, v11, s20, 0
	s_delay_alu instid0(VALU_DEP_2) | instskip(SKIP_1) | instid1(VALU_DEP_3)
	v_add_co_u32 v3, vcc_lo, v12, v3
	s_wait_alu 0xfffd
	v_add_co_ci_u32_e64 v4, null, 0, v4, vcc_lo
	s_delay_alu instid0(VALU_DEP_2) | instskip(SKIP_1) | instid1(VALU_DEP_2)
	v_add_co_u32 v3, vcc_lo, v3, v5
	s_wait_alu 0xfffd
	v_add_co_ci_u32_e32 v3, vcc_lo, v4, v6, vcc_lo
	s_wait_alu 0xfffd
	v_add_co_ci_u32_e32 v4, vcc_lo, 0, v8, vcc_lo
	s_delay_alu instid0(VALU_DEP_2) | instskip(SKIP_1) | instid1(VALU_DEP_2)
	v_add_co_u32 v5, vcc_lo, v3, v7
	s_wait_alu 0xfffd
	v_add_co_ci_u32_e64 v6, null, 0, v4, vcc_lo
	s_delay_alu instid0(VALU_DEP_2) | instskip(SKIP_1) | instid1(VALU_DEP_3)
	v_mul_lo_u32 v7, s31, v5
	v_mad_co_u64_u32 v[3:4], null, s30, v5, 0
	v_mul_lo_u32 v8, s30, v6
	s_delay_alu instid0(VALU_DEP_2) | instskip(NEXT) | instid1(VALU_DEP_2)
	v_sub_co_u32 v3, vcc_lo, v10, v3
	v_add3_u32 v4, v4, v8, v7
	v_add_co_u32 v8, s2, v5, 2
	s_wait_alu 0xf1ff
	v_add_co_ci_u32_e64 v10, null, 0, v6, s2
	s_delay_alu instid0(VALU_DEP_3) | instskip(SKIP_3) | instid1(VALU_DEP_3)
	v_sub_nc_u32_e32 v7, v11, v4
	v_sub_co_u32 v12, s2, v3, s30
	s_wait_alu 0xfffd
	v_sub_co_ci_u32_e64 v4, null, v11, v4, vcc_lo
	v_subrev_co_ci_u32_e64 v7, null, s31, v7, vcc_lo
	s_delay_alu instid0(VALU_DEP_3) | instskip(SKIP_1) | instid1(VALU_DEP_2)
	v_cmp_le_u32_e32 vcc_lo, s30, v12
	s_wait_alu 0xf1ff
	v_subrev_co_ci_u32_e64 v7, null, 0, v7, s2
	s_wait_alu 0xfffd
	v_cndmask_b32_e64 v11, 0, -1, vcc_lo
	s_delay_alu instid0(VALU_DEP_2)
	v_cmp_le_u32_e32 vcc_lo, s31, v7
	s_wait_alu 0xfffd
	v_cndmask_b32_e64 v12, 0, -1, vcc_lo
	v_cmp_le_u32_e32 vcc_lo, s30, v3
	s_wait_alu 0xfffd
	v_cndmask_b32_e64 v3, 0, -1, vcc_lo
	v_cmp_le_u32_e32 vcc_lo, s31, v4
	s_wait_alu 0xfffd
	v_cndmask_b32_e64 v13, 0, -1, vcc_lo
	v_cmp_eq_u32_e32 vcc_lo, s31, v7
	s_wait_alu 0xfffd
	v_cndmask_b32_e32 v7, v12, v11, vcc_lo
	v_add_co_u32 v11, vcc_lo, v5, 1
	s_wait_alu 0xfffd
	v_add_co_ci_u32_e64 v12, null, 0, v6, vcc_lo
	v_cmp_eq_u32_e32 vcc_lo, s31, v4
	s_wait_alu 0xfffd
	v_cndmask_b32_e32 v3, v13, v3, vcc_lo
	v_cmp_ne_u32_e32 vcc_lo, 0, v7
	v_xor_b32_e32 v7, s28, v9
	s_wait_alu 0xfffd
	v_cndmask_b32_e32 v4, v12, v10, vcc_lo
	v_cmp_ne_u32_e64 s2, 0, v3
	v_cndmask_b32_e32 v3, v11, v8, vcc_lo
	s_wait_alu 0xf1ff
	s_delay_alu instid0(VALU_DEP_2) | instskip(NEXT) | instid1(VALU_DEP_2)
	v_cndmask_b32_e64 v4, v6, v4, s2
	v_cndmask_b32_e64 v3, v5, v3, s2
	s_delay_alu instid0(VALU_DEP_2) | instskip(NEXT) | instid1(VALU_DEP_2)
	v_xor_b32_e32 v5, v4, v7
	v_xor_b32_e32 v3, v3, v7
	s_delay_alu instid0(VALU_DEP_1) | instskip(SKIP_1) | instid1(VALU_DEP_3)
	v_sub_co_u32 v4, vcc_lo, v3, v7
	s_wait_alu 0xfffd
	v_sub_co_ci_u32_e64 v5, null, v5, v7, vcc_lo
.LBB41_5:                               ;   in Loop: Header=BB41_3 Depth=1
	s_wait_alu 0xfffe
	s_and_not1_saveexec_b32 s2, s34
	s_cbranch_execz .LBB41_7
; %bb.6:                                ;   in Loop: Header=BB41_3 Depth=1
	s_sub_co_i32 s20, 0, s8
	s_wait_alu 0xfffe
	v_mul_lo_u32 v3, s20, v18
	s_delay_alu instid0(VALU_DEP_1) | instskip(NEXT) | instid1(VALU_DEP_1)
	v_mul_hi_u32 v3, v18, v3
	v_add_nc_u32_e32 v3, v18, v3
	s_delay_alu instid0(VALU_DEP_1) | instskip(NEXT) | instid1(VALU_DEP_1)
	v_mul_hi_u32 v3, v0, v3
	v_mul_lo_u32 v4, v3, s8
	v_add_nc_u32_e32 v5, 1, v3
	s_delay_alu instid0(VALU_DEP_2) | instskip(NEXT) | instid1(VALU_DEP_1)
	v_sub_nc_u32_e32 v4, v0, v4
	v_subrev_nc_u32_e32 v6, s8, v4
	v_cmp_le_u32_e32 vcc_lo, s8, v4
	s_wait_alu 0xfffd
	s_delay_alu instid0(VALU_DEP_2) | instskip(NEXT) | instid1(VALU_DEP_1)
	v_dual_cndmask_b32 v4, v4, v6 :: v_dual_cndmask_b32 v3, v3, v5
	v_cmp_le_u32_e32 vcc_lo, s8, v4
	s_delay_alu instid0(VALU_DEP_2) | instskip(SKIP_1) | instid1(VALU_DEP_1)
	v_add_nc_u32_e32 v5, 1, v3
	s_wait_alu 0xfffd
	v_dual_cndmask_b32 v4, v3, v5 :: v_dual_mov_b32 v5, v2
.LBB41_7:                               ;   in Loop: Header=BB41_3 Depth=1
	s_wait_alu 0xfffe
	s_or_b32 exec_lo, exec_lo, s2
	s_delay_alu instid0(VALU_DEP_1) | instskip(SKIP_1) | instid1(VALU_DEP_1)
	v_or_b32_e32 v3, s23, v5
                                        ; implicit-def: $vgpr8_vgpr9
	s_mov_b32 s2, exec_lo
	v_cmpx_ne_u64_e32 0, v[2:3]
	s_wait_alu 0xfffe
	s_xor_b32 s29, exec_lo, s2
	s_cbranch_execz .LBB41_9
; %bb.8:                                ;   in Loop: Header=BB41_3 Depth=1
	s_ashr_i32 s30, s23, 31
	v_ashrrev_i32_e32 v3, 31, v5
	s_wait_alu 0xfffe
	s_mov_b32 s31, s30
	s_wait_alu 0xfffe
	s_add_nc_u64 s[34:35], s[22:23], s[30:31]
	v_add_co_u32 v6, vcc_lo, v4, v3
	s_wait_alu 0xfffe
	s_xor_b64 s[34:35], s[34:35], s[30:31]
	s_wait_alu 0xfffd
	v_add_co_ci_u32_e64 v5, null, v5, v3, vcc_lo
	s_wait_alu 0xfffe
	s_cvt_f32_u32 s2, s34
	s_cvt_f32_u32 s20, s35
	s_sub_nc_u64 s[38:39], 0, s[34:35]
	v_xor_b32_e32 v11, v6, v3
	v_xor_b32_e32 v12, v5, v3
	s_wait_alu 0xfffe
	s_fmamk_f32 s2, s20, 0x4f800000, s2
	v_xor_b32_e32 v3, s30, v3
	s_wait_alu 0xfffe
	s_delay_alu instid0(SALU_CYCLE_1) | instskip(NEXT) | instid1(TRANS32_DEP_1)
	v_s_rcp_f32 s2, s2
	s_mul_f32 s2, s2, 0x5f7ffffc
	s_wait_alu 0xfffe
	s_delay_alu instid0(SALU_CYCLE_2) | instskip(SKIP_1) | instid1(SALU_CYCLE_2)
	s_mul_f32 s20, s2, 0x2f800000
	s_wait_alu 0xfffe
	s_trunc_f32 s20, s20
	s_wait_alu 0xfffe
	s_delay_alu instid0(SALU_CYCLE_2) | instskip(SKIP_2) | instid1(SALU_CYCLE_1)
	s_fmamk_f32 s2, s20, 0xcf800000, s2
	s_cvt_u32_f32 s37, s20
	s_wait_alu 0xfffe
	s_cvt_u32_f32 s36, s2
	s_wait_alu 0xfffe
	s_delay_alu instid0(SALU_CYCLE_2)
	s_mul_u64 s[40:41], s[38:39], s[36:37]
	s_wait_alu 0xfffe
	s_mul_hi_u32 s43, s36, s41
	s_mul_i32 s42, s36, s41
	s_mul_hi_u32 s20, s36, s40
	s_mul_i32 s31, s37, s40
	s_wait_alu 0xfffe
	s_add_nc_u64 s[42:43], s[20:21], s[42:43]
	s_mul_hi_u32 s2, s37, s40
	s_mul_hi_u32 s44, s37, s41
	s_wait_alu 0xfffe
	s_add_co_u32 s20, s42, s31
	s_add_co_ci_u32 s20, s43, s2
	s_mul_i32 s40, s37, s41
	s_add_co_ci_u32 s41, s44, 0
	s_wait_alu 0xfffe
	s_add_nc_u64 s[40:41], s[20:21], s[40:41]
	s_wait_alu 0xfffe
	s_add_co_u32 s36, s36, s40
	s_cselect_b32 s2, -1, 0
	s_wait_alu 0xfffe
	s_cmp_lg_u32 s2, 0
	s_add_co_ci_u32 s37, s37, s41
	s_wait_alu 0xfffe
	s_mul_u64 s[38:39], s[38:39], s[36:37]
	s_wait_alu 0xfffe
	s_mul_hi_u32 s41, s36, s39
	s_mul_i32 s40, s36, s39
	s_mul_hi_u32 s20, s36, s38
	s_mul_i32 s31, s37, s38
	s_wait_alu 0xfffe
	s_add_nc_u64 s[40:41], s[20:21], s[40:41]
	s_mul_hi_u32 s2, s37, s38
	s_mul_hi_u32 s42, s37, s39
	s_wait_alu 0xfffe
	s_add_co_u32 s20, s40, s31
	s_add_co_ci_u32 s20, s41, s2
	s_mul_i32 s38, s37, s39
	s_add_co_ci_u32 s39, s42, 0
	s_wait_alu 0xfffe
	s_add_nc_u64 s[38:39], s[20:21], s[38:39]
	s_wait_alu 0xfffe
	s_add_co_u32 s2, s36, s38
	s_cselect_b32 s20, -1, 0
	s_wait_alu 0xfffe
	v_mul_hi_u32 v13, v11, s2
	s_cmp_lg_u32 s20, 0
	v_mad_co_u64_u32 v[7:8], null, v12, s2, 0
	s_add_co_ci_u32 s20, s37, s39
	s_wait_alu 0xfffe
	v_mad_co_u64_u32 v[5:6], null, v11, s20, 0
	v_mad_co_u64_u32 v[9:10], null, v12, s20, 0
	s_delay_alu instid0(VALU_DEP_2) | instskip(SKIP_1) | instid1(VALU_DEP_3)
	v_add_co_u32 v5, vcc_lo, v13, v5
	s_wait_alu 0xfffd
	v_add_co_ci_u32_e64 v6, null, 0, v6, vcc_lo
	s_delay_alu instid0(VALU_DEP_2) | instskip(SKIP_1) | instid1(VALU_DEP_2)
	v_add_co_u32 v5, vcc_lo, v5, v7
	s_wait_alu 0xfffd
	v_add_co_ci_u32_e32 v5, vcc_lo, v6, v8, vcc_lo
	s_wait_alu 0xfffd
	v_add_co_ci_u32_e32 v6, vcc_lo, 0, v10, vcc_lo
	s_delay_alu instid0(VALU_DEP_2) | instskip(SKIP_1) | instid1(VALU_DEP_2)
	v_add_co_u32 v7, vcc_lo, v5, v9
	s_wait_alu 0xfffd
	v_add_co_ci_u32_e64 v8, null, 0, v6, vcc_lo
	s_delay_alu instid0(VALU_DEP_2) | instskip(SKIP_1) | instid1(VALU_DEP_3)
	v_mul_lo_u32 v9, s35, v7
	v_mad_co_u64_u32 v[5:6], null, s34, v7, 0
	v_mul_lo_u32 v10, s34, v8
	s_delay_alu instid0(VALU_DEP_2) | instskip(NEXT) | instid1(VALU_DEP_2)
	v_sub_co_u32 v5, vcc_lo, v11, v5
	v_add3_u32 v6, v6, v10, v9
	v_add_co_u32 v10, s2, v7, 2
	s_wait_alu 0xf1ff
	v_add_co_ci_u32_e64 v11, null, 0, v8, s2
	s_delay_alu instid0(VALU_DEP_3) | instskip(SKIP_3) | instid1(VALU_DEP_3)
	v_sub_nc_u32_e32 v9, v12, v6
	v_sub_co_u32 v13, s2, v5, s34
	s_wait_alu 0xfffd
	v_sub_co_ci_u32_e64 v6, null, v12, v6, vcc_lo
	v_subrev_co_ci_u32_e64 v9, null, s35, v9, vcc_lo
	s_delay_alu instid0(VALU_DEP_3) | instskip(SKIP_1) | instid1(VALU_DEP_2)
	v_cmp_le_u32_e32 vcc_lo, s34, v13
	s_wait_alu 0xf1ff
	v_subrev_co_ci_u32_e64 v9, null, 0, v9, s2
	s_wait_alu 0xfffd
	v_cndmask_b32_e64 v12, 0, -1, vcc_lo
	s_delay_alu instid0(VALU_DEP_2)
	v_cmp_le_u32_e32 vcc_lo, s35, v9
	s_wait_alu 0xfffd
	v_cndmask_b32_e64 v13, 0, -1, vcc_lo
	v_cmp_le_u32_e32 vcc_lo, s34, v5
	s_wait_alu 0xfffd
	v_cndmask_b32_e64 v5, 0, -1, vcc_lo
	;; [unrolled: 3-line block ×3, first 2 shown]
	v_cmp_eq_u32_e32 vcc_lo, s35, v9
	s_wait_alu 0xfffd
	v_cndmask_b32_e32 v9, v13, v12, vcc_lo
	v_add_co_u32 v12, vcc_lo, v7, 1
	s_wait_alu 0xfffd
	v_add_co_ci_u32_e64 v13, null, 0, v8, vcc_lo
	v_cmp_eq_u32_e32 vcc_lo, s35, v6
	s_wait_alu 0xfffd
	v_cndmask_b32_e32 v5, v14, v5, vcc_lo
	v_cmp_ne_u32_e32 vcc_lo, 0, v9
	s_wait_alu 0xfffd
	v_cndmask_b32_e32 v6, v13, v11, vcc_lo
	s_delay_alu instid0(VALU_DEP_3) | instskip(SKIP_2) | instid1(VALU_DEP_2)
	v_cmp_ne_u32_e64 s2, 0, v5
	v_cndmask_b32_e32 v5, v12, v10, vcc_lo
	s_wait_alu 0xf1ff
	v_cndmask_b32_e64 v6, v8, v6, s2
	s_delay_alu instid0(VALU_DEP_2) | instskip(NEXT) | instid1(VALU_DEP_2)
	v_cndmask_b32_e64 v5, v7, v5, s2
	v_xor_b32_e32 v6, v6, v3
	s_delay_alu instid0(VALU_DEP_2) | instskip(NEXT) | instid1(VALU_DEP_1)
	v_xor_b32_e32 v5, v5, v3
	v_sub_co_u32 v8, vcc_lo, v5, v3
	s_wait_alu 0xfffd
	s_delay_alu instid0(VALU_DEP_3)
	v_sub_co_ci_u32_e64 v9, null, v6, v3, vcc_lo
.LBB41_9:                               ;   in Loop: Header=BB41_3 Depth=1
	s_wait_alu 0xfffe
	s_and_not1_saveexec_b32 s2, s29
	s_cbranch_execz .LBB41_11
; %bb.10:                               ;   in Loop: Header=BB41_3 Depth=1
	s_sub_co_i32 s20, 0, s22
	v_mov_b32_e32 v9, v2
	s_wait_alu 0xfffe
	v_mul_lo_u32 v3, s20, v19
	s_delay_alu instid0(VALU_DEP_1) | instskip(NEXT) | instid1(VALU_DEP_1)
	v_mul_hi_u32 v3, v19, v3
	v_add_nc_u32_e32 v3, v19, v3
	s_delay_alu instid0(VALU_DEP_1) | instskip(NEXT) | instid1(VALU_DEP_1)
	v_mul_hi_u32 v3, v4, v3
	v_mul_lo_u32 v5, v3, s22
	v_add_nc_u32_e32 v6, 1, v3
	s_delay_alu instid0(VALU_DEP_2) | instskip(NEXT) | instid1(VALU_DEP_1)
	v_sub_nc_u32_e32 v5, v4, v5
	v_cmp_le_u32_e32 vcc_lo, s22, v5
	v_subrev_nc_u32_e32 v7, s22, v5
	s_wait_alu 0xfffd
	v_cndmask_b32_e32 v3, v3, v6, vcc_lo
	s_delay_alu instid0(VALU_DEP_1) | instskip(NEXT) | instid1(VALU_DEP_3)
	v_add_nc_u32_e32 v6, 1, v3
	v_cndmask_b32_e32 v5, v5, v7, vcc_lo
	s_delay_alu instid0(VALU_DEP_1) | instskip(SKIP_1) | instid1(VALU_DEP_3)
	v_cmp_le_u32_e32 vcc_lo, s22, v5
	s_wait_alu 0xfffd
	v_cndmask_b32_e32 v8, v3, v6, vcc_lo
.LBB41_11:                              ;   in Loop: Header=BB41_3 Depth=1
	s_wait_alu 0xfffe
	s_or_b32 exec_lo, exec_lo, s2
	v_mad_co_u64_u32 v[5:6], null, v4, s8, 0
	s_delay_alu instid0(VALU_DEP_2) | instskip(SKIP_3) | instid1(VALU_DEP_2)
	v_mad_co_u64_u32 v[6:7], null, v8, s22, 0
	s_and_not1_b32 vcc_lo, exec_lo, s49
	v_sub_co_u32 v20, null, v0, v5
	v_sub_co_u32 v21, null, v4, v6
	v_mul_lo_u32 v3, s24, v20
	v_mul_lo_u32 v5, s26, v20
	s_delay_alu instid0(VALU_DEP_2) | instskip(NEXT) | instid1(VALU_DEP_1)
	v_mad_co_u64_u32 v[6:7], null, s14, v21, v[3:4]
	v_mad_co_u64_u32 v[4:5], null, s16, v21, v[5:6]
	s_wait_alu 0xfffe
	s_cbranch_vccnz .LBB41_38
; %bb.12:                               ;   in Loop: Header=BB41_3 Depth=1
	s_mov_b32 s29, 1
	s_and_not1_b32 vcc_lo, exec_lo, s51
	s_mov_b32 s20, s33
	s_mov_b32 s2, s33
	s_wait_alu 0xfffe
	s_cbranch_vccz .LBB41_15
; %bb.13:                               ;   in Loop: Header=BB41_3 Depth=1
	s_and_b32 vcc_lo, exec_lo, s52
	s_mov_b32 s20, s2
	s_wait_alu 0xfffe
	s_cbranch_vccnz .LBB41_20
	s_branch .LBB41_38
.LBB41_14:                              ;   in Loop: Header=BB41_15 Depth=2
	s_wait_alu 0xfffe
	s_or_b32 exec_lo, exec_lo, s2
	s_add_nc_u64 s[36:37], s[0:1], s[36:37]
	s_clause 0x1
	s_load_b32 s2, s[34:35], 0x6c
	s_load_b32 s31, s[36:37], 0x6c
	v_mul_lo_u32 v3, v10, s30
	s_add_co_i32 s20, s20, -1
	s_delay_alu instid0(VALU_DEP_1) | instskip(SKIP_2) | instid1(VALU_DEP_2)
	v_sub_nc_u32_e32 v3, v8, v3
	v_dual_mov_b32 v8, v10 :: v_dual_mov_b32 v9, v11
	s_wait_kmcnt 0x0
	v_mad_co_u64_u32 v[6:7], null, s2, v3, v[6:7]
	v_mad_co_u64_u32 v[4:5], null, s31, v3, v[4:5]
	s_xor_b32 s2, s48, s29
	s_add_co_i32 s29, s29, 1
	s_wait_alu 0xfffe
	s_cmp_lg_u32 s2, 2
	s_cbranch_scc0 .LBB41_19
.LBB41_15:                              ;   Parent Loop BB41_3 Depth=1
                                        ; =>  This Inner Loop Header: Depth=2
	s_lshl_b64 s[36:37], s[20:21], 2
                                        ; implicit-def: $vgpr10_vgpr11
	s_mov_b32 s2, exec_lo
	s_wait_alu 0xfffe
	s_add_nc_u64 s[34:35], s[12:13], s[36:37]
	s_load_b32 s30, s[34:35], 0x8
	s_wait_kmcnt 0x0
	s_ashr_i32 s31, s30, 31
	s_wait_alu 0xfffe
	v_or_b32_e32 v3, s31, v9
	s_delay_alu instid0(VALU_DEP_1)
	v_cmpx_ne_u64_e32 0, v[2:3]
	s_xor_b32 s42, exec_lo, s2
	s_cbranch_execz .LBB41_17
; %bb.16:                               ;   in Loop: Header=BB41_15 Depth=2
	s_ashr_i32 s38, s31, 31
	s_mov_b32 s55, s21
	s_wait_alu 0xfffe
	s_mov_b32 s39, s38
	s_mov_b32 s59, s21
	s_wait_alu 0xfffe
	s_add_nc_u64 s[40:41], s[30:31], s[38:39]
	v_ashrrev_i32_e32 v3, 31, v9
	s_wait_alu 0xfffe
	s_xor_b64 s[40:41], s[40:41], s[38:39]
	s_wait_alu 0xfffe
	s_cvt_f32_u32 s2, s40
	s_cvt_f32_u32 s31, s41
	s_sub_nc_u64 s[46:47], 0, s[40:41]
	v_add_co_u32 v5, vcc_lo, v8, v3
	s_wait_alu 0xfffe
	s_fmamk_f32 s2, s31, 0x4f800000, s2
	s_wait_alu 0xfffd
	v_add_co_ci_u32_e64 v7, null, v9, v3, vcc_lo
	v_xor_b32_e32 v5, v5, v3
	s_wait_alu 0xfffe
	v_s_rcp_f32 s2, s2
	s_delay_alu instid0(VALU_DEP_2) | instskip(SKIP_1) | instid1(TRANS32_DEP_1)
	v_xor_b32_e32 v7, v7, v3
	v_xor_b32_e32 v3, s38, v3
	s_mul_f32 s2, s2, 0x5f7ffffc
	s_wait_alu 0xfffe
	s_delay_alu instid0(SALU_CYCLE_2) | instskip(SKIP_1) | instid1(SALU_CYCLE_2)
	s_mul_f32 s31, s2, 0x2f800000
	s_wait_alu 0xfffe
	s_trunc_f32 s31, s31
	s_wait_alu 0xfffe
	s_delay_alu instid0(SALU_CYCLE_2) | instskip(SKIP_2) | instid1(SALU_CYCLE_1)
	s_fmamk_f32 s2, s31, 0xcf800000, s2
	s_cvt_u32_f32 s45, s31
	s_wait_alu 0xfffe
	s_cvt_u32_f32 s44, s2
	s_wait_alu 0xfffe
	s_delay_alu instid0(SALU_CYCLE_2) | instskip(NEXT) | instid1(SALU_CYCLE_1)
	s_mul_u64 s[56:57], s[46:47], s[44:45]
	s_mul_hi_u32 s61, s44, s57
	s_mul_i32 s60, s44, s57
	s_mul_hi_u32 s54, s44, s56
	s_mul_i32 s31, s45, s56
	s_wait_alu 0xfffe
	s_add_nc_u64 s[54:55], s[54:55], s[60:61]
	s_mul_hi_u32 s2, s45, s56
	s_mul_hi_u32 s39, s45, s57
	s_wait_alu 0xfffe
	s_add_co_u32 s31, s54, s31
	s_add_co_ci_u32 s58, s55, s2
	s_mul_i32 s56, s45, s57
	s_add_co_ci_u32 s57, s39, 0
	s_delay_alu instid0(SALU_CYCLE_1)
	s_add_nc_u64 s[54:55], s[58:59], s[56:57]
	s_mov_b32 s57, s21
	s_wait_alu 0xfffe
	s_add_co_u32 s44, s44, s54
	s_cselect_b32 s2, -1, 0
	s_wait_alu 0xfffe
	s_cmp_lg_u32 s2, 0
	s_add_co_ci_u32 s45, s45, s55
	s_mov_b32 s55, s21
	s_wait_alu 0xfffe
	s_mul_u64 s[46:47], s[46:47], s[44:45]
	s_wait_alu 0xfffe
	s_mul_hi_u32 s59, s44, s47
	s_mul_i32 s58, s44, s47
	s_mul_hi_u32 s56, s44, s46
	s_mul_i32 s31, s45, s46
	s_add_nc_u64 s[56:57], s[56:57], s[58:59]
	s_mul_hi_u32 s2, s45, s46
	s_mul_hi_u32 s39, s45, s47
	s_wait_alu 0xfffe
	s_add_co_u32 s31, s56, s31
	s_add_co_ci_u32 s54, s57, s2
	s_mul_i32 s46, s45, s47
	s_add_co_ci_u32 s47, s39, 0
	s_wait_alu 0xfffe
	s_add_nc_u64 s[46:47], s[54:55], s[46:47]
	s_wait_alu 0xfffe
	s_add_co_u32 s2, s44, s46
	s_cselect_b32 s31, -1, 0
	s_wait_alu 0xfffe
	v_mul_hi_u32 v15, v5, s2
	s_cmp_lg_u32 s31, 0
	v_mad_co_u64_u32 v[11:12], null, v7, s2, 0
	s_add_co_ci_u32 s31, s45, s47
	s_wait_alu 0xfffe
	v_mad_co_u64_u32 v[9:10], null, v5, s31, 0
	v_mad_co_u64_u32 v[13:14], null, v7, s31, 0
	s_delay_alu instid0(VALU_DEP_2) | instskip(SKIP_1) | instid1(VALU_DEP_3)
	v_add_co_u32 v9, vcc_lo, v15, v9
	s_wait_alu 0xfffd
	v_add_co_ci_u32_e64 v10, null, 0, v10, vcc_lo
	s_delay_alu instid0(VALU_DEP_2) | instskip(SKIP_1) | instid1(VALU_DEP_2)
	v_add_co_u32 v9, vcc_lo, v9, v11
	s_wait_alu 0xfffd
	v_add_co_ci_u32_e32 v9, vcc_lo, v10, v12, vcc_lo
	s_wait_alu 0xfffd
	v_add_co_ci_u32_e32 v10, vcc_lo, 0, v14, vcc_lo
	s_delay_alu instid0(VALU_DEP_2) | instskip(SKIP_1) | instid1(VALU_DEP_2)
	v_add_co_u32 v11, vcc_lo, v9, v13
	s_wait_alu 0xfffd
	v_add_co_ci_u32_e64 v12, null, 0, v10, vcc_lo
	s_delay_alu instid0(VALU_DEP_2) | instskip(SKIP_1) | instid1(VALU_DEP_3)
	v_mul_lo_u32 v13, s41, v11
	v_mad_co_u64_u32 v[9:10], null, s40, v11, 0
	v_mul_lo_u32 v14, s40, v12
	s_delay_alu instid0(VALU_DEP_2) | instskip(NEXT) | instid1(VALU_DEP_2)
	v_sub_co_u32 v5, vcc_lo, v5, v9
	v_add3_u32 v10, v10, v14, v13
	s_delay_alu instid0(VALU_DEP_1) | instskip(SKIP_2) | instid1(VALU_DEP_2)
	v_sub_nc_u32_e32 v13, v7, v10
	s_wait_alu 0xfffd
	v_sub_co_ci_u32_e64 v7, null, v7, v10, vcc_lo
	v_subrev_co_ci_u32_e64 v9, null, s41, v13, vcc_lo
	v_add_co_u32 v13, s2, v11, 2
	s_wait_alu 0xf1ff
	v_add_co_ci_u32_e64 v14, null, 0, v12, s2
	v_sub_co_u32 v15, s2, v5, s40
	s_wait_alu 0xf1ff
	v_subrev_co_ci_u32_e64 v9, null, 0, v9, s2
	s_delay_alu instid0(VALU_DEP_2) | instskip(SKIP_2) | instid1(VALU_DEP_3)
	v_cmp_le_u32_e32 vcc_lo, s40, v15
	s_wait_alu 0xfffd
	v_cndmask_b32_e64 v10, 0, -1, vcc_lo
	v_cmp_le_u32_e32 vcc_lo, s41, v9
	s_wait_alu 0xfffd
	v_cndmask_b32_e64 v15, 0, -1, vcc_lo
	v_cmp_le_u32_e32 vcc_lo, s40, v5
	s_wait_alu 0xfffd
	v_cndmask_b32_e64 v5, 0, -1, vcc_lo
	v_cmp_le_u32_e32 vcc_lo, s41, v7
	s_wait_alu 0xfffd
	v_cndmask_b32_e64 v16, 0, -1, vcc_lo
	v_cmp_eq_u32_e32 vcc_lo, s41, v9
	s_wait_alu 0xfffd
	v_cndmask_b32_e32 v9, v15, v10, vcc_lo
	v_add_co_u32 v10, vcc_lo, v11, 1
	s_wait_alu 0xfffd
	v_add_co_ci_u32_e64 v15, null, 0, v12, vcc_lo
	v_cmp_eq_u32_e32 vcc_lo, s41, v7
	s_wait_alu 0xfffd
	v_cndmask_b32_e32 v5, v16, v5, vcc_lo
	v_cmp_ne_u32_e32 vcc_lo, 0, v9
	s_delay_alu instid0(VALU_DEP_2) | instskip(SKIP_4) | instid1(VALU_DEP_2)
	v_cmp_ne_u32_e64 s2, 0, v5
	s_wait_alu 0xfffd
	v_cndmask_b32_e32 v5, v10, v13, vcc_lo
	v_cndmask_b32_e32 v7, v15, v14, vcc_lo
	s_wait_alu 0xf1ff
	v_cndmask_b32_e64 v5, v11, v5, s2
	s_delay_alu instid0(VALU_DEP_2) | instskip(NEXT) | instid1(VALU_DEP_2)
	v_cndmask_b32_e64 v7, v12, v7, s2
	v_xor_b32_e32 v5, v5, v3
	s_delay_alu instid0(VALU_DEP_2) | instskip(NEXT) | instid1(VALU_DEP_2)
	v_xor_b32_e32 v7, v7, v3
	v_sub_co_u32 v10, vcc_lo, v5, v3
	s_wait_alu 0xfffd
	s_delay_alu instid0(VALU_DEP_2)
	v_sub_co_ci_u32_e64 v11, null, v7, v3, vcc_lo
.LBB41_17:                              ;   in Loop: Header=BB41_15 Depth=2
	s_wait_alu 0xfffe
	s_and_not1_saveexec_b32 s2, s42
	s_cbranch_execz .LBB41_14
; %bb.18:                               ;   in Loop: Header=BB41_15 Depth=2
	v_cvt_f32_u32_e32 v3, s30
	s_sub_co_i32 s31, 0, s30
	v_mov_b32_e32 v11, v2
	s_delay_alu instid0(VALU_DEP_2) | instskip(NEXT) | instid1(TRANS32_DEP_1)
	v_rcp_iflag_f32_e32 v3, v3
	v_mul_f32_e32 v3, 0x4f7ffffe, v3
	s_delay_alu instid0(VALU_DEP_1) | instskip(SKIP_1) | instid1(VALU_DEP_1)
	v_cvt_u32_f32_e32 v3, v3
	s_wait_alu 0xfffe
	v_mul_lo_u32 v5, s31, v3
	s_delay_alu instid0(VALU_DEP_1) | instskip(NEXT) | instid1(VALU_DEP_1)
	v_mul_hi_u32 v5, v3, v5
	v_add_nc_u32_e32 v3, v3, v5
	s_delay_alu instid0(VALU_DEP_1) | instskip(NEXT) | instid1(VALU_DEP_1)
	v_mul_hi_u32 v3, v8, v3
	v_mul_lo_u32 v5, v3, s30
	v_add_nc_u32_e32 v7, 1, v3
	s_delay_alu instid0(VALU_DEP_2) | instskip(NEXT) | instid1(VALU_DEP_1)
	v_sub_nc_u32_e32 v5, v8, v5
	v_cmp_le_u32_e32 vcc_lo, s30, v5
	v_subrev_nc_u32_e32 v9, s30, v5
	s_wait_alu 0xfffd
	v_cndmask_b32_e32 v3, v3, v7, vcc_lo
	s_delay_alu instid0(VALU_DEP_1) | instskip(NEXT) | instid1(VALU_DEP_3)
	v_add_nc_u32_e32 v7, 1, v3
	v_cndmask_b32_e32 v5, v5, v9, vcc_lo
	s_delay_alu instid0(VALU_DEP_1) | instskip(SKIP_1) | instid1(VALU_DEP_3)
	v_cmp_le_u32_e32 vcc_lo, s30, v5
	s_wait_alu 0xfffd
	v_cndmask_b32_e32 v10, v3, v7, vcc_lo
	s_branch .LBB41_14
.LBB41_19:                              ;   in Loop: Header=BB41_3 Depth=1
	s_mov_b32 s2, s20
	s_and_b32 vcc_lo, exec_lo, s52
	s_wait_alu 0xfffe
	s_mov_b32 s20, s2
	s_cbranch_vccz .LBB41_38
.LBB41_20:                              ;   Parent Loop BB41_3 Depth=1
                                        ; =>  This Inner Loop Header: Depth=2
	s_wait_alu 0xfffe
	s_lshl_b64 s[42:43], s[20:21], 2
                                        ; implicit-def: $vgpr10_vgpr11
	s_mov_b32 s2, exec_lo
	s_wait_alu 0xfffe
	s_add_nc_u64 s[36:37], s[12:13], s[42:43]
	s_load_b32 s30, s[36:37], 0x8
	s_wait_kmcnt 0x0
	s_ashr_i32 s31, s30, 31
	s_wait_alu 0xfffe
	v_or_b32_e32 v3, s31, v9
	s_delay_alu instid0(VALU_DEP_1)
	v_cmpx_ne_u64_e32 0, v[2:3]
	s_xor_b32 s29, exec_lo, s2
	s_cbranch_execz .LBB41_22
; %bb.21:                               ;   in Loop: Header=BB41_20 Depth=2
	s_ashr_i32 s34, s31, 31
	s_mov_b32 s47, s21
	s_wait_alu 0xfffe
	s_mov_b32 s35, s34
	s_mov_b32 s57, s21
	s_wait_alu 0xfffe
	s_add_nc_u64 s[38:39], s[30:31], s[34:35]
	v_ashrrev_i32_e32 v3, 31, v9
	s_wait_alu 0xfffe
	s_xor_b64 s[38:39], s[38:39], s[34:35]
	s_wait_alu 0xfffe
	s_cvt_f32_u32 s2, s38
	s_cvt_f32_u32 s31, s39
	s_sub_nc_u64 s[44:45], 0, s[38:39]
	v_add_co_u32 v5, vcc_lo, v8, v3
	s_wait_alu 0xfffe
	s_fmamk_f32 s2, s31, 0x4f800000, s2
	s_wait_alu 0xfffd
	v_add_co_ci_u32_e64 v7, null, v9, v3, vcc_lo
	v_xor_b32_e32 v5, v5, v3
	s_wait_alu 0xfffe
	v_s_rcp_f32 s2, s2
	s_delay_alu instid0(VALU_DEP_2) | instskip(SKIP_1) | instid1(TRANS32_DEP_1)
	v_xor_b32_e32 v7, v7, v3
	v_xor_b32_e32 v3, s34, v3
	s_mul_f32 s2, s2, 0x5f7ffffc
	s_wait_alu 0xfffe
	s_delay_alu instid0(SALU_CYCLE_2) | instskip(SKIP_1) | instid1(SALU_CYCLE_2)
	s_mul_f32 s31, s2, 0x2f800000
	s_wait_alu 0xfffe
	s_trunc_f32 s31, s31
	s_wait_alu 0xfffe
	s_delay_alu instid0(SALU_CYCLE_2) | instskip(SKIP_2) | instid1(SALU_CYCLE_1)
	s_fmamk_f32 s2, s31, 0xcf800000, s2
	s_cvt_u32_f32 s41, s31
	s_wait_alu 0xfffe
	s_cvt_u32_f32 s40, s2
	s_wait_alu 0xfffe
	s_delay_alu instid0(SALU_CYCLE_2)
	s_mul_u64 s[54:55], s[44:45], s[40:41]
	s_wait_alu 0xfffe
	s_mul_hi_u32 s59, s40, s55
	s_mul_i32 s58, s40, s55
	s_mul_hi_u32 s46, s40, s54
	s_mul_i32 s31, s41, s54
	s_wait_alu 0xfffe
	s_add_nc_u64 s[46:47], s[46:47], s[58:59]
	s_mul_hi_u32 s2, s41, s54
	s_mul_hi_u32 s35, s41, s55
	s_wait_alu 0xfffe
	s_add_co_u32 s31, s46, s31
	s_add_co_ci_u32 s56, s47, s2
	s_mul_i32 s54, s41, s55
	s_add_co_ci_u32 s55, s35, 0
	s_wait_alu 0xfffe
	s_add_nc_u64 s[46:47], s[56:57], s[54:55]
	s_mov_b32 s55, s21
	s_wait_alu 0xfffe
	s_add_co_u32 s40, s40, s46
	s_cselect_b32 s2, -1, 0
	s_wait_alu 0xfffe
	s_cmp_lg_u32 s2, 0
	s_add_co_ci_u32 s41, s41, s47
	s_mov_b32 s47, s21
	s_wait_alu 0xfffe
	s_mul_u64 s[44:45], s[44:45], s[40:41]
	s_wait_alu 0xfffe
	s_mul_hi_u32 s57, s40, s45
	s_mul_i32 s56, s40, s45
	s_mul_hi_u32 s54, s40, s44
	s_mul_i32 s31, s41, s44
	s_wait_alu 0xfffe
	s_add_nc_u64 s[54:55], s[54:55], s[56:57]
	s_mul_hi_u32 s2, s41, s44
	s_mul_hi_u32 s35, s41, s45
	s_wait_alu 0xfffe
	s_add_co_u32 s31, s54, s31
	s_add_co_ci_u32 s46, s55, s2
	s_mul_i32 s44, s41, s45
	s_add_co_ci_u32 s45, s35, 0
	s_wait_alu 0xfffe
	s_add_nc_u64 s[44:45], s[46:47], s[44:45]
	s_wait_alu 0xfffe
	s_add_co_u32 s2, s40, s44
	s_cselect_b32 s31, -1, 0
	s_wait_alu 0xfffe
	v_mul_hi_u32 v15, v5, s2
	s_cmp_lg_u32 s31, 0
	v_mad_co_u64_u32 v[11:12], null, v7, s2, 0
	s_add_co_ci_u32 s31, s41, s45
	s_wait_alu 0xfffe
	v_mad_co_u64_u32 v[9:10], null, v5, s31, 0
	v_mad_co_u64_u32 v[13:14], null, v7, s31, 0
	s_delay_alu instid0(VALU_DEP_2) | instskip(SKIP_1) | instid1(VALU_DEP_3)
	v_add_co_u32 v9, vcc_lo, v15, v9
	s_wait_alu 0xfffd
	v_add_co_ci_u32_e64 v10, null, 0, v10, vcc_lo
	s_delay_alu instid0(VALU_DEP_2) | instskip(SKIP_1) | instid1(VALU_DEP_2)
	v_add_co_u32 v9, vcc_lo, v9, v11
	s_wait_alu 0xfffd
	v_add_co_ci_u32_e32 v9, vcc_lo, v10, v12, vcc_lo
	s_wait_alu 0xfffd
	v_add_co_ci_u32_e32 v10, vcc_lo, 0, v14, vcc_lo
	s_delay_alu instid0(VALU_DEP_2) | instskip(SKIP_1) | instid1(VALU_DEP_2)
	v_add_co_u32 v11, vcc_lo, v9, v13
	s_wait_alu 0xfffd
	v_add_co_ci_u32_e64 v12, null, 0, v10, vcc_lo
	s_delay_alu instid0(VALU_DEP_2) | instskip(SKIP_1) | instid1(VALU_DEP_3)
	v_mul_lo_u32 v13, s39, v11
	v_mad_co_u64_u32 v[9:10], null, s38, v11, 0
	v_mul_lo_u32 v14, s38, v12
	s_delay_alu instid0(VALU_DEP_2) | instskip(NEXT) | instid1(VALU_DEP_2)
	v_sub_co_u32 v5, vcc_lo, v5, v9
	v_add3_u32 v10, v10, v14, v13
	s_delay_alu instid0(VALU_DEP_1) | instskip(SKIP_2) | instid1(VALU_DEP_2)
	v_sub_nc_u32_e32 v13, v7, v10
	s_wait_alu 0xfffd
	v_sub_co_ci_u32_e64 v7, null, v7, v10, vcc_lo
	v_subrev_co_ci_u32_e64 v9, null, s39, v13, vcc_lo
	v_add_co_u32 v13, s2, v11, 2
	s_wait_alu 0xf1ff
	v_add_co_ci_u32_e64 v14, null, 0, v12, s2
	v_sub_co_u32 v15, s2, v5, s38
	s_wait_alu 0xf1ff
	v_subrev_co_ci_u32_e64 v9, null, 0, v9, s2
	s_delay_alu instid0(VALU_DEP_2) | instskip(SKIP_2) | instid1(VALU_DEP_3)
	v_cmp_le_u32_e32 vcc_lo, s38, v15
	s_wait_alu 0xfffd
	v_cndmask_b32_e64 v10, 0, -1, vcc_lo
	v_cmp_le_u32_e32 vcc_lo, s39, v9
	s_wait_alu 0xfffd
	v_cndmask_b32_e64 v15, 0, -1, vcc_lo
	;; [unrolled: 3-line block ×4, first 2 shown]
	v_cmp_eq_u32_e32 vcc_lo, s39, v9
	s_wait_alu 0xfffd
	v_cndmask_b32_e32 v9, v15, v10, vcc_lo
	v_add_co_u32 v10, vcc_lo, v11, 1
	s_wait_alu 0xfffd
	v_add_co_ci_u32_e64 v15, null, 0, v12, vcc_lo
	v_cmp_eq_u32_e32 vcc_lo, s39, v7
	s_wait_alu 0xfffd
	v_cndmask_b32_e32 v5, v16, v5, vcc_lo
	v_cmp_ne_u32_e32 vcc_lo, 0, v9
	s_delay_alu instid0(VALU_DEP_2) | instskip(SKIP_4) | instid1(VALU_DEP_2)
	v_cmp_ne_u32_e64 s2, 0, v5
	s_wait_alu 0xfffd
	v_cndmask_b32_e32 v5, v10, v13, vcc_lo
	v_cndmask_b32_e32 v7, v15, v14, vcc_lo
	s_wait_alu 0xf1ff
	v_cndmask_b32_e64 v5, v11, v5, s2
	s_delay_alu instid0(VALU_DEP_2) | instskip(NEXT) | instid1(VALU_DEP_2)
	v_cndmask_b32_e64 v7, v12, v7, s2
	v_xor_b32_e32 v5, v5, v3
	s_delay_alu instid0(VALU_DEP_2) | instskip(NEXT) | instid1(VALU_DEP_2)
	v_xor_b32_e32 v7, v7, v3
	v_sub_co_u32 v10, vcc_lo, v5, v3
	s_wait_alu 0xfffd
	s_delay_alu instid0(VALU_DEP_2)
	v_sub_co_ci_u32_e64 v11, null, v7, v3, vcc_lo
.LBB41_22:                              ;   in Loop: Header=BB41_20 Depth=2
	s_wait_alu 0xfffe
	s_and_not1_saveexec_b32 s2, s29
	s_cbranch_execz .LBB41_24
; %bb.23:                               ;   in Loop: Header=BB41_20 Depth=2
	v_cvt_f32_u32_e32 v3, s30
	s_sub_co_i32 s29, 0, s30
	v_mov_b32_e32 v11, v2
	s_delay_alu instid0(VALU_DEP_2) | instskip(NEXT) | instid1(TRANS32_DEP_1)
	v_rcp_iflag_f32_e32 v3, v3
	v_mul_f32_e32 v3, 0x4f7ffffe, v3
	s_delay_alu instid0(VALU_DEP_1) | instskip(SKIP_1) | instid1(VALU_DEP_1)
	v_cvt_u32_f32_e32 v3, v3
	s_wait_alu 0xfffe
	v_mul_lo_u32 v5, s29, v3
	s_delay_alu instid0(VALU_DEP_1) | instskip(NEXT) | instid1(VALU_DEP_1)
	v_mul_hi_u32 v5, v3, v5
	v_add_nc_u32_e32 v3, v3, v5
	s_delay_alu instid0(VALU_DEP_1) | instskip(NEXT) | instid1(VALU_DEP_1)
	v_mul_hi_u32 v3, v8, v3
	v_mul_lo_u32 v5, v3, s30
	v_add_nc_u32_e32 v7, 1, v3
	s_delay_alu instid0(VALU_DEP_2) | instskip(NEXT) | instid1(VALU_DEP_1)
	v_sub_nc_u32_e32 v5, v8, v5
	v_cmp_le_u32_e32 vcc_lo, s30, v5
	v_subrev_nc_u32_e32 v9, s30, v5
	s_wait_alu 0xfffd
	v_cndmask_b32_e32 v3, v3, v7, vcc_lo
	s_delay_alu instid0(VALU_DEP_1) | instskip(NEXT) | instid1(VALU_DEP_3)
	v_add_nc_u32_e32 v7, 1, v3
	v_cndmask_b32_e32 v5, v5, v9, vcc_lo
	s_delay_alu instid0(VALU_DEP_1) | instskip(SKIP_1) | instid1(VALU_DEP_3)
	v_cmp_le_u32_e32 vcc_lo, s30, v5
	s_wait_alu 0xfffd
	v_cndmask_b32_e32 v10, v3, v7, vcc_lo
.LBB41_24:                              ;   in Loop: Header=BB41_20 Depth=2
	s_wait_alu 0xfffe
	s_or_b32 exec_lo, exec_lo, s2
	s_add_co_i32 s34, s20, -1
	s_mov_b32 s35, s21
	s_add_nc_u64 s[42:43], s[0:1], s[42:43]
	s_wait_alu 0xfffe
	s_lshl_b64 s[40:41], s[34:35], 2
                                        ; implicit-def: $vgpr12_vgpr13
	s_mov_b32 s2, exec_lo
	s_wait_alu 0xfffe
	s_add_nc_u64 s[38:39], s[12:13], s[40:41]
	s_clause 0x2
	s_load_b32 s34, s[38:39], 0x8
	s_load_b32 s29, s[36:37], 0x6c
	;; [unrolled: 1-line block ×3, first 2 shown]
	s_wait_kmcnt 0x0
	s_ashr_i32 s35, s34, 31
	s_wait_alu 0xfffe
	v_or_b32_e32 v3, s35, v11
	s_delay_alu instid0(VALU_DEP_1)
	v_cmpx_ne_u64_e32 0, v[2:3]
	s_xor_b32 s44, exec_lo, s2
	s_cbranch_execz .LBB41_26
; %bb.25:                               ;   in Loop: Header=BB41_20 Depth=2
	s_ashr_i32 s36, s35, 31
	s_mov_b32 s57, s21
	s_wait_alu 0xfffe
	s_mov_b32 s37, s36
	s_mov_b32 s61, s21
	s_wait_alu 0xfffe
	s_add_nc_u64 s[42:43], s[34:35], s[36:37]
	v_ashrrev_i32_e32 v3, 31, v11
	s_wait_alu 0xfffe
	s_xor_b64 s[42:43], s[42:43], s[36:37]
	s_wait_alu 0xfffe
	s_cvt_f32_u32 s2, s42
	s_cvt_f32_u32 s35, s43
	s_sub_nc_u64 s[54:55], 0, s[42:43]
	v_add_co_u32 v5, vcc_lo, v10, v3
	s_wait_alu 0xfffe
	s_fmamk_f32 s2, s35, 0x4f800000, s2
	s_wait_alu 0xfffd
	v_add_co_ci_u32_e64 v7, null, v11, v3, vcc_lo
	v_xor_b32_e32 v5, v5, v3
	s_wait_alu 0xfffe
	v_s_rcp_f32 s2, s2
	s_delay_alu instid0(VALU_DEP_2) | instskip(SKIP_1) | instid1(TRANS32_DEP_1)
	v_xor_b32_e32 v7, v7, v3
	v_xor_b32_e32 v3, s36, v3
	s_mul_f32 s2, s2, 0x5f7ffffc
	s_wait_alu 0xfffe
	s_delay_alu instid0(SALU_CYCLE_2) | instskip(SKIP_1) | instid1(SALU_CYCLE_2)
	s_mul_f32 s35, s2, 0x2f800000
	s_wait_alu 0xfffe
	s_trunc_f32 s35, s35
	s_wait_alu 0xfffe
	s_delay_alu instid0(SALU_CYCLE_2) | instskip(SKIP_2) | instid1(SALU_CYCLE_1)
	s_fmamk_f32 s2, s35, 0xcf800000, s2
	s_cvt_u32_f32 s47, s35
	s_wait_alu 0xfffe
	s_cvt_u32_f32 s46, s2
	s_wait_alu 0xfffe
	s_delay_alu instid0(SALU_CYCLE_2) | instskip(NEXT) | instid1(SALU_CYCLE_1)
	s_mul_u64 s[58:59], s[54:55], s[46:47]
	s_mul_hi_u32 s63, s46, s59
	s_mul_i32 s62, s46, s59
	s_mul_hi_u32 s56, s46, s58
	s_mul_i32 s35, s47, s58
	s_add_nc_u64 s[56:57], s[56:57], s[62:63]
	s_mul_hi_u32 s2, s47, s58
	s_mul_hi_u32 s37, s47, s59
	s_wait_alu 0xfffe
	s_add_co_u32 s35, s56, s35
	s_add_co_ci_u32 s60, s57, s2
	s_mul_i32 s58, s47, s59
	s_add_co_ci_u32 s59, s37, 0
	s_delay_alu instid0(SALU_CYCLE_1)
	s_add_nc_u64 s[56:57], s[60:61], s[58:59]
	s_mov_b32 s59, s21
	s_add_co_u32 s46, s46, s56
	s_cselect_b32 s2, -1, 0
	s_wait_alu 0xfffe
	s_cmp_lg_u32 s2, 0
	s_add_co_ci_u32 s47, s47, s57
	s_mov_b32 s57, s21
	s_wait_alu 0xfffe
	s_mul_u64 s[54:55], s[54:55], s[46:47]
	s_wait_alu 0xfffe
	s_mul_hi_u32 s61, s46, s55
	s_mul_i32 s60, s46, s55
	s_mul_hi_u32 s58, s46, s54
	s_mul_i32 s35, s47, s54
	s_add_nc_u64 s[58:59], s[58:59], s[60:61]
	s_mul_hi_u32 s2, s47, s54
	s_mul_hi_u32 s37, s47, s55
	s_wait_alu 0xfffe
	s_add_co_u32 s35, s58, s35
	s_add_co_ci_u32 s56, s59, s2
	s_mul_i32 s54, s47, s55
	s_add_co_ci_u32 s55, s37, 0
	s_wait_alu 0xfffe
	s_add_nc_u64 s[54:55], s[56:57], s[54:55]
	s_wait_alu 0xfffe
	s_add_co_u32 s2, s46, s54
	s_cselect_b32 s35, -1, 0
	s_wait_alu 0xfffe
	v_mul_hi_u32 v9, v5, s2
	s_cmp_lg_u32 s35, 0
	v_mad_co_u64_u32 v[13:14], null, v7, s2, 0
	s_add_co_ci_u32 s35, s47, s55
	s_wait_alu 0xfffe
	v_mad_co_u64_u32 v[11:12], null, v5, s35, 0
	v_mad_co_u64_u32 v[15:16], null, v7, s35, 0
	s_delay_alu instid0(VALU_DEP_2) | instskip(SKIP_1) | instid1(VALU_DEP_3)
	v_add_co_u32 v9, vcc_lo, v9, v11
	s_wait_alu 0xfffd
	v_add_co_ci_u32_e64 v11, null, 0, v12, vcc_lo
	s_delay_alu instid0(VALU_DEP_2) | instskip(SKIP_1) | instid1(VALU_DEP_2)
	v_add_co_u32 v9, vcc_lo, v9, v13
	s_wait_alu 0xfffd
	v_add_co_ci_u32_e32 v9, vcc_lo, v11, v14, vcc_lo
	s_wait_alu 0xfffd
	v_add_co_ci_u32_e32 v11, vcc_lo, 0, v16, vcc_lo
	s_delay_alu instid0(VALU_DEP_2) | instskip(SKIP_1) | instid1(VALU_DEP_2)
	v_add_co_u32 v9, vcc_lo, v9, v15
	s_wait_alu 0xfffd
	v_add_co_ci_u32_e64 v13, null, 0, v11, vcc_lo
	s_delay_alu instid0(VALU_DEP_2) | instskip(SKIP_1) | instid1(VALU_DEP_3)
	v_mul_lo_u32 v14, s43, v9
	v_mad_co_u64_u32 v[11:12], null, s42, v9, 0
	v_mul_lo_u32 v15, s42, v13
	s_delay_alu instid0(VALU_DEP_2) | instskip(NEXT) | instid1(VALU_DEP_2)
	v_sub_co_u32 v5, vcc_lo, v5, v11
	v_add3_u32 v12, v12, v15, v14
	s_delay_alu instid0(VALU_DEP_1) | instskip(SKIP_2) | instid1(VALU_DEP_2)
	v_sub_nc_u32_e32 v14, v7, v12
	s_wait_alu 0xfffd
	v_sub_co_ci_u32_e64 v7, null, v7, v12, vcc_lo
	v_subrev_co_ci_u32_e64 v11, null, s43, v14, vcc_lo
	v_add_co_u32 v14, s2, v9, 2
	s_wait_alu 0xf1ff
	v_add_co_ci_u32_e64 v15, null, 0, v13, s2
	v_sub_co_u32 v16, s2, v5, s42
	s_wait_alu 0xf1ff
	v_subrev_co_ci_u32_e64 v11, null, 0, v11, s2
	s_delay_alu instid0(VALU_DEP_2) | instskip(SKIP_2) | instid1(VALU_DEP_3)
	v_cmp_le_u32_e32 vcc_lo, s42, v16
	s_wait_alu 0xfffd
	v_cndmask_b32_e64 v12, 0, -1, vcc_lo
	v_cmp_le_u32_e32 vcc_lo, s43, v11
	s_wait_alu 0xfffd
	v_cndmask_b32_e64 v16, 0, -1, vcc_lo
	;; [unrolled: 3-line block ×4, first 2 shown]
	v_cmp_eq_u32_e32 vcc_lo, s43, v11
	s_wait_alu 0xfffd
	v_cndmask_b32_e32 v11, v16, v12, vcc_lo
	v_add_co_u32 v12, vcc_lo, v9, 1
	s_wait_alu 0xfffd
	v_add_co_ci_u32_e64 v16, null, 0, v13, vcc_lo
	v_cmp_eq_u32_e32 vcc_lo, s43, v7
	s_wait_alu 0xfffd
	v_cndmask_b32_e32 v5, v17, v5, vcc_lo
	v_cmp_ne_u32_e32 vcc_lo, 0, v11
	s_delay_alu instid0(VALU_DEP_2) | instskip(SKIP_4) | instid1(VALU_DEP_2)
	v_cmp_ne_u32_e64 s2, 0, v5
	s_wait_alu 0xfffd
	v_cndmask_b32_e32 v5, v12, v14, vcc_lo
	v_cndmask_b32_e32 v7, v16, v15, vcc_lo
	s_wait_alu 0xf1ff
	v_cndmask_b32_e64 v5, v9, v5, s2
	s_delay_alu instid0(VALU_DEP_2) | instskip(NEXT) | instid1(VALU_DEP_2)
	v_cndmask_b32_e64 v7, v13, v7, s2
	v_xor_b32_e32 v5, v5, v3
	s_delay_alu instid0(VALU_DEP_2) | instskip(NEXT) | instid1(VALU_DEP_2)
	v_xor_b32_e32 v7, v7, v3
	v_sub_co_u32 v12, vcc_lo, v5, v3
	s_wait_alu 0xfffd
	s_delay_alu instid0(VALU_DEP_2)
	v_sub_co_ci_u32_e64 v13, null, v7, v3, vcc_lo
.LBB41_26:                              ;   in Loop: Header=BB41_20 Depth=2
	s_wait_alu 0xfffe
	s_and_not1_saveexec_b32 s2, s44
	s_cbranch_execz .LBB41_28
; %bb.27:                               ;   in Loop: Header=BB41_20 Depth=2
	v_cvt_f32_u32_e32 v3, s34
	s_sub_co_i32 s35, 0, s34
	v_mov_b32_e32 v13, v2
	s_delay_alu instid0(VALU_DEP_2) | instskip(NEXT) | instid1(TRANS32_DEP_1)
	v_rcp_iflag_f32_e32 v3, v3
	v_mul_f32_e32 v3, 0x4f7ffffe, v3
	s_delay_alu instid0(VALU_DEP_1) | instskip(SKIP_1) | instid1(VALU_DEP_1)
	v_cvt_u32_f32_e32 v3, v3
	s_wait_alu 0xfffe
	v_mul_lo_u32 v5, s35, v3
	s_delay_alu instid0(VALU_DEP_1) | instskip(NEXT) | instid1(VALU_DEP_1)
	v_mul_hi_u32 v5, v3, v5
	v_add_nc_u32_e32 v3, v3, v5
	s_delay_alu instid0(VALU_DEP_1) | instskip(NEXT) | instid1(VALU_DEP_1)
	v_mul_hi_u32 v3, v10, v3
	v_mul_lo_u32 v5, v3, s34
	v_add_nc_u32_e32 v7, 1, v3
	s_delay_alu instid0(VALU_DEP_2) | instskip(NEXT) | instid1(VALU_DEP_1)
	v_sub_nc_u32_e32 v5, v10, v5
	v_cmp_le_u32_e32 vcc_lo, s34, v5
	v_subrev_nc_u32_e32 v9, s34, v5
	s_wait_alu 0xfffd
	v_cndmask_b32_e32 v3, v3, v7, vcc_lo
	s_delay_alu instid0(VALU_DEP_1) | instskip(NEXT) | instid1(VALU_DEP_3)
	v_add_nc_u32_e32 v7, 1, v3
	v_cndmask_b32_e32 v5, v5, v9, vcc_lo
	s_delay_alu instid0(VALU_DEP_1) | instskip(SKIP_1) | instid1(VALU_DEP_3)
	v_cmp_le_u32_e32 vcc_lo, s34, v5
	s_wait_alu 0xfffd
	v_cndmask_b32_e32 v12, v3, v7, vcc_lo
.LBB41_28:                              ;   in Loop: Header=BB41_20 Depth=2
	s_wait_alu 0xfffe
	s_or_b32 exec_lo, exec_lo, s2
	s_add_co_i32 s36, s20, -2
	s_mov_b32 s37, s21
	s_add_nc_u64 s[40:41], s[0:1], s[40:41]
	s_wait_alu 0xfffe
	s_lshl_b64 s[46:47], s[36:37], 2
                                        ; implicit-def: $vgpr14_vgpr15
	s_mov_b32 s2, exec_lo
	s_wait_alu 0xfffe
	s_add_nc_u64 s[44:45], s[12:13], s[46:47]
	s_clause 0x2
	s_load_b32 s36, s[44:45], 0x8
	s_load_b32 s35, s[38:39], 0x6c
	;; [unrolled: 1-line block ×3, first 2 shown]
	s_wait_kmcnt 0x0
	s_ashr_i32 s37, s36, 31
	s_wait_alu 0xfffe
	v_or_b32_e32 v3, s37, v13
	s_delay_alu instid0(VALU_DEP_1)
	v_cmpx_ne_u64_e32 0, v[2:3]
	s_xor_b32 s42, exec_lo, s2
	s_cbranch_execz .LBB41_30
; %bb.29:                               ;   in Loop: Header=BB41_20 Depth=2
	s_ashr_i32 s38, s37, 31
	s_mov_b32 s61, s21
	s_wait_alu 0xfffe
	s_mov_b32 s39, s38
	s_mov_b32 s65, s21
	s_wait_alu 0xfffe
	s_add_nc_u64 s[40:41], s[36:37], s[38:39]
	v_ashrrev_i32_e32 v3, 31, v13
	s_wait_alu 0xfffe
	s_xor_b64 s[40:41], s[40:41], s[38:39]
	s_wait_alu 0xfffe
	s_cvt_f32_u32 s2, s40
	s_cvt_f32_u32 s37, s41
	s_sub_nc_u64 s[58:59], 0, s[40:41]
	v_add_co_u32 v5, vcc_lo, v12, v3
	s_wait_alu 0xfffe
	s_fmamk_f32 s2, s37, 0x4f800000, s2
	s_wait_alu 0xfffd
	v_add_co_ci_u32_e64 v7, null, v13, v3, vcc_lo
	v_xor_b32_e32 v5, v5, v3
	s_wait_alu 0xfffe
	v_s_rcp_f32 s2, s2
	s_delay_alu instid0(VALU_DEP_2) | instskip(SKIP_1) | instid1(TRANS32_DEP_1)
	v_xor_b32_e32 v7, v7, v3
	v_xor_b32_e32 v3, s38, v3
	s_mul_f32 s2, s2, 0x5f7ffffc
	s_wait_alu 0xfffe
	s_delay_alu instid0(SALU_CYCLE_2) | instskip(SKIP_1) | instid1(SALU_CYCLE_2)
	s_mul_f32 s37, s2, 0x2f800000
	s_wait_alu 0xfffe
	s_trunc_f32 s37, s37
	s_wait_alu 0xfffe
	s_delay_alu instid0(SALU_CYCLE_2) | instskip(SKIP_2) | instid1(SALU_CYCLE_1)
	s_fmamk_f32 s2, s37, 0xcf800000, s2
	s_cvt_u32_f32 s57, s37
	s_wait_alu 0xfffe
	s_cvt_u32_f32 s56, s2
	s_delay_alu instid0(SALU_CYCLE_3) | instskip(NEXT) | instid1(SALU_CYCLE_1)
	s_mul_u64 s[62:63], s[58:59], s[56:57]
	s_mul_hi_u32 s67, s56, s63
	s_mul_i32 s66, s56, s63
	s_mul_hi_u32 s60, s56, s62
	s_mul_i32 s37, s57, s62
	s_add_nc_u64 s[60:61], s[60:61], s[66:67]
	s_mul_hi_u32 s2, s57, s62
	s_mul_hi_u32 s39, s57, s63
	s_wait_alu 0xfffe
	s_add_co_u32 s37, s60, s37
	s_add_co_ci_u32 s64, s61, s2
	s_mul_i32 s62, s57, s63
	s_add_co_ci_u32 s63, s39, 0
	s_delay_alu instid0(SALU_CYCLE_1)
	s_add_nc_u64 s[60:61], s[64:65], s[62:63]
	s_mov_b32 s63, s21
	s_add_co_u32 s56, s56, s60
	s_cselect_b32 s2, -1, 0
	s_wait_alu 0xfffe
	s_cmp_lg_u32 s2, 0
	s_add_co_ci_u32 s57, s57, s61
	s_mov_b32 s61, s21
	s_mul_u64 s[58:59], s[58:59], s[56:57]
	s_delay_alu instid0(SALU_CYCLE_1)
	s_mul_hi_u32 s65, s56, s59
	s_mul_i32 s64, s56, s59
	s_mul_hi_u32 s62, s56, s58
	s_mul_i32 s37, s57, s58
	s_add_nc_u64 s[62:63], s[62:63], s[64:65]
	s_mul_hi_u32 s2, s57, s58
	s_mul_hi_u32 s39, s57, s59
	s_wait_alu 0xfffe
	s_add_co_u32 s37, s62, s37
	s_add_co_ci_u32 s60, s63, s2
	s_mul_i32 s58, s57, s59
	s_add_co_ci_u32 s59, s39, 0
	s_delay_alu instid0(SALU_CYCLE_1) | instskip(NEXT) | instid1(SALU_CYCLE_1)
	s_add_nc_u64 s[58:59], s[60:61], s[58:59]
	s_add_co_u32 s2, s56, s58
	s_cselect_b32 s37, -1, 0
	s_wait_alu 0xfffe
	v_mul_hi_u32 v9, v5, s2
	s_cmp_lg_u32 s37, 0
	v_mad_co_u64_u32 v[15:16], null, v7, s2, 0
	s_add_co_ci_u32 s37, s57, s59
	s_wait_alu 0xfffe
	v_mad_co_u64_u32 v[13:14], null, v5, s37, 0
	v_mad_co_u64_u32 v[22:23], null, v7, s37, 0
	s_delay_alu instid0(VALU_DEP_2) | instskip(SKIP_1) | instid1(VALU_DEP_3)
	v_add_co_u32 v9, vcc_lo, v9, v13
	s_wait_alu 0xfffd
	v_add_co_ci_u32_e64 v11, null, 0, v14, vcc_lo
	s_delay_alu instid0(VALU_DEP_2) | instskip(SKIP_1) | instid1(VALU_DEP_2)
	v_add_co_u32 v9, vcc_lo, v9, v15
	s_wait_alu 0xfffd
	v_add_co_ci_u32_e32 v9, vcc_lo, v11, v16, vcc_lo
	s_wait_alu 0xfffd
	v_add_co_ci_u32_e32 v11, vcc_lo, 0, v23, vcc_lo
	s_delay_alu instid0(VALU_DEP_2) | instskip(SKIP_1) | instid1(VALU_DEP_2)
	v_add_co_u32 v9, vcc_lo, v9, v22
	s_wait_alu 0xfffd
	v_add_co_ci_u32_e64 v11, null, 0, v11, vcc_lo
	s_delay_alu instid0(VALU_DEP_2) | instskip(SKIP_1) | instid1(VALU_DEP_3)
	v_mul_lo_u32 v15, s41, v9
	v_mad_co_u64_u32 v[13:14], null, s40, v9, 0
	v_mul_lo_u32 v16, s40, v11
	s_delay_alu instid0(VALU_DEP_2) | instskip(NEXT) | instid1(VALU_DEP_2)
	v_sub_co_u32 v5, vcc_lo, v5, v13
	v_add3_u32 v14, v14, v16, v15
	s_delay_alu instid0(VALU_DEP_1) | instskip(SKIP_2) | instid1(VALU_DEP_2)
	v_sub_nc_u32_e32 v15, v7, v14
	s_wait_alu 0xfffd
	v_sub_co_ci_u32_e64 v7, null, v7, v14, vcc_lo
	v_subrev_co_ci_u32_e64 v13, null, s41, v15, vcc_lo
	v_add_co_u32 v15, s2, v9, 2
	s_wait_alu 0xf1ff
	v_add_co_ci_u32_e64 v16, null, 0, v11, s2
	v_sub_co_u32 v17, s2, v5, s40
	s_wait_alu 0xf1ff
	v_subrev_co_ci_u32_e64 v13, null, 0, v13, s2
	s_delay_alu instid0(VALU_DEP_2) | instskip(SKIP_2) | instid1(VALU_DEP_3)
	v_cmp_le_u32_e32 vcc_lo, s40, v17
	s_wait_alu 0xfffd
	v_cndmask_b32_e64 v14, 0, -1, vcc_lo
	v_cmp_le_u32_e32 vcc_lo, s41, v13
	s_wait_alu 0xfffd
	v_cndmask_b32_e64 v17, 0, -1, vcc_lo
	;; [unrolled: 3-line block ×4, first 2 shown]
	v_cmp_eq_u32_e32 vcc_lo, s41, v13
	s_wait_alu 0xfffd
	v_cndmask_b32_e32 v13, v17, v14, vcc_lo
	v_add_co_u32 v14, vcc_lo, v9, 1
	s_wait_alu 0xfffd
	v_add_co_ci_u32_e64 v17, null, 0, v11, vcc_lo
	v_cmp_eq_u32_e32 vcc_lo, s41, v7
	s_wait_alu 0xfffd
	v_cndmask_b32_e32 v5, v22, v5, vcc_lo
	v_cmp_ne_u32_e32 vcc_lo, 0, v13
	s_delay_alu instid0(VALU_DEP_2) | instskip(SKIP_4) | instid1(VALU_DEP_2)
	v_cmp_ne_u32_e64 s2, 0, v5
	s_wait_alu 0xfffd
	v_cndmask_b32_e32 v5, v14, v15, vcc_lo
	v_cndmask_b32_e32 v7, v17, v16, vcc_lo
	s_wait_alu 0xf1ff
	v_cndmask_b32_e64 v5, v9, v5, s2
	s_delay_alu instid0(VALU_DEP_2) | instskip(NEXT) | instid1(VALU_DEP_2)
	v_cndmask_b32_e64 v7, v11, v7, s2
	v_xor_b32_e32 v5, v5, v3
	s_delay_alu instid0(VALU_DEP_2) | instskip(NEXT) | instid1(VALU_DEP_2)
	v_xor_b32_e32 v7, v7, v3
	v_sub_co_u32 v14, vcc_lo, v5, v3
	s_wait_alu 0xfffd
	s_delay_alu instid0(VALU_DEP_2)
	v_sub_co_ci_u32_e64 v15, null, v7, v3, vcc_lo
.LBB41_30:                              ;   in Loop: Header=BB41_20 Depth=2
	s_wait_alu 0xfffe
	s_and_not1_saveexec_b32 s2, s42
	s_cbranch_execz .LBB41_32
; %bb.31:                               ;   in Loop: Header=BB41_20 Depth=2
	v_cvt_f32_u32_e32 v3, s36
	s_sub_co_i32 s37, 0, s36
	v_mov_b32_e32 v15, v2
	s_delay_alu instid0(VALU_DEP_2) | instskip(NEXT) | instid1(TRANS32_DEP_1)
	v_rcp_iflag_f32_e32 v3, v3
	v_mul_f32_e32 v3, 0x4f7ffffe, v3
	s_delay_alu instid0(VALU_DEP_1) | instskip(SKIP_1) | instid1(VALU_DEP_1)
	v_cvt_u32_f32_e32 v3, v3
	s_wait_alu 0xfffe
	v_mul_lo_u32 v5, s37, v3
	s_delay_alu instid0(VALU_DEP_1) | instskip(NEXT) | instid1(VALU_DEP_1)
	v_mul_hi_u32 v5, v3, v5
	v_add_nc_u32_e32 v3, v3, v5
	s_delay_alu instid0(VALU_DEP_1) | instskip(NEXT) | instid1(VALU_DEP_1)
	v_mul_hi_u32 v3, v12, v3
	v_mul_lo_u32 v5, v3, s36
	v_add_nc_u32_e32 v7, 1, v3
	s_delay_alu instid0(VALU_DEP_2) | instskip(NEXT) | instid1(VALU_DEP_1)
	v_sub_nc_u32_e32 v5, v12, v5
	v_cmp_le_u32_e32 vcc_lo, s36, v5
	v_subrev_nc_u32_e32 v9, s36, v5
	s_wait_alu 0xfffd
	v_cndmask_b32_e32 v3, v3, v7, vcc_lo
	s_delay_alu instid0(VALU_DEP_1) | instskip(NEXT) | instid1(VALU_DEP_3)
	v_add_nc_u32_e32 v7, 1, v3
	v_cndmask_b32_e32 v5, v5, v9, vcc_lo
	s_delay_alu instid0(VALU_DEP_1) | instskip(SKIP_1) | instid1(VALU_DEP_3)
	v_cmp_le_u32_e32 vcc_lo, s36, v5
	s_wait_alu 0xfffd
	v_cndmask_b32_e32 v14, v3, v7, vcc_lo
.LBB41_32:                              ;   in Loop: Header=BB41_20 Depth=2
	s_wait_alu 0xfffe
	s_or_b32 exec_lo, exec_lo, s2
	s_add_co_i32 s38, s20, -3
	s_mov_b32 s39, s21
	s_add_nc_u64 s[46:47], s[0:1], s[46:47]
	s_wait_alu 0xfffe
	s_lshl_b64 s[42:43], s[38:39], 2
                                        ; implicit-def: $vgpr16_vgpr17
	s_mov_b32 s2, exec_lo
	s_wait_alu 0xfffe
	s_add_nc_u64 s[40:41], s[12:13], s[42:43]
	s_clause 0x2
	s_load_b32 s38, s[40:41], 0x8
	s_load_b32 s37, s[44:45], 0x6c
	;; [unrolled: 1-line block ×3, first 2 shown]
	s_wait_kmcnt 0x0
	s_ashr_i32 s39, s38, 31
	s_wait_alu 0xfffe
	v_or_b32_e32 v3, s39, v15
	s_delay_alu instid0(VALU_DEP_1)
	v_cmpx_ne_u64_e32 0, v[2:3]
	s_xor_b32 s56, exec_lo, s2
	s_cbranch_execz .LBB41_34
; %bb.33:                               ;   in Loop: Header=BB41_20 Depth=2
	s_ashr_i32 s44, s39, 31
	s_mov_b32 s63, s21
	s_wait_alu 0xfffe
	s_mov_b32 s45, s44
	s_mov_b32 s67, s21
	s_wait_alu 0xfffe
	s_add_nc_u64 s[46:47], s[38:39], s[44:45]
	v_ashrrev_i32_e32 v3, 31, v15
	s_wait_alu 0xfffe
	s_xor_b64 s[46:47], s[46:47], s[44:45]
	s_wait_alu 0xfffe
	s_cvt_f32_u32 s2, s46
	s_cvt_f32_u32 s39, s47
	s_sub_nc_u64 s[60:61], 0, s[46:47]
	v_add_co_u32 v5, vcc_lo, v14, v3
	s_wait_alu 0xfffe
	s_fmamk_f32 s2, s39, 0x4f800000, s2
	s_wait_alu 0xfffd
	v_add_co_ci_u32_e64 v7, null, v15, v3, vcc_lo
	v_xor_b32_e32 v5, v5, v3
	s_wait_alu 0xfffe
	v_s_rcp_f32 s2, s2
	s_delay_alu instid0(VALU_DEP_2) | instskip(SKIP_1) | instid1(TRANS32_DEP_1)
	v_xor_b32_e32 v7, v7, v3
	v_xor_b32_e32 v3, s44, v3
	s_mul_f32 s2, s2, 0x5f7ffffc
	s_wait_alu 0xfffe
	s_delay_alu instid0(SALU_CYCLE_2) | instskip(SKIP_1) | instid1(SALU_CYCLE_2)
	s_mul_f32 s39, s2, 0x2f800000
	s_wait_alu 0xfffe
	s_trunc_f32 s39, s39
	s_wait_alu 0xfffe
	s_delay_alu instid0(SALU_CYCLE_2) | instskip(SKIP_2) | instid1(SALU_CYCLE_1)
	s_fmamk_f32 s2, s39, 0xcf800000, s2
	s_cvt_u32_f32 s59, s39
	s_wait_alu 0xfffe
	s_cvt_u32_f32 s58, s2
	s_delay_alu instid0(SALU_CYCLE_3) | instskip(NEXT) | instid1(SALU_CYCLE_1)
	s_mul_u64 s[64:65], s[60:61], s[58:59]
	s_mul_hi_u32 s69, s58, s65
	s_mul_i32 s68, s58, s65
	s_mul_hi_u32 s62, s58, s64
	s_mul_i32 s39, s59, s64
	s_add_nc_u64 s[62:63], s[62:63], s[68:69]
	s_mul_hi_u32 s2, s59, s64
	s_mul_hi_u32 s45, s59, s65
	s_wait_alu 0xfffe
	s_add_co_u32 s39, s62, s39
	s_add_co_ci_u32 s66, s63, s2
	s_mul_i32 s64, s59, s65
	s_add_co_ci_u32 s65, s45, 0
	s_delay_alu instid0(SALU_CYCLE_1)
	s_add_nc_u64 s[62:63], s[66:67], s[64:65]
	s_mov_b32 s65, s21
	s_add_co_u32 s58, s58, s62
	s_cselect_b32 s2, -1, 0
	s_wait_alu 0xfffe
	s_cmp_lg_u32 s2, 0
	s_add_co_ci_u32 s59, s59, s63
	s_mov_b32 s63, s21
	s_mul_u64 s[60:61], s[60:61], s[58:59]
	s_delay_alu instid0(SALU_CYCLE_1)
	s_mul_hi_u32 s67, s58, s61
	s_mul_i32 s66, s58, s61
	s_mul_hi_u32 s64, s58, s60
	s_mul_i32 s39, s59, s60
	s_add_nc_u64 s[64:65], s[64:65], s[66:67]
	s_mul_hi_u32 s2, s59, s60
	s_mul_hi_u32 s45, s59, s61
	s_wait_alu 0xfffe
	s_add_co_u32 s39, s64, s39
	s_add_co_ci_u32 s62, s65, s2
	s_mul_i32 s60, s59, s61
	s_add_co_ci_u32 s61, s45, 0
	s_delay_alu instid0(SALU_CYCLE_1) | instskip(NEXT) | instid1(SALU_CYCLE_1)
	s_add_nc_u64 s[60:61], s[62:63], s[60:61]
	s_add_co_u32 s2, s58, s60
	s_cselect_b32 s39, -1, 0
	s_wait_alu 0xfffe
	v_mul_hi_u32 v9, v5, s2
	s_cmp_lg_u32 s39, 0
	v_mad_co_u64_u32 v[22:23], null, v7, s2, 0
	s_add_co_ci_u32 s39, s59, s61
	s_wait_alu 0xfffe
	v_mad_co_u64_u32 v[15:16], null, v5, s39, 0
	v_mad_co_u64_u32 v[24:25], null, v7, s39, 0
	s_delay_alu instid0(VALU_DEP_2) | instskip(SKIP_1) | instid1(VALU_DEP_3)
	v_add_co_u32 v9, vcc_lo, v9, v15
	s_wait_alu 0xfffd
	v_add_co_ci_u32_e64 v11, null, 0, v16, vcc_lo
	s_delay_alu instid0(VALU_DEP_2) | instskip(SKIP_1) | instid1(VALU_DEP_2)
	v_add_co_u32 v9, vcc_lo, v9, v22
	s_wait_alu 0xfffd
	v_add_co_ci_u32_e32 v9, vcc_lo, v11, v23, vcc_lo
	s_wait_alu 0xfffd
	v_add_co_ci_u32_e32 v11, vcc_lo, 0, v25, vcc_lo
	s_delay_alu instid0(VALU_DEP_2) | instskip(SKIP_1) | instid1(VALU_DEP_2)
	v_add_co_u32 v9, vcc_lo, v9, v24
	s_wait_alu 0xfffd
	v_add_co_ci_u32_e64 v11, null, 0, v11, vcc_lo
	s_delay_alu instid0(VALU_DEP_2) | instskip(SKIP_1) | instid1(VALU_DEP_3)
	v_mul_lo_u32 v13, s47, v9
	v_mad_co_u64_u32 v[15:16], null, s46, v9, 0
	v_mul_lo_u32 v17, s46, v11
	s_delay_alu instid0(VALU_DEP_2) | instskip(NEXT) | instid1(VALU_DEP_2)
	v_sub_co_u32 v5, vcc_lo, v5, v15
	v_add3_u32 v13, v16, v17, v13
	s_delay_alu instid0(VALU_DEP_1) | instskip(SKIP_2) | instid1(VALU_DEP_2)
	v_sub_nc_u32_e32 v16, v7, v13
	s_wait_alu 0xfffd
	v_sub_co_ci_u32_e64 v7, null, v7, v13, vcc_lo
	v_subrev_co_ci_u32_e64 v15, null, s47, v16, vcc_lo
	v_add_co_u32 v16, s2, v9, 2
	s_wait_alu 0xf1ff
	v_add_co_ci_u32_e64 v17, null, 0, v11, s2
	v_sub_co_u32 v22, s2, v5, s46
	s_wait_alu 0xf1ff
	v_subrev_co_ci_u32_e64 v15, null, 0, v15, s2
	s_delay_alu instid0(VALU_DEP_2) | instskip(SKIP_2) | instid1(VALU_DEP_3)
	v_cmp_le_u32_e32 vcc_lo, s46, v22
	s_wait_alu 0xfffd
	v_cndmask_b32_e64 v13, 0, -1, vcc_lo
	v_cmp_le_u32_e32 vcc_lo, s47, v15
	s_wait_alu 0xfffd
	v_cndmask_b32_e64 v22, 0, -1, vcc_lo
	v_cmp_le_u32_e32 vcc_lo, s46, v5
	s_wait_alu 0xfffd
	v_cndmask_b32_e64 v5, 0, -1, vcc_lo
	v_cmp_le_u32_e32 vcc_lo, s47, v7
	s_wait_alu 0xfffd
	v_cndmask_b32_e64 v23, 0, -1, vcc_lo
	v_cmp_eq_u32_e32 vcc_lo, s47, v15
	s_wait_alu 0xfffd
	v_cndmask_b32_e32 v13, v22, v13, vcc_lo
	v_add_co_u32 v15, vcc_lo, v9, 1
	s_wait_alu 0xfffd
	v_add_co_ci_u32_e64 v22, null, 0, v11, vcc_lo
	v_cmp_eq_u32_e32 vcc_lo, s47, v7
	s_wait_alu 0xfffd
	v_cndmask_b32_e32 v5, v23, v5, vcc_lo
	v_cmp_ne_u32_e32 vcc_lo, 0, v13
	s_delay_alu instid0(VALU_DEP_2) | instskip(SKIP_4) | instid1(VALU_DEP_2)
	v_cmp_ne_u32_e64 s2, 0, v5
	s_wait_alu 0xfffd
	v_cndmask_b32_e32 v5, v15, v16, vcc_lo
	v_cndmask_b32_e32 v7, v22, v17, vcc_lo
	s_wait_alu 0xf1ff
	v_cndmask_b32_e64 v5, v9, v5, s2
	s_delay_alu instid0(VALU_DEP_2) | instskip(NEXT) | instid1(VALU_DEP_2)
	v_cndmask_b32_e64 v7, v11, v7, s2
	v_xor_b32_e32 v5, v5, v3
	s_delay_alu instid0(VALU_DEP_2) | instskip(NEXT) | instid1(VALU_DEP_2)
	v_xor_b32_e32 v7, v7, v3
	v_sub_co_u32 v16, vcc_lo, v5, v3
	s_wait_alu 0xfffd
	s_delay_alu instid0(VALU_DEP_2)
	v_sub_co_ci_u32_e64 v17, null, v7, v3, vcc_lo
.LBB41_34:                              ;   in Loop: Header=BB41_20 Depth=2
	s_and_not1_saveexec_b32 s2, s56
	s_cbranch_execz .LBB41_36
; %bb.35:                               ;   in Loop: Header=BB41_20 Depth=2
	v_cvt_f32_u32_e32 v3, s38
	s_sub_co_i32 s39, 0, s38
	v_mov_b32_e32 v17, v2
	s_delay_alu instid0(VALU_DEP_2) | instskip(NEXT) | instid1(TRANS32_DEP_1)
	v_rcp_iflag_f32_e32 v3, v3
	v_mul_f32_e32 v3, 0x4f7ffffe, v3
	s_delay_alu instid0(VALU_DEP_1) | instskip(SKIP_1) | instid1(VALU_DEP_1)
	v_cvt_u32_f32_e32 v3, v3
	s_wait_alu 0xfffe
	v_mul_lo_u32 v5, s39, v3
	s_delay_alu instid0(VALU_DEP_1) | instskip(NEXT) | instid1(VALU_DEP_1)
	v_mul_hi_u32 v5, v3, v5
	v_add_nc_u32_e32 v3, v3, v5
	s_delay_alu instid0(VALU_DEP_1) | instskip(NEXT) | instid1(VALU_DEP_1)
	v_mul_hi_u32 v3, v14, v3
	v_mul_lo_u32 v5, v3, s38
	v_add_nc_u32_e32 v7, 1, v3
	s_delay_alu instid0(VALU_DEP_2) | instskip(NEXT) | instid1(VALU_DEP_1)
	v_sub_nc_u32_e32 v5, v14, v5
	v_cmp_le_u32_e32 vcc_lo, s38, v5
	v_subrev_nc_u32_e32 v9, s38, v5
	s_wait_alu 0xfffd
	v_cndmask_b32_e32 v3, v3, v7, vcc_lo
	s_delay_alu instid0(VALU_DEP_1) | instskip(NEXT) | instid1(VALU_DEP_3)
	v_add_nc_u32_e32 v7, 1, v3
	v_cndmask_b32_e32 v5, v5, v9, vcc_lo
	s_delay_alu instid0(VALU_DEP_1) | instskip(SKIP_1) | instid1(VALU_DEP_3)
	v_cmp_le_u32_e32 vcc_lo, s38, v5
	s_wait_alu 0xfffd
	v_cndmask_b32_e32 v16, v3, v7, vcc_lo
.LBB41_36:                              ;   in Loop: Header=BB41_20 Depth=2
	s_wait_alu 0xfffe
	s_or_b32 exec_lo, exec_lo, s2
	s_add_nc_u64 s[42:43], s[0:1], s[42:43]
	v_mul_lo_u32 v3, v10, s30
	s_clause 0x1
	s_load_b32 s2, s[40:41], 0x6c
	s_load_b32 s30, s[42:43], 0x6c
	v_mul_lo_u32 v5, v12, s34
	v_mul_lo_u32 v7, v14, s36
	v_mul_lo_u32 v9, v16, s38
	s_add_co_i32 s20, s20, -4
	s_wait_alu 0xfffe
	s_cmp_eq_u32 s20, -1
	v_sub_nc_u32_e32 v3, v8, v3
	s_delay_alu instid0(VALU_DEP_4) | instskip(NEXT) | instid1(VALU_DEP_4)
	v_sub_nc_u32_e32 v5, v10, v5
	v_sub_nc_u32_e32 v7, v12, v7
	s_delay_alu instid0(VALU_DEP_4) | instskip(NEXT) | instid1(VALU_DEP_4)
	v_sub_nc_u32_e32 v8, v14, v9
	v_mul_lo_u32 v9, s29, v3
	v_mul_lo_u32 v3, s31, v3
	;; [unrolled: 1-line block ×6, first 2 shown]
	s_wait_kmcnt 0x0
	v_mul_lo_u32 v12, s2, v8
	v_mul_lo_u32 v8, s30, v8
	v_add3_u32 v6, v9, v6, v10
	v_add3_u32 v3, v3, v4, v5
	s_delay_alu instid0(VALU_DEP_2) | instskip(NEXT) | instid1(VALU_DEP_2)
	v_add3_u32 v6, v11, v6, v12
	v_add3_u32 v4, v7, v3, v8
	s_cbranch_scc1 .LBB41_38
; %bb.37:                               ;   in Loop: Header=BB41_20 Depth=2
	v_dual_mov_b32 v8, v16 :: v_dual_mov_b32 v9, v17
	s_branch .LBB41_20
.LBB41_38:                              ;   in Loop: Header=BB41_3 Depth=1
	v_sub_nc_u32_e32 v8, v20, v21
	v_dual_mov_b32 v11, 0 :: v_dual_mov_b32 v10, 0
	v_mov_b32_e32 v3, 0
	v_mov_b32_e32 v7, 0
	s_delay_alu instid0(VALU_DEP_4) | instskip(SKIP_1) | instid1(VALU_DEP_1)
	v_ashrrev_i32_e32 v9, 31, v8
	s_mov_b32 s2, exec_lo
	v_cmpx_ge_i64_e64 s[4:5], v[8:9]
	s_cbranch_execz .LBB41_48
; %bb.39:                               ;   in Loop: Header=BB41_3 Depth=1
	v_dual_mov_b32 v13, 0 :: v_dual_mov_b32 v12, 0
	v_mov_b32_e32 v7, 0
	v_mov_b32_e32 v3, 0
	s_mov_b32 s20, exec_lo
	v_cmpx_gt_i32_e64 s3, v20
	s_cbranch_execz .LBB41_47
; %bb.40:                               ;   in Loop: Header=BB41_3 Depth=1
	v_ashrrev_i32_e32 v7, 31, v6
	v_dual_mov_b32 v12, 0 :: v_dual_add_nc_u32 v5, 1, v20
	v_mov_b32_e32 v13, 0
	s_mov_b32 s29, exec_lo
	s_delay_alu instid0(VALU_DEP_3) | instskip(SKIP_1) | instid1(VALU_DEP_2)
	v_lshlrev_b64_e32 v[10:11], 1, v[6:7]
	v_mov_b32_e32 v7, 0
	v_add_co_u32 v10, vcc_lo, s10, v10
	s_wait_alu 0xfffd
	s_delay_alu instid0(VALU_DEP_3)
	v_add_co_ci_u32_e64 v11, null, s11, v11, vcc_lo
	global_load_u16 v3, v[10:11], off
	v_cmpx_gt_i32_e64 s3, v5
	s_wait_alu 0xfffe
	s_xor_b32 s29, exec_lo, s29
	s_cbranch_execz .LBB41_46
; %bb.41:                               ;   in Loop: Header=BB41_3 Depth=1
	s_lshl_b64 s[30:31], s[24:25], 1
	v_dual_mov_b32 v12, 0 :: v_dual_add_nc_u32 v5, 2, v20
	s_wait_alu 0xfffe
	v_add_co_u32 v10, vcc_lo, v10, s30
	s_wait_alu 0xfffd
	v_add_co_ci_u32_e64 v11, null, s31, v11, vcc_lo
	v_mov_b32_e32 v13, 0
	s_mov_b32 s30, exec_lo
	global_load_u16 v7, v[10:11], off
	v_cmpx_gt_i32_e64 s3, v5
	s_wait_alu 0xfffe
	s_xor_b32 s30, exec_lo, s30
	s_cbranch_execz .LBB41_45
; %bb.42:                               ;   in Loop: Header=BB41_3 Depth=1
	v_add_nc_u32_e32 v5, s15, v6
	s_mov_b32 s31, exec_lo
	v_mov_b32_e32 v13, 0
	s_delay_alu instid0(VALU_DEP_2) | instskip(NEXT) | instid1(VALU_DEP_1)
	v_ashrrev_i32_e32 v6, 31, v5
	v_lshlrev_b64_e32 v[10:11], 1, v[5:6]
	v_add_nc_u32_e32 v6, 3, v20
	s_delay_alu instid0(VALU_DEP_2) | instskip(SKIP_1) | instid1(VALU_DEP_3)
	v_add_co_u32 v10, vcc_lo, s10, v10
	s_wait_alu 0xfffd
	v_add_co_ci_u32_e64 v11, null, s11, v11, vcc_lo
	global_load_u16 v12, v[10:11], off
	v_cmpx_gt_i32_e64 s3, v6
	s_wait_alu 0xfffe
	s_xor_b32 s31, exec_lo, s31
	s_cbranch_execz .LBB41_44
; %bb.43:                               ;   in Loop: Header=BB41_3 Depth=1
	v_add_nc_u32_e32 v5, s24, v5
	s_delay_alu instid0(VALU_DEP_1) | instskip(NEXT) | instid1(VALU_DEP_1)
	v_ashrrev_i32_e32 v6, 31, v5
	v_lshlrev_b64_e32 v[5:6], 1, v[5:6]
	s_delay_alu instid0(VALU_DEP_1) | instskip(SKIP_1) | instid1(VALU_DEP_2)
	v_add_co_u32 v5, vcc_lo, s10, v5
	s_wait_alu 0xfffd
	v_add_co_ci_u32_e64 v6, null, s11, v6, vcc_lo
	global_load_u16 v13, v[5:6], off
.LBB41_44:                              ;   in Loop: Header=BB41_3 Depth=1
	s_wait_alu 0xfffe
	s_or_b32 exec_lo, exec_lo, s31
.LBB41_45:                              ;   in Loop: Header=BB41_3 Depth=1
	s_wait_alu 0xfffe
	s_or_b32 exec_lo, exec_lo, s30
.LBB41_46:                              ;   in Loop: Header=BB41_3 Depth=1
	s_wait_alu 0xfffe
	s_or_b32 exec_lo, exec_lo, s29
.LBB41_47:                              ;   in Loop: Header=BB41_3 Depth=1
	s_wait_alu 0xfffe
	s_or_b32 exec_lo, exec_lo, s20
	v_add_nc_u32_e32 v5, 1, v8
	v_cmp_ge_i64_e32 vcc_lo, s[4:5], v[8:9]
	v_add_nc_u32_e32 v14, 2, v8
	s_delay_alu instid0(VALU_DEP_3)
	v_ashrrev_i32_e32 v6, 31, v5
	s_wait_loadcnt 0x0
	s_wait_alu 0xfffd
	v_cndmask_b32_e32 v11, 0, v3, vcc_lo
	v_ashrrev_i32_e32 v15, 31, v14
	v_cmp_ge_i64_e32 vcc_lo, s[4:5], v[5:6]
	s_wait_alu 0xfffd
	v_dual_cndmask_b32 v3, 0, v7 :: v_dual_add_nc_u32 v16, 3, v8
	s_delay_alu instid0(VALU_DEP_3) | instskip(NEXT) | instid1(VALU_DEP_2)
	v_cmp_ge_i64_e32 vcc_lo, s[4:5], v[14:15]
	v_ashrrev_i32_e32 v17, 31, v16
	s_wait_alu 0xfffd
	v_cndmask_b32_e32 v10, 0, v12, vcc_lo
	s_delay_alu instid0(VALU_DEP_2)
	v_cmp_ge_i64_e32 vcc_lo, s[4:5], v[16:17]
	s_wait_alu 0xfffd
	v_cndmask_b32_e32 v7, 0, v13, vcc_lo
.LBB41_48:                              ;   in Loop: Header=BB41_3 Depth=1
	s_wait_alu 0xfffe
	s_or_b32 exec_lo, exec_lo, s2
	s_delay_alu instid0(SALU_CYCLE_1)
	s_mov_b32 s2, exec_lo
	v_cmpx_gt_i32_e64 s3, v20
	s_cbranch_execz .LBB41_2
; %bb.49:                               ;   in Loop: Header=BB41_3 Depth=1
	v_ashrrev_i32_e32 v5, 31, v4
	v_add_nc_u32_e32 v8, 1, v20
	s_mov_b32 s20, exec_lo
	s_delay_alu instid0(VALU_DEP_2) | instskip(NEXT) | instid1(VALU_DEP_1)
	v_lshlrev_b64_e32 v[5:6], 1, v[4:5]
	v_add_co_u32 v5, vcc_lo, s18, v5
	s_wait_alu 0xfffd
	s_delay_alu instid0(VALU_DEP_2)
	v_add_co_ci_u32_e64 v6, null, s19, v6, vcc_lo
	global_store_b16 v[5:6], v11, off
	v_cmpx_gt_i32_e64 s3, v8
	s_wait_alu 0xfffe
	s_xor_b32 s20, exec_lo, s20
	s_cbranch_execz .LBB41_2
; %bb.50:                               ;   in Loop: Header=BB41_3 Depth=1
	s_lshl_b64 s[30:31], s[26:27], 1
	v_add_nc_u32_e32 v8, 2, v20
	s_wait_alu 0xfffe
	v_add_co_u32 v5, vcc_lo, v5, s30
	s_wait_alu 0xfffd
	v_add_co_ci_u32_e64 v6, null, s31, v6, vcc_lo
	s_mov_b32 s20, exec_lo
	global_store_b16 v[5:6], v3, off
	v_cmpx_gt_i32_e64 s3, v8
	s_wait_alu 0xfffe
	s_xor_b32 s20, exec_lo, s20
	s_cbranch_execz .LBB41_2
; %bb.51:                               ;   in Loop: Header=BB41_3 Depth=1
	v_add_nc_u32_e32 v3, s17, v4
	v_add_nc_u32_e32 v6, 3, v20
	s_mov_b32 s20, exec_lo
	s_delay_alu instid0(VALU_DEP_2) | instskip(NEXT) | instid1(VALU_DEP_1)
	v_ashrrev_i32_e32 v4, 31, v3
	v_lshlrev_b64_e32 v[4:5], 1, v[3:4]
	s_delay_alu instid0(VALU_DEP_1) | instskip(SKIP_1) | instid1(VALU_DEP_2)
	v_add_co_u32 v4, vcc_lo, s18, v4
	s_wait_alu 0xfffd
	v_add_co_ci_u32_e64 v5, null, s19, v5, vcc_lo
	global_store_b16 v[4:5], v10, off
	v_cmpx_gt_i32_e64 s3, v6
	s_wait_alu 0xfffe
	s_xor_b32 s20, exec_lo, s20
	s_cbranch_execz .LBB41_2
; %bb.52:                               ;   in Loop: Header=BB41_3 Depth=1
	v_add_nc_u32_e32 v3, s26, v3
	s_delay_alu instid0(VALU_DEP_1) | instskip(NEXT) | instid1(VALU_DEP_1)
	v_ashrrev_i32_e32 v4, 31, v3
	v_lshlrev_b64_e32 v[3:4], 1, v[3:4]
	s_delay_alu instid0(VALU_DEP_1) | instskip(SKIP_1) | instid1(VALU_DEP_2)
	v_add_co_u32 v3, vcc_lo, s18, v3
	s_wait_alu 0xfffd
	v_add_co_ci_u32_e64 v4, null, s19, v4, vcc_lo
	global_store_b16 v[3:4], v7, off
	s_branch .LBB41_2
.LBB41_53:
	s_endpgm
	.section	.rodata,"a",@progbits
	.p2align	6, 0x0
	.amdhsa_kernel _ZN2at6native16triu_tril_kernelIN3c104HalfEiLb0ELi4ELb0EEEvNS_4cuda6detail10TensorInfoIT_T0_EENS6_IKS7_S8_EEllS8_
		.amdhsa_group_segment_fixed_size 0
		.amdhsa_private_segment_fixed_size 0
		.amdhsa_kernarg_size 712
		.amdhsa_user_sgpr_count 2
		.amdhsa_user_sgpr_dispatch_ptr 0
		.amdhsa_user_sgpr_queue_ptr 0
		.amdhsa_user_sgpr_kernarg_segment_ptr 1
		.amdhsa_user_sgpr_dispatch_id 0
		.amdhsa_user_sgpr_private_segment_size 0
		.amdhsa_wavefront_size32 1
		.amdhsa_uses_dynamic_stack 0
		.amdhsa_enable_private_segment 0
		.amdhsa_system_sgpr_workgroup_id_x 1
		.amdhsa_system_sgpr_workgroup_id_y 0
		.amdhsa_system_sgpr_workgroup_id_z 0
		.amdhsa_system_sgpr_workgroup_info 0
		.amdhsa_system_vgpr_workitem_id 0
		.amdhsa_next_free_vgpr 26
		.amdhsa_next_free_sgpr 70
		.amdhsa_reserve_vcc 1
		.amdhsa_float_round_mode_32 0
		.amdhsa_float_round_mode_16_64 0
		.amdhsa_float_denorm_mode_32 3
		.amdhsa_float_denorm_mode_16_64 3
		.amdhsa_fp16_overflow 0
		.amdhsa_workgroup_processor_mode 1
		.amdhsa_memory_ordered 1
		.amdhsa_forward_progress 1
		.amdhsa_inst_pref_size 68
		.amdhsa_round_robin_scheduling 0
		.amdhsa_exception_fp_ieee_invalid_op 0
		.amdhsa_exception_fp_denorm_src 0
		.amdhsa_exception_fp_ieee_div_zero 0
		.amdhsa_exception_fp_ieee_overflow 0
		.amdhsa_exception_fp_ieee_underflow 0
		.amdhsa_exception_fp_ieee_inexact 0
		.amdhsa_exception_int_div_zero 0
	.end_amdhsa_kernel
	.section	.text._ZN2at6native16triu_tril_kernelIN3c104HalfEiLb0ELi4ELb0EEEvNS_4cuda6detail10TensorInfoIT_T0_EENS6_IKS7_S8_EEllS8_,"axG",@progbits,_ZN2at6native16triu_tril_kernelIN3c104HalfEiLb0ELi4ELb0EEEvNS_4cuda6detail10TensorInfoIT_T0_EENS6_IKS7_S8_EEllS8_,comdat
.Lfunc_end41:
	.size	_ZN2at6native16triu_tril_kernelIN3c104HalfEiLb0ELi4ELb0EEEvNS_4cuda6detail10TensorInfoIT_T0_EENS6_IKS7_S8_EEllS8_, .Lfunc_end41-_ZN2at6native16triu_tril_kernelIN3c104HalfEiLb0ELi4ELb0EEEvNS_4cuda6detail10TensorInfoIT_T0_EENS6_IKS7_S8_EEllS8_
                                        ; -- End function
	.set _ZN2at6native16triu_tril_kernelIN3c104HalfEiLb0ELi4ELb0EEEvNS_4cuda6detail10TensorInfoIT_T0_EENS6_IKS7_S8_EEllS8_.num_vgpr, 26
	.set _ZN2at6native16triu_tril_kernelIN3c104HalfEiLb0ELi4ELb0EEEvNS_4cuda6detail10TensorInfoIT_T0_EENS6_IKS7_S8_EEllS8_.num_agpr, 0
	.set _ZN2at6native16triu_tril_kernelIN3c104HalfEiLb0ELi4ELb0EEEvNS_4cuda6detail10TensorInfoIT_T0_EENS6_IKS7_S8_EEllS8_.numbered_sgpr, 70
	.set _ZN2at6native16triu_tril_kernelIN3c104HalfEiLb0ELi4ELb0EEEvNS_4cuda6detail10TensorInfoIT_T0_EENS6_IKS7_S8_EEllS8_.num_named_barrier, 0
	.set _ZN2at6native16triu_tril_kernelIN3c104HalfEiLb0ELi4ELb0EEEvNS_4cuda6detail10TensorInfoIT_T0_EENS6_IKS7_S8_EEllS8_.private_seg_size, 0
	.set _ZN2at6native16triu_tril_kernelIN3c104HalfEiLb0ELi4ELb0EEEvNS_4cuda6detail10TensorInfoIT_T0_EENS6_IKS7_S8_EEllS8_.uses_vcc, 1
	.set _ZN2at6native16triu_tril_kernelIN3c104HalfEiLb0ELi4ELb0EEEvNS_4cuda6detail10TensorInfoIT_T0_EENS6_IKS7_S8_EEllS8_.uses_flat_scratch, 0
	.set _ZN2at6native16triu_tril_kernelIN3c104HalfEiLb0ELi4ELb0EEEvNS_4cuda6detail10TensorInfoIT_T0_EENS6_IKS7_S8_EEllS8_.has_dyn_sized_stack, 0
	.set _ZN2at6native16triu_tril_kernelIN3c104HalfEiLb0ELi4ELb0EEEvNS_4cuda6detail10TensorInfoIT_T0_EENS6_IKS7_S8_EEllS8_.has_recursion, 0
	.set _ZN2at6native16triu_tril_kernelIN3c104HalfEiLb0ELi4ELb0EEEvNS_4cuda6detail10TensorInfoIT_T0_EENS6_IKS7_S8_EEllS8_.has_indirect_call, 0
	.section	.AMDGPU.csdata,"",@progbits
; Kernel info:
; codeLenInByte = 8692
; TotalNumSgprs: 72
; NumVgprs: 26
; ScratchSize: 0
; MemoryBound: 0
; FloatMode: 240
; IeeeMode: 1
; LDSByteSize: 0 bytes/workgroup (compile time only)
; SGPRBlocks: 0
; VGPRBlocks: 3
; NumSGPRsForWavesPerEU: 72
; NumVGPRsForWavesPerEU: 26
; Occupancy: 16
; WaveLimiterHint : 1
; COMPUTE_PGM_RSRC2:SCRATCH_EN: 0
; COMPUTE_PGM_RSRC2:USER_SGPR: 2
; COMPUTE_PGM_RSRC2:TRAP_HANDLER: 0
; COMPUTE_PGM_RSRC2:TGID_X_EN: 1
; COMPUTE_PGM_RSRC2:TGID_Y_EN: 0
; COMPUTE_PGM_RSRC2:TGID_Z_EN: 0
; COMPUTE_PGM_RSRC2:TIDIG_COMP_CNT: 0
	.section	.text._ZN2at6native16triu_tril_kernelIN3c104HalfElLb0ELi4ELb1EEEvNS_4cuda6detail10TensorInfoIT_T0_EENS6_IKS7_S8_EEllS8_,"axG",@progbits,_ZN2at6native16triu_tril_kernelIN3c104HalfElLb0ELi4ELb1EEEvNS_4cuda6detail10TensorInfoIT_T0_EENS6_IKS7_S8_EEllS8_,comdat
	.protected	_ZN2at6native16triu_tril_kernelIN3c104HalfElLb0ELi4ELb1EEEvNS_4cuda6detail10TensorInfoIT_T0_EENS6_IKS7_S8_EEllS8_ ; -- Begin function _ZN2at6native16triu_tril_kernelIN3c104HalfElLb0ELi4ELb1EEEvNS_4cuda6detail10TensorInfoIT_T0_EENS6_IKS7_S8_EEllS8_
	.globl	_ZN2at6native16triu_tril_kernelIN3c104HalfElLb0ELi4ELb1EEEvNS_4cuda6detail10TensorInfoIT_T0_EENS6_IKS7_S8_EEllS8_
	.p2align	8
	.type	_ZN2at6native16triu_tril_kernelIN3c104HalfElLb0ELi4ELb1EEEvNS_4cuda6detail10TensorInfoIT_T0_EENS6_IKS7_S8_EEllS8_,@function
_ZN2at6native16triu_tril_kernelIN3c104HalfElLb0ELi4ELb1EEEvNS_4cuda6detail10TensorInfoIT_T0_EENS6_IKS7_S8_EEllS8_: ; @_ZN2at6native16triu_tril_kernelIN3c104HalfElLb0ELi4ELb1EEEvNS_4cuda6detail10TensorInfoIT_T0_EENS6_IKS7_S8_EEllS8_
; %bb.0:
	s_clause 0x1
	s_load_b32 s2, s[0:1], 0x364
	s_load_b128 s[4:7], s[0:1], 0x340
	v_mov_b32_e32 v2, 0
	s_mov_b32 s3, exec_lo
	s_delay_alu instid0(VALU_DEP_1)
	v_mov_b32_e32 v1, v2
	s_wait_kmcnt 0x0
	s_and_b32 s2, s2, 0xffff
	s_delay_alu instid0(VALU_DEP_1) | instid1(SALU_CYCLE_1)
	v_mad_co_u64_u32 v[0:1], null, s2, ttmp9, v[0:1]
	s_delay_alu instid0(VALU_DEP_1) | instskip(NEXT) | instid1(VALU_DEP_1)
	v_lshlrev_b64_e32 v[0:1], 2, v[0:1]
	v_cmpx_gt_i64_e64 s[6:7], v[0:1]
	s_cbranch_execz .LBB42_49
; %bb.1:
	s_load_b32 s22, s[0:1], 0x338
	s_add_nc_u64 s[12:13], s[0:1], 0x358
	s_clause 0x1
	s_load_b64 s[8:9], s[0:1], 0x350
	s_load_b64 s[10:11], s[0:1], 0x0
	s_add_nc_u64 s[28:29], s[0:1], 0x1a0
	s_load_b32 s3, s[12:13], 0x0
	s_movk_i32 s18, 0xffe0
	s_add_nc_u64 s[16:17], s[0:1], 0xb8
	s_mov_b32 s19, -1
	s_add_nc_u64 s[34:35], s[0:1], 0x190
	s_mov_b32 s65, 0
	s_wait_kmcnt 0x0
	s_add_co_i32 s14, s22, -2
	v_cvt_f32_u32_e32 v3, s8
	s_ashr_i32 s15, s14, 31
	s_add_co_i32 s20, s22, -3
	s_lshl_b64 s[12:13], s[14:15], 3
	s_ashr_i32 s23, s22, 31
	s_add_nc_u64 s[12:13], s[28:29], s[12:13]
	v_rcp_iflag_f32_e32 v3, v3
	s_load_b64 s[12:13], s[12:13], 0x8
	s_mul_i32 s24, s3, s2
	s_and_b32 s25, s20, 3
	s_lshl_b64 s[2:3], s[22:23], 3
	s_ashr_i32 s21, s20, 31
	s_and_b32 s14, s14, 3
	s_lshl_b32 s62, s24, 2
	s_cmp_lg_u32 s25, 3
	v_cmp_gt_i64_e64 s33, s[22:23], 2
	s_cselect_b32 s63, -1, 0
	s_cmp_gt_u32 s20, 2
	s_wait_alu 0xfffe
	s_add_nc_u64 s[22:23], s[0:1], s[2:3]
	s_add_nc_u64 s[24:25], s[28:29], s[2:3]
	s_cselect_b32 s64, -1, 0
	s_lshl_b64 s[2:3], s[20:21], 3
	s_mov_b32 s15, 0
	s_wait_alu 0xfffe
	s_add_nc_u64 s[30:31], s[0:1], s[2:3]
	s_add_nc_u64 s[2:3], s[28:29], s[2:3]
	s_mov_b64 s[26:27], s[14:15]
	s_add_nc_u64 s[28:29], s[30:31], 0xd0
	s_wait_kmcnt 0x0
	v_cvt_f32_u32_e32 v4, s12
	s_wait_alu 0xfffe
	s_add_nc_u64 s[30:31], s[2:3], 8
	s_ashr_i32 s36, s9, 31
	s_delay_alu instid0(VALU_DEP_1) | instskip(NEXT) | instid1(TRANS32_DEP_1)
	v_rcp_iflag_f32_e32 v4, v4
	v_dual_mul_f32 v3, 0x4f7ffffe, v3 :: v_dual_mul_f32 v4, 0x4f7ffffe, v4
	s_delay_alu instid0(VALU_DEP_1) | instskip(NEXT) | instid1(VALU_DEP_2)
	v_cvt_u32_f32_e32 v20, v3
	v_cvt_u32_f32_e32 v21, v4
	s_branch .LBB42_3
.LBB42_2:                               ;   in Loop: Header=BB42_3 Depth=1
	s_wait_alu 0xfffe
	s_or_b32 exec_lo, exec_lo, s37
	v_add_co_u32 v0, vcc_lo, v0, s62
	s_wait_alu 0xfffd
	v_add_co_ci_u32_e64 v1, null, 0, v1, vcc_lo
	s_delay_alu instid0(VALU_DEP_1) | instskip(SKIP_1) | instid1(SALU_CYCLE_1)
	v_cmp_le_i64_e32 vcc_lo, s[6:7], v[0:1]
	s_or_b32 s65, vcc_lo, s65
	s_and_not1_b32 exec_lo, exec_lo, s65
	s_cbranch_execz .LBB42_49
.LBB42_3:                               ; =>This Loop Header: Depth=1
                                        ;     Child Loop BB42_17 Depth 2
                                        ;     Child Loop BB42_22 Depth 2
	v_or_b32_e32 v3, s9, v1
                                        ; implicit-def: $vgpr6_vgpr7
	s_mov_b32 s0, exec_lo
	s_delay_alu instid0(VALU_DEP_1)
	v_cmpx_ne_u64_e32 0, v[2:3]
	s_wait_alu 0xfffe
	s_xor_b32 s1, exec_lo, s0
	s_cbranch_execz .LBB42_5
; %bb.4:                                ;   in Loop: Header=BB42_3 Depth=1
	s_mov_b32 s37, s36
	v_ashrrev_i32_e32 v9, 31, v1
	s_wait_alu 0xfffe
	s_add_nc_u64 s[2:3], s[8:9], s[36:37]
	s_wait_alu 0xfffe
	s_xor_b64 s[2:3], s[2:3], s[36:37]
	v_add_co_u32 v3, vcc_lo, v0, v9
	s_wait_alu 0xfffe
	s_cvt_f32_u32 s0, s2
	s_cvt_f32_u32 s14, s3
	s_sub_nc_u64 s[40:41], 0, s[2:3]
	s_wait_alu 0xfffd
	v_add_co_ci_u32_e64 v4, null, v1, v9, vcc_lo
	s_wait_alu 0xfffe
	s_fmamk_f32 s0, s14, 0x4f800000, s0
	v_xor_b32_e32 v10, v3, v9
	s_delay_alu instid0(VALU_DEP_2) | instskip(SKIP_2) | instid1(TRANS32_DEP_1)
	v_xor_b32_e32 v11, v4, v9
	s_wait_alu 0xfffe
	v_s_rcp_f32 s0, s0
	s_mul_f32 s0, s0, 0x5f7ffffc
	s_wait_alu 0xfffe
	s_delay_alu instid0(SALU_CYCLE_2) | instskip(SKIP_1) | instid1(SALU_CYCLE_2)
	s_mul_f32 s14, s0, 0x2f800000
	s_wait_alu 0xfffe
	s_trunc_f32 s14, s14
	s_wait_alu 0xfffe
	s_delay_alu instid0(SALU_CYCLE_2) | instskip(SKIP_2) | instid1(SALU_CYCLE_1)
	s_fmamk_f32 s0, s14, 0xcf800000, s0
	s_cvt_u32_f32 s39, s14
	s_wait_alu 0xfffe
	s_cvt_u32_f32 s38, s0
	s_wait_alu 0xfffe
	s_delay_alu instid0(SALU_CYCLE_2) | instskip(NEXT) | instid1(SALU_CYCLE_1)
	s_mul_u64 s[42:43], s[40:41], s[38:39]
	s_mul_hi_u32 s45, s38, s43
	s_mul_i32 s44, s38, s43
	s_mul_hi_u32 s14, s38, s42
	s_mul_i32 s37, s39, s42
	s_wait_alu 0xfffe
	s_add_nc_u64 s[44:45], s[14:15], s[44:45]
	s_mul_hi_u32 s0, s39, s42
	s_mul_hi_u32 s46, s39, s43
	s_wait_alu 0xfffe
	s_add_co_u32 s14, s44, s37
	s_add_co_ci_u32 s14, s45, s0
	s_mul_i32 s42, s39, s43
	s_add_co_ci_u32 s43, s46, 0
	s_wait_alu 0xfffe
	s_add_nc_u64 s[42:43], s[14:15], s[42:43]
	s_delay_alu instid0(SALU_CYCLE_1)
	s_add_co_u32 s38, s38, s42
	s_cselect_b32 s0, -1, 0
	s_wait_alu 0xfffe
	s_cmp_lg_u32 s0, 0
	s_add_co_ci_u32 s39, s39, s43
	s_wait_alu 0xfffe
	s_mul_u64 s[40:41], s[40:41], s[38:39]
	s_wait_alu 0xfffe
	s_mul_hi_u32 s43, s38, s41
	s_mul_i32 s42, s38, s41
	s_mul_hi_u32 s14, s38, s40
	s_mul_i32 s37, s39, s40
	s_wait_alu 0xfffe
	s_add_nc_u64 s[42:43], s[14:15], s[42:43]
	s_mul_hi_u32 s0, s39, s40
	s_mul_hi_u32 s44, s39, s41
	s_add_co_u32 s14, s42, s37
	s_wait_alu 0xfffe
	s_add_co_ci_u32 s14, s43, s0
	s_mul_i32 s40, s39, s41
	s_add_co_ci_u32 s41, s44, 0
	s_wait_alu 0xfffe
	s_add_nc_u64 s[40:41], s[14:15], s[40:41]
	s_wait_alu 0xfffe
	s_add_co_u32 s0, s38, s40
	s_cselect_b32 s14, -1, 0
	s_wait_alu 0xfffe
	v_mul_hi_u32 v12, v10, s0
	s_cmp_lg_u32 s14, 0
	v_mad_co_u64_u32 v[5:6], null, v11, s0, 0
	s_add_co_ci_u32 s14, s39, s41
	s_wait_alu 0xfffe
	v_mad_co_u64_u32 v[3:4], null, v10, s14, 0
	v_mad_co_u64_u32 v[7:8], null, v11, s14, 0
	s_delay_alu instid0(VALU_DEP_2) | instskip(SKIP_1) | instid1(VALU_DEP_3)
	v_add_co_u32 v3, vcc_lo, v12, v3
	s_wait_alu 0xfffd
	v_add_co_ci_u32_e64 v4, null, 0, v4, vcc_lo
	s_delay_alu instid0(VALU_DEP_2) | instskip(SKIP_1) | instid1(VALU_DEP_2)
	v_add_co_u32 v3, vcc_lo, v3, v5
	s_wait_alu 0xfffd
	v_add_co_ci_u32_e32 v3, vcc_lo, v4, v6, vcc_lo
	s_wait_alu 0xfffd
	v_add_co_ci_u32_e32 v4, vcc_lo, 0, v8, vcc_lo
	s_delay_alu instid0(VALU_DEP_2) | instskip(SKIP_1) | instid1(VALU_DEP_2)
	v_add_co_u32 v5, vcc_lo, v3, v7
	s_wait_alu 0xfffd
	v_add_co_ci_u32_e64 v6, null, 0, v4, vcc_lo
	s_delay_alu instid0(VALU_DEP_2) | instskip(SKIP_1) | instid1(VALU_DEP_3)
	v_mul_lo_u32 v7, s3, v5
	v_mad_co_u64_u32 v[3:4], null, s2, v5, 0
	v_mul_lo_u32 v8, s2, v6
	s_delay_alu instid0(VALU_DEP_2) | instskip(NEXT) | instid1(VALU_DEP_2)
	v_sub_co_u32 v3, vcc_lo, v10, v3
	v_add3_u32 v4, v4, v8, v7
	v_add_co_u32 v8, s0, v5, 2
	s_wait_alu 0xf1ff
	v_add_co_ci_u32_e64 v10, null, 0, v6, s0
	s_delay_alu instid0(VALU_DEP_3) | instskip(SKIP_3) | instid1(VALU_DEP_3)
	v_sub_nc_u32_e32 v7, v11, v4
	v_sub_co_u32 v12, s0, v3, s2
	s_wait_alu 0xfffd
	v_sub_co_ci_u32_e64 v4, null, v11, v4, vcc_lo
	v_subrev_co_ci_u32_e64 v7, null, s3, v7, vcc_lo
	s_delay_alu instid0(VALU_DEP_3) | instskip(SKIP_1) | instid1(VALU_DEP_2)
	v_cmp_le_u32_e32 vcc_lo, s2, v12
	s_wait_alu 0xf1ff
	v_subrev_co_ci_u32_e64 v7, null, 0, v7, s0
	s_wait_alu 0xfffd
	v_cndmask_b32_e64 v11, 0, -1, vcc_lo
	s_delay_alu instid0(VALU_DEP_2)
	v_cmp_le_u32_e32 vcc_lo, s3, v7
	s_wait_alu 0xfffd
	v_cndmask_b32_e64 v12, 0, -1, vcc_lo
	v_cmp_le_u32_e32 vcc_lo, s2, v3
	s_wait_alu 0xfffd
	v_cndmask_b32_e64 v3, 0, -1, vcc_lo
	;; [unrolled: 3-line block ×3, first 2 shown]
	v_cmp_eq_u32_e32 vcc_lo, s3, v7
	s_wait_alu 0xfffd
	v_cndmask_b32_e32 v7, v12, v11, vcc_lo
	v_add_co_u32 v11, vcc_lo, v5, 1
	s_wait_alu 0xfffd
	v_add_co_ci_u32_e64 v12, null, 0, v6, vcc_lo
	v_cmp_eq_u32_e32 vcc_lo, s3, v4
	s_wait_alu 0xfffd
	v_cndmask_b32_e32 v3, v13, v3, vcc_lo
	v_cmp_ne_u32_e32 vcc_lo, 0, v7
	v_xor_b32_e32 v7, s36, v9
	s_wait_alu 0xfffd
	v_cndmask_b32_e32 v4, v12, v10, vcc_lo
	v_cmp_ne_u32_e64 s0, 0, v3
	v_cndmask_b32_e32 v3, v11, v8, vcc_lo
	s_wait_alu 0xf1ff
	s_delay_alu instid0(VALU_DEP_2) | instskip(NEXT) | instid1(VALU_DEP_2)
	v_cndmask_b32_e64 v4, v6, v4, s0
	v_cndmask_b32_e64 v3, v5, v3, s0
	s_delay_alu instid0(VALU_DEP_2) | instskip(NEXT) | instid1(VALU_DEP_2)
	v_xor_b32_e32 v4, v4, v7
	v_xor_b32_e32 v3, v3, v7
	s_delay_alu instid0(VALU_DEP_1) | instskip(SKIP_1) | instid1(VALU_DEP_3)
	v_sub_co_u32 v6, vcc_lo, v3, v7
	s_wait_alu 0xfffd
	v_sub_co_ci_u32_e64 v7, null, v4, v7, vcc_lo
.LBB42_5:                               ;   in Loop: Header=BB42_3 Depth=1
	s_wait_alu 0xfffe
	s_and_not1_saveexec_b32 s0, s1
	s_cbranch_execz .LBB42_7
; %bb.6:                                ;   in Loop: Header=BB42_3 Depth=1
	s_sub_co_i32 s1, 0, s8
	v_mov_b32_e32 v7, v2
	s_wait_alu 0xfffe
	v_mul_lo_u32 v3, s1, v20
	s_delay_alu instid0(VALU_DEP_1) | instskip(NEXT) | instid1(VALU_DEP_1)
	v_mul_hi_u32 v3, v20, v3
	v_add_nc_u32_e32 v3, v20, v3
	s_delay_alu instid0(VALU_DEP_1) | instskip(NEXT) | instid1(VALU_DEP_1)
	v_mul_hi_u32 v3, v0, v3
	v_mul_lo_u32 v4, v3, s8
	s_delay_alu instid0(VALU_DEP_1) | instskip(NEXT) | instid1(VALU_DEP_1)
	v_sub_nc_u32_e32 v4, v0, v4
	v_subrev_nc_u32_e32 v6, s8, v4
	v_cmp_le_u32_e32 vcc_lo, s8, v4
	s_wait_alu 0xfffd
	s_delay_alu instid0(VALU_DEP_2) | instskip(NEXT) | instid1(VALU_DEP_1)
	v_dual_cndmask_b32 v4, v4, v6 :: v_dual_add_nc_u32 v5, 1, v3
	v_cndmask_b32_e32 v3, v3, v5, vcc_lo
	s_delay_alu instid0(VALU_DEP_2) | instskip(NEXT) | instid1(VALU_DEP_2)
	v_cmp_le_u32_e32 vcc_lo, s8, v4
	v_add_nc_u32_e32 v5, 1, v3
	s_wait_alu 0xfffd
	s_delay_alu instid0(VALU_DEP_1)
	v_cndmask_b32_e32 v6, v3, v5, vcc_lo
.LBB42_7:                               ;   in Loop: Header=BB42_3 Depth=1
	s_wait_alu 0xfffe
	s_or_b32 exec_lo, exec_lo, s0
	v_or_b32_e32 v3, s13, v7
                                        ; implicit-def: $vgpr8_vgpr9
	s_mov_b32 s0, exec_lo
	s_delay_alu instid0(VALU_DEP_1)
	v_cmpx_ne_u64_e32 0, v[2:3]
	s_wait_alu 0xfffe
	s_xor_b32 s1, exec_lo, s0
	s_cbranch_execz .LBB42_9
; %bb.8:                                ;   in Loop: Header=BB42_3 Depth=1
	s_ashr_i32 s2, s13, 31
	v_ashrrev_i32_e32 v5, 31, v7
	s_wait_alu 0xfffe
	s_mov_b32 s3, s2
	s_wait_alu 0xfffe
	s_add_nc_u64 s[38:39], s[12:13], s[2:3]
	v_add_co_u32 v3, vcc_lo, v6, v5
	s_wait_alu 0xfffe
	s_xor_b64 s[38:39], s[38:39], s[2:3]
	s_wait_alu 0xfffd
	v_add_co_ci_u32_e64 v4, null, v7, v5, vcc_lo
	s_wait_alu 0xfffe
	s_cvt_f32_u32 s0, s38
	s_cvt_f32_u32 s3, s39
	s_sub_nc_u64 s[42:43], 0, s[38:39]
	v_xor_b32_e32 v12, v3, v5
	v_xor_b32_e32 v13, v4, v5
	s_wait_alu 0xfffe
	s_fmamk_f32 s0, s3, 0x4f800000, s0
	v_xor_b32_e32 v5, s2, v5
	s_wait_alu 0xfffe
	s_delay_alu instid0(SALU_CYCLE_1) | instskip(NEXT) | instid1(TRANS32_DEP_1)
	v_s_rcp_f32 s0, s0
	s_mul_f32 s0, s0, 0x5f7ffffc
	s_wait_alu 0xfffe
	s_delay_alu instid0(SALU_CYCLE_2) | instskip(SKIP_1) | instid1(SALU_CYCLE_2)
	s_mul_f32 s3, s0, 0x2f800000
	s_wait_alu 0xfffe
	s_trunc_f32 s3, s3
	s_wait_alu 0xfffe
	s_delay_alu instid0(SALU_CYCLE_2) | instskip(SKIP_2) | instid1(SALU_CYCLE_1)
	s_fmamk_f32 s0, s3, 0xcf800000, s0
	s_cvt_u32_f32 s41, s3
	s_wait_alu 0xfffe
	s_cvt_u32_f32 s40, s0
	s_wait_alu 0xfffe
	s_delay_alu instid0(SALU_CYCLE_2)
	s_mul_u64 s[44:45], s[42:43], s[40:41]
	s_wait_alu 0xfffe
	s_mul_hi_u32 s47, s40, s45
	s_mul_i32 s46, s40, s45
	s_mul_hi_u32 s14, s40, s44
	s_mul_i32 s3, s41, s44
	s_wait_alu 0xfffe
	s_add_nc_u64 s[46:47], s[14:15], s[46:47]
	s_mul_hi_u32 s0, s41, s44
	s_mul_hi_u32 s37, s41, s45
	s_wait_alu 0xfffe
	s_add_co_u32 s3, s46, s3
	s_add_co_ci_u32 s14, s47, s0
	s_mul_i32 s44, s41, s45
	s_add_co_ci_u32 s45, s37, 0
	s_wait_alu 0xfffe
	s_add_nc_u64 s[44:45], s[14:15], s[44:45]
	s_wait_alu 0xfffe
	s_add_co_u32 s40, s40, s44
	s_cselect_b32 s0, -1, 0
	s_wait_alu 0xfffe
	s_cmp_lg_u32 s0, 0
	s_add_co_ci_u32 s41, s41, s45
	s_wait_alu 0xfffe
	s_mul_u64 s[42:43], s[42:43], s[40:41]
	s_delay_alu instid0(SALU_CYCLE_1)
	s_mul_hi_u32 s45, s40, s43
	s_mul_i32 s44, s40, s43
	s_mul_hi_u32 s14, s40, s42
	s_mul_i32 s3, s41, s42
	s_wait_alu 0xfffe
	s_add_nc_u64 s[44:45], s[14:15], s[44:45]
	s_mul_hi_u32 s0, s41, s42
	s_mul_hi_u32 s37, s41, s43
	s_wait_alu 0xfffe
	s_add_co_u32 s3, s44, s3
	s_add_co_ci_u32 s14, s45, s0
	s_mul_i32 s42, s41, s43
	s_add_co_ci_u32 s43, s37, 0
	s_wait_alu 0xfffe
	s_add_nc_u64 s[42:43], s[14:15], s[42:43]
	s_delay_alu instid0(SALU_CYCLE_1)
	s_add_co_u32 s0, s40, s42
	s_cselect_b32 s3, -1, 0
	s_wait_alu 0xfffe
	v_mul_hi_u32 v14, v12, s0
	s_cmp_lg_u32 s3, 0
	v_mad_co_u64_u32 v[8:9], null, v13, s0, 0
	s_add_co_ci_u32 s3, s41, s43
	s_wait_alu 0xfffe
	v_mad_co_u64_u32 v[3:4], null, v12, s3, 0
	v_mad_co_u64_u32 v[10:11], null, v13, s3, 0
	s_delay_alu instid0(VALU_DEP_2) | instskip(SKIP_1) | instid1(VALU_DEP_3)
	v_add_co_u32 v3, vcc_lo, v14, v3
	s_wait_alu 0xfffd
	v_add_co_ci_u32_e64 v4, null, 0, v4, vcc_lo
	s_delay_alu instid0(VALU_DEP_2) | instskip(SKIP_1) | instid1(VALU_DEP_2)
	v_add_co_u32 v3, vcc_lo, v3, v8
	s_wait_alu 0xfffd
	v_add_co_ci_u32_e32 v3, vcc_lo, v4, v9, vcc_lo
	s_wait_alu 0xfffd
	v_add_co_ci_u32_e32 v4, vcc_lo, 0, v11, vcc_lo
	s_delay_alu instid0(VALU_DEP_2) | instskip(SKIP_1) | instid1(VALU_DEP_2)
	v_add_co_u32 v8, vcc_lo, v3, v10
	s_wait_alu 0xfffd
	v_add_co_ci_u32_e64 v9, null, 0, v4, vcc_lo
	s_delay_alu instid0(VALU_DEP_2) | instskip(SKIP_1) | instid1(VALU_DEP_3)
	v_mul_lo_u32 v10, s39, v8
	v_mad_co_u64_u32 v[3:4], null, s38, v8, 0
	v_mul_lo_u32 v11, s38, v9
	s_delay_alu instid0(VALU_DEP_2) | instskip(NEXT) | instid1(VALU_DEP_2)
	v_sub_co_u32 v3, vcc_lo, v12, v3
	v_add3_u32 v4, v4, v11, v10
	v_add_co_u32 v11, s0, v8, 2
	s_wait_alu 0xf1ff
	v_add_co_ci_u32_e64 v12, null, 0, v9, s0
	s_delay_alu instid0(VALU_DEP_3) | instskip(SKIP_3) | instid1(VALU_DEP_3)
	v_sub_nc_u32_e32 v10, v13, v4
	v_sub_co_u32 v14, s0, v3, s38
	s_wait_alu 0xfffd
	v_sub_co_ci_u32_e64 v4, null, v13, v4, vcc_lo
	v_subrev_co_ci_u32_e64 v10, null, s39, v10, vcc_lo
	s_delay_alu instid0(VALU_DEP_3) | instskip(SKIP_1) | instid1(VALU_DEP_2)
	v_cmp_le_u32_e32 vcc_lo, s38, v14
	s_wait_alu 0xf1ff
	v_subrev_co_ci_u32_e64 v10, null, 0, v10, s0
	s_wait_alu 0xfffd
	v_cndmask_b32_e64 v13, 0, -1, vcc_lo
	s_delay_alu instid0(VALU_DEP_2)
	v_cmp_le_u32_e32 vcc_lo, s39, v10
	s_wait_alu 0xfffd
	v_cndmask_b32_e64 v14, 0, -1, vcc_lo
	v_cmp_le_u32_e32 vcc_lo, s38, v3
	s_wait_alu 0xfffd
	v_cndmask_b32_e64 v3, 0, -1, vcc_lo
	;; [unrolled: 3-line block ×3, first 2 shown]
	v_cmp_eq_u32_e32 vcc_lo, s39, v10
	s_wait_alu 0xfffd
	v_cndmask_b32_e32 v10, v14, v13, vcc_lo
	v_add_co_u32 v13, vcc_lo, v8, 1
	s_wait_alu 0xfffd
	v_add_co_ci_u32_e64 v14, null, 0, v9, vcc_lo
	v_cmp_eq_u32_e32 vcc_lo, s39, v4
	s_wait_alu 0xfffd
	v_cndmask_b32_e32 v3, v15, v3, vcc_lo
	v_cmp_ne_u32_e32 vcc_lo, 0, v10
	s_delay_alu instid0(VALU_DEP_2) | instskip(SKIP_3) | instid1(VALU_DEP_1)
	v_cmp_ne_u32_e64 s0, 0, v3
	s_wait_alu 0xfffd
	v_dual_cndmask_b32 v4, v14, v12 :: v_dual_cndmask_b32 v3, v13, v11
	s_wait_alu 0xf1ff
	v_cndmask_b32_e64 v4, v9, v4, s0
	s_delay_alu instid0(VALU_DEP_2) | instskip(NEXT) | instid1(VALU_DEP_2)
	v_cndmask_b32_e64 v3, v8, v3, s0
	v_xor_b32_e32 v4, v4, v5
	s_delay_alu instid0(VALU_DEP_2) | instskip(NEXT) | instid1(VALU_DEP_1)
	v_xor_b32_e32 v3, v3, v5
	v_sub_co_u32 v8, vcc_lo, v3, v5
	s_wait_alu 0xfffd
	s_delay_alu instid0(VALU_DEP_3)
	v_sub_co_ci_u32_e64 v9, null, v4, v5, vcc_lo
.LBB42_9:                               ;   in Loop: Header=BB42_3 Depth=1
	s_wait_alu 0xfffe
	s_and_not1_saveexec_b32 s0, s1
	s_cbranch_execz .LBB42_11
; %bb.10:                               ;   in Loop: Header=BB42_3 Depth=1
	s_sub_co_i32 s1, 0, s12
	v_mov_b32_e32 v9, v2
	s_wait_alu 0xfffe
	v_mul_lo_u32 v3, s1, v21
	s_delay_alu instid0(VALU_DEP_1) | instskip(NEXT) | instid1(VALU_DEP_1)
	v_mul_hi_u32 v3, v21, v3
	v_add_nc_u32_e32 v3, v21, v3
	s_delay_alu instid0(VALU_DEP_1) | instskip(NEXT) | instid1(VALU_DEP_1)
	v_mul_hi_u32 v3, v6, v3
	v_mul_lo_u32 v4, v3, s12
	v_add_nc_u32_e32 v5, 1, v3
	s_delay_alu instid0(VALU_DEP_2) | instskip(NEXT) | instid1(VALU_DEP_1)
	v_sub_nc_u32_e32 v4, v6, v4
	v_subrev_nc_u32_e32 v8, s12, v4
	v_cmp_le_u32_e32 vcc_lo, s12, v4
	s_wait_alu 0xfffd
	s_delay_alu instid0(VALU_DEP_2) | instskip(NEXT) | instid1(VALU_DEP_1)
	v_dual_cndmask_b32 v4, v4, v8 :: v_dual_cndmask_b32 v3, v3, v5
	v_cmp_le_u32_e32 vcc_lo, s12, v4
	s_delay_alu instid0(VALU_DEP_2) | instskip(SKIP_1) | instid1(VALU_DEP_1)
	v_add_nc_u32_e32 v5, 1, v3
	s_wait_alu 0xfffd
	v_cndmask_b32_e32 v8, v3, v5, vcc_lo
.LBB42_11:                              ;   in Loop: Header=BB42_3 Depth=1
	s_wait_alu 0xfffe
	s_or_b32 exec_lo, exec_lo, s0
	v_mul_lo_u32 v5, v7, s8
	v_mul_lo_u32 v12, v6, s9
	v_mad_co_u64_u32 v[3:4], null, v6, s8, 0
	v_mul_lo_u32 v13, v9, s12
	v_mul_lo_u32 v14, v8, s13
	v_mad_co_u64_u32 v[10:11], null, v8, s12, 0
	s_mov_b32 s37, exec_lo
	v_add3_u32 v5, v4, v12, v5
	v_sub_co_u32 v4, vcc_lo, v0, v3
	v_add3_u32 v11, v11, v14, v13
	s_wait_alu 0xfffd
	s_delay_alu instid0(VALU_DEP_3) | instskip(SKIP_3) | instid1(VALU_DEP_2)
	v_sub_co_ci_u32_e64 v5, null, v1, v5, vcc_lo
	v_sub_co_u32 v22, vcc_lo, v6, v10
	s_wait_alu 0xfffd
	v_sub_co_ci_u32_e64 v23, null, v7, v11, vcc_lo
	v_sub_co_u32 v6, vcc_lo, v4, v22
	s_wait_alu 0xfffd
	s_delay_alu instid0(VALU_DEP_2) | instskip(NEXT) | instid1(VALU_DEP_2)
	v_sub_co_ci_u32_e64 v7, null, v5, v23, vcc_lo
	v_add_co_u32 v10, vcc_lo, v6, 4
	s_wait_alu 0xfffd
	s_delay_alu instid0(VALU_DEP_2) | instskip(NEXT) | instid1(VALU_DEP_1)
	v_add_co_ci_u32_e64 v11, null, 0, v7, vcc_lo
	v_cmpx_lt_i64_e64 s[4:5], v[10:11]
	s_cbranch_execz .LBB42_2
; %bb.12:                               ;   in Loop: Header=BB42_3 Depth=1
	s_load_b128 s[0:3], s[22:23], 0xc0
	s_and_not1_b32 vcc_lo, exec_lo, s33
	s_wait_kmcnt 0x0
	v_mul_lo_u32 v3, s3, v4
	v_mul_lo_u32 v12, s2, v5
	v_mad_co_u64_u32 v[10:11], null, s2, v4, 0
	s_delay_alu instid0(VALU_DEP_1) | instskip(SKIP_2) | instid1(VALU_DEP_3)
	v_add3_u32 v11, v11, v12, v3
	v_mul_lo_u32 v3, s0, v23
	v_mul_lo_u32 v12, s1, v22
	v_mad_co_u64_u32 v[10:11], null, s0, v22, v[10:11]
	s_delay_alu instid0(VALU_DEP_1)
	v_add3_u32 v11, v12, v11, v3
	s_wait_alu 0xfffe
	s_cbranch_vccnz .LBB42_38
; %bb.13:                               ;   in Loop: Header=BB42_3 Depth=1
	s_mov_b64 s[38:39], s[26:27]
	s_mov_b64 s[40:41], s[30:31]
	s_and_not1_b32 vcc_lo, exec_lo, s63
	s_mov_b64 s[44:45], s[28:29]
	s_mov_b64 s[42:43], s[20:21]
	s_wait_alu 0xfffe
	s_cbranch_vccz .LBB42_17
.LBB42_14:                              ;   in Loop: Header=BB42_3 Depth=1
	s_and_not1_b32 vcc_lo, exec_lo, s64
	s_wait_alu 0xfffe
	s_cbranch_vccnz .LBB42_38
; %bb.15:                               ;   in Loop: Header=BB42_3 Depth=1
	s_lshl_b64 s[0:1], s[42:43], 3
	s_add_nc_u64 s[42:43], s[42:43], 1
	s_wait_alu 0xfffe
	s_add_nc_u64 s[38:39], s[16:17], s[0:1]
	s_add_nc_u64 s[40:41], s[34:35], s[0:1]
	s_branch .LBB42_22
.LBB42_16:                              ;   in Loop: Header=BB42_17 Depth=2
	s_wait_alu 0xfffe
	s_or_b32 exec_lo, exec_lo, s0
	s_load_b64 s[0:1], s[44:45], 0x0
	v_mul_lo_u32 v3, v13, s46
	v_mul_lo_u32 v16, v12, s47
	v_mad_co_u64_u32 v[14:15], null, v12, s46, 0
	s_add_nc_u64 s[38:39], s[38:39], -1
	s_add_nc_u64 s[42:43], s[42:43], -1
	;; [unrolled: 1-line block ×3, first 2 shown]
	s_wait_alu 0xfffe
	s_cmp_lg_u64 s[38:39], 0
	s_add_nc_u64 s[40:41], s[40:41], -8
	v_add3_u32 v3, v15, v16, v3
	v_sub_co_u32 v8, vcc_lo, v8, v14
	s_wait_alu 0xfffd
	s_delay_alu instid0(VALU_DEP_2) | instskip(SKIP_1) | instid1(VALU_DEP_2)
	v_sub_co_ci_u32_e64 v3, null, v9, v3, vcc_lo
	s_wait_kmcnt 0x0
	v_mul_lo_u32 v9, s1, v8
	s_delay_alu instid0(VALU_DEP_2) | instskip(SKIP_1) | instid1(VALU_DEP_1)
	v_mul_lo_u32 v3, s0, v3
	v_mad_co_u64_u32 v[10:11], null, s0, v8, v[10:11]
	v_add3_u32 v11, v9, v11, v3
	v_dual_mov_b32 v8, v12 :: v_dual_mov_b32 v9, v13
	s_cbranch_scc0 .LBB42_14
.LBB42_17:                              ;   Parent Loop BB42_3 Depth=1
                                        ; =>  This Inner Loop Header: Depth=2
	s_load_b64 s[46:47], s[40:41], 0x0
                                        ; implicit-def: $vgpr12_vgpr13
	s_mov_b32 s0, exec_lo
	s_wait_kmcnt 0x0
	v_or_b32_e32 v3, s47, v9
	s_delay_alu instid0(VALU_DEP_1)
	v_cmpx_ne_u64_e32 0, v[2:3]
	s_wait_alu 0xfffe
	s_xor_b32 s1, exec_lo, s0
	s_cbranch_execz .LBB42_19
; %bb.18:                               ;   in Loop: Header=BB42_17 Depth=2
	s_ashr_i32 s48, s47, 31
	v_ashrrev_i32_e32 v3, 31, v9
	s_wait_alu 0xfffe
	s_mov_b32 s49, s48
	s_wait_alu 0xfffe
	s_add_nc_u64 s[50:51], s[46:47], s[48:49]
	v_add_co_u32 v12, vcc_lo, v8, v3
	s_wait_alu 0xfffe
	s_xor_b64 s[50:51], s[50:51], s[48:49]
	s_wait_alu 0xfffd
	v_add_co_ci_u32_e64 v13, null, v9, v3, vcc_lo
	s_wait_alu 0xfffe
	s_cvt_f32_u32 s0, s50
	s_cvt_f32_u32 s14, s51
	s_sub_nc_u64 s[54:55], 0, s[50:51]
	v_xor_b32_e32 v18, v12, v3
	v_xor_b32_e32 v19, v13, v3
	s_wait_alu 0xfffe
	s_fmamk_f32 s0, s14, 0x4f800000, s0
	v_xor_b32_e32 v3, s48, v3
	s_wait_alu 0xfffe
	s_delay_alu instid0(SALU_CYCLE_1) | instskip(NEXT) | instid1(TRANS32_DEP_1)
	v_s_rcp_f32 s0, s0
	s_mul_f32 s0, s0, 0x5f7ffffc
	s_wait_alu 0xfffe
	s_delay_alu instid0(SALU_CYCLE_2) | instskip(SKIP_1) | instid1(SALU_CYCLE_2)
	s_mul_f32 s14, s0, 0x2f800000
	s_wait_alu 0xfffe
	s_trunc_f32 s14, s14
	s_wait_alu 0xfffe
	s_delay_alu instid0(SALU_CYCLE_2) | instskip(SKIP_2) | instid1(SALU_CYCLE_1)
	s_fmamk_f32 s0, s14, 0xcf800000, s0
	s_cvt_u32_f32 s53, s14
	s_wait_alu 0xfffe
	s_cvt_u32_f32 s52, s0
	s_wait_alu 0xfffe
	s_delay_alu instid0(SALU_CYCLE_2)
	s_mul_u64 s[56:57], s[54:55], s[52:53]
	s_wait_alu 0xfffe
	s_mul_hi_u32 s59, s52, s57
	s_mul_i32 s58, s52, s57
	s_mul_hi_u32 s14, s52, s56
	s_mul_i32 s49, s53, s56
	s_wait_alu 0xfffe
	s_add_nc_u64 s[58:59], s[14:15], s[58:59]
	s_mul_hi_u32 s0, s53, s56
	s_mul_hi_u32 s60, s53, s57
	s_wait_alu 0xfffe
	s_add_co_u32 s14, s58, s49
	s_add_co_ci_u32 s14, s59, s0
	s_mul_i32 s56, s53, s57
	s_add_co_ci_u32 s57, s60, 0
	s_wait_alu 0xfffe
	s_add_nc_u64 s[56:57], s[14:15], s[56:57]
	s_wait_alu 0xfffe
	s_add_co_u32 s52, s52, s56
	s_cselect_b32 s0, -1, 0
	s_wait_alu 0xfffe
	s_cmp_lg_u32 s0, 0
	s_add_co_ci_u32 s53, s53, s57
	s_wait_alu 0xfffe
	s_mul_u64 s[54:55], s[54:55], s[52:53]
	s_wait_alu 0xfffe
	s_mul_hi_u32 s57, s52, s55
	s_mul_i32 s56, s52, s55
	s_mul_hi_u32 s14, s52, s54
	s_mul_i32 s49, s53, s54
	s_wait_alu 0xfffe
	s_add_nc_u64 s[56:57], s[14:15], s[56:57]
	s_mul_hi_u32 s0, s53, s54
	s_mul_hi_u32 s58, s53, s55
	s_wait_alu 0xfffe
	s_add_co_u32 s14, s56, s49
	s_add_co_ci_u32 s14, s57, s0
	s_mul_i32 s54, s53, s55
	s_add_co_ci_u32 s55, s58, 0
	s_wait_alu 0xfffe
	s_add_nc_u64 s[54:55], s[14:15], s[54:55]
	s_wait_alu 0xfffe
	s_add_co_u32 s0, s52, s54
	s_cselect_b32 s14, -1, 0
	s_wait_alu 0xfffe
	v_mul_hi_u32 v24, v18, s0
	s_cmp_lg_u32 s14, 0
	v_mad_co_u64_u32 v[14:15], null, v19, s0, 0
	s_add_co_ci_u32 s14, s53, s55
	s_wait_alu 0xfffe
	v_mad_co_u64_u32 v[12:13], null, v18, s14, 0
	v_mad_co_u64_u32 v[16:17], null, v19, s14, 0
	s_delay_alu instid0(VALU_DEP_2) | instskip(SKIP_1) | instid1(VALU_DEP_3)
	v_add_co_u32 v12, vcc_lo, v24, v12
	s_wait_alu 0xfffd
	v_add_co_ci_u32_e64 v13, null, 0, v13, vcc_lo
	s_delay_alu instid0(VALU_DEP_2) | instskip(SKIP_1) | instid1(VALU_DEP_2)
	v_add_co_u32 v12, vcc_lo, v12, v14
	s_wait_alu 0xfffd
	v_add_co_ci_u32_e32 v12, vcc_lo, v13, v15, vcc_lo
	s_wait_alu 0xfffd
	v_add_co_ci_u32_e32 v13, vcc_lo, 0, v17, vcc_lo
	s_delay_alu instid0(VALU_DEP_2) | instskip(SKIP_1) | instid1(VALU_DEP_2)
	v_add_co_u32 v14, vcc_lo, v12, v16
	s_wait_alu 0xfffd
	v_add_co_ci_u32_e64 v15, null, 0, v13, vcc_lo
	s_delay_alu instid0(VALU_DEP_2) | instskip(SKIP_1) | instid1(VALU_DEP_3)
	v_mul_lo_u32 v16, s51, v14
	v_mad_co_u64_u32 v[12:13], null, s50, v14, 0
	v_mul_lo_u32 v17, s50, v15
	s_delay_alu instid0(VALU_DEP_2) | instskip(NEXT) | instid1(VALU_DEP_2)
	v_sub_co_u32 v12, vcc_lo, v18, v12
	v_add3_u32 v13, v13, v17, v16
	v_add_co_u32 v17, s0, v14, 2
	s_wait_alu 0xf1ff
	v_add_co_ci_u32_e64 v18, null, 0, v15, s0
	s_delay_alu instid0(VALU_DEP_3) | instskip(SKIP_3) | instid1(VALU_DEP_3)
	v_sub_nc_u32_e32 v16, v19, v13
	v_sub_co_u32 v24, s0, v12, s50
	s_wait_alu 0xfffd
	v_sub_co_ci_u32_e64 v13, null, v19, v13, vcc_lo
	v_subrev_co_ci_u32_e64 v16, null, s51, v16, vcc_lo
	s_delay_alu instid0(VALU_DEP_3) | instskip(SKIP_1) | instid1(VALU_DEP_2)
	v_cmp_le_u32_e32 vcc_lo, s50, v24
	s_wait_alu 0xf1ff
	v_subrev_co_ci_u32_e64 v16, null, 0, v16, s0
	s_wait_alu 0xfffd
	v_cndmask_b32_e64 v19, 0, -1, vcc_lo
	s_delay_alu instid0(VALU_DEP_2)
	v_cmp_le_u32_e32 vcc_lo, s51, v16
	s_wait_alu 0xfffd
	v_cndmask_b32_e64 v24, 0, -1, vcc_lo
	v_cmp_le_u32_e32 vcc_lo, s50, v12
	s_wait_alu 0xfffd
	v_cndmask_b32_e64 v12, 0, -1, vcc_lo
	;; [unrolled: 3-line block ×3, first 2 shown]
	v_cmp_eq_u32_e32 vcc_lo, s51, v16
	s_wait_alu 0xfffd
	v_cndmask_b32_e32 v16, v24, v19, vcc_lo
	v_add_co_u32 v19, vcc_lo, v14, 1
	s_wait_alu 0xfffd
	v_add_co_ci_u32_e64 v24, null, 0, v15, vcc_lo
	v_cmp_eq_u32_e32 vcc_lo, s51, v13
	s_wait_alu 0xfffd
	v_cndmask_b32_e32 v12, v25, v12, vcc_lo
	v_cmp_ne_u32_e32 vcc_lo, 0, v16
	s_wait_alu 0xfffd
	v_cndmask_b32_e32 v13, v24, v18, vcc_lo
	s_delay_alu instid0(VALU_DEP_3) | instskip(SKIP_2) | instid1(VALU_DEP_2)
	v_cmp_ne_u32_e64 s0, 0, v12
	v_cndmask_b32_e32 v12, v19, v17, vcc_lo
	s_wait_alu 0xf1ff
	v_cndmask_b32_e64 v13, v15, v13, s0
	s_delay_alu instid0(VALU_DEP_2) | instskip(NEXT) | instid1(VALU_DEP_2)
	v_cndmask_b32_e64 v12, v14, v12, s0
	v_xor_b32_e32 v13, v13, v3
	s_delay_alu instid0(VALU_DEP_2) | instskip(NEXT) | instid1(VALU_DEP_1)
	v_xor_b32_e32 v12, v12, v3
	v_sub_co_u32 v12, vcc_lo, v12, v3
	s_wait_alu 0xfffd
	s_delay_alu instid0(VALU_DEP_3)
	v_sub_co_ci_u32_e64 v13, null, v13, v3, vcc_lo
.LBB42_19:                              ;   in Loop: Header=BB42_17 Depth=2
	s_wait_alu 0xfffe
	s_and_not1_saveexec_b32 s0, s1
	s_cbranch_execz .LBB42_16
; %bb.20:                               ;   in Loop: Header=BB42_17 Depth=2
	v_cvt_f32_u32_e32 v3, s46
	s_sub_co_i32 s1, 0, s46
	s_delay_alu instid0(VALU_DEP_1) | instskip(NEXT) | instid1(TRANS32_DEP_1)
	v_rcp_iflag_f32_e32 v3, v3
	v_mul_f32_e32 v3, 0x4f7ffffe, v3
	s_delay_alu instid0(VALU_DEP_1) | instskip(SKIP_1) | instid1(VALU_DEP_1)
	v_cvt_u32_f32_e32 v3, v3
	s_wait_alu 0xfffe
	v_mul_lo_u32 v12, s1, v3
	s_delay_alu instid0(VALU_DEP_1) | instskip(NEXT) | instid1(VALU_DEP_1)
	v_mul_hi_u32 v12, v3, v12
	v_add_nc_u32_e32 v3, v3, v12
	s_delay_alu instid0(VALU_DEP_1) | instskip(NEXT) | instid1(VALU_DEP_1)
	v_mul_hi_u32 v3, v8, v3
	v_mul_lo_u32 v12, v3, s46
	v_add_nc_u32_e32 v13, 1, v3
	s_delay_alu instid0(VALU_DEP_2) | instskip(NEXT) | instid1(VALU_DEP_1)
	v_sub_nc_u32_e32 v12, v8, v12
	v_subrev_nc_u32_e32 v14, s46, v12
	v_cmp_le_u32_e32 vcc_lo, s46, v12
	s_wait_alu 0xfffd
	s_delay_alu instid0(VALU_DEP_2) | instskip(NEXT) | instid1(VALU_DEP_1)
	v_dual_cndmask_b32 v12, v12, v14 :: v_dual_cndmask_b32 v3, v3, v13
	v_cmp_le_u32_e32 vcc_lo, s46, v12
	s_delay_alu instid0(VALU_DEP_2) | instskip(SKIP_1) | instid1(VALU_DEP_1)
	v_add_nc_u32_e32 v13, 1, v3
	s_wait_alu 0xfffd
	v_dual_cndmask_b32 v12, v3, v13 :: v_dual_mov_b32 v13, v2
	s_branch .LBB42_16
.LBB42_21:                              ;   in Loop: Header=BB42_22 Depth=2
	s_wait_alu 0xfffe
	s_or_b32 exec_lo, exec_lo, s0
	v_mul_lo_u32 v3, v13, s44
	v_mul_lo_u32 v28, v12, s45
	v_mad_co_u64_u32 v[24:25], null, v12, s44, 0
	v_mul_lo_u32 v29, v15, s48
	v_mul_lo_u32 v30, v14, s49
	v_mad_co_u64_u32 v[26:27], null, v14, s48, 0
	s_load_b64 s[0:1], s[38:39], 0x0
	s_add_nc_u64 s[42:43], s[42:43], -4
	v_add3_u32 v3, v25, v28, v3
	v_sub_co_u32 v8, vcc_lo, v8, v24
	v_mul_lo_u32 v24, v17, s52
	v_add3_u32 v25, v27, v30, v29
	s_wait_alu 0xfffd
	v_sub_co_ci_u32_e64 v3, null, v9, v3, vcc_lo
	v_mul_lo_u32 v27, s47, v8
	v_mad_co_u64_u32 v[8:9], null, s46, v8, v[10:11]
	s_delay_alu instid0(VALU_DEP_3)
	v_mul_lo_u32 v3, s46, v3
	v_mul_lo_u32 v28, v16, s53
	v_mad_co_u64_u32 v[10:11], null, v16, s52, 0
	v_sub_co_u32 v12, vcc_lo, v12, v26
	s_wait_alu 0xfffd
	v_sub_co_ci_u32_e64 v13, null, v13, v25, vcc_lo
	v_add3_u32 v9, v27, v9, v3
	s_add_nc_u64 s[38:39], s[38:39], s[18:19]
	s_delay_alu instid0(VALU_DEP_4)
	v_add3_u32 v3, v11, v28, v24
	v_mul_lo_u32 v24, s51, v12
	v_mul_lo_u32 v13, s50, v13
	v_mad_co_u64_u32 v[8:9], null, s50, v12, v[8:9]
	v_sub_co_u32 v12, vcc_lo, v14, v10
	s_wait_alu 0xfffd
	v_sub_co_ci_u32_e64 v3, null, v15, v3, vcc_lo
	v_mul_lo_u32 v14, v19, s56
	v_mul_lo_u32 v15, v18, s57
	v_mad_co_u64_u32 v[10:11], null, v18, s56, 0
	v_add3_u32 v9, v24, v9, v13
	v_mul_lo_u32 v3, s54, v3
	s_cmp_eq_u64 s[42:43], 0
	s_add_nc_u64 s[40:41], s[40:41], s[18:19]
	s_delay_alu instid0(VALU_DEP_2) | instskip(SKIP_4) | instid1(VALU_DEP_2)
	v_mad_co_u64_u32 v[8:9], null, s54, v12, v[8:9]
	v_mul_lo_u32 v12, s55, v12
	v_add3_u32 v11, v11, v15, v14
	v_sub_co_u32 v10, vcc_lo, v16, v10
	s_wait_alu 0xfffd
	v_sub_co_ci_u32_e64 v11, null, v17, v11, vcc_lo
	s_delay_alu instid0(VALU_DEP_4) | instskip(SKIP_2) | instid1(VALU_DEP_3)
	v_add3_u32 v9, v12, v9, v3
	s_wait_kmcnt 0x0
	v_mul_lo_u32 v12, s1, v10
	v_mul_lo_u32 v3, s0, v11
	s_delay_alu instid0(VALU_DEP_3) | instskip(SKIP_1) | instid1(VALU_DEP_2)
	v_mad_co_u64_u32 v[10:11], null, s0, v10, v[8:9]
	v_dual_mov_b32 v8, v18 :: v_dual_mov_b32 v9, v19
	v_add3_u32 v11, v12, v11, v3
	s_cbranch_scc1 .LBB42_38
.LBB42_22:                              ;   Parent Loop BB42_3 Depth=1
                                        ; =>  This Inner Loop Header: Depth=2
	s_load_b64 s[44:45], s[40:41], 0x18
                                        ; implicit-def: $vgpr12_vgpr13
	s_mov_b32 s0, exec_lo
	s_wait_kmcnt 0x0
	v_or_b32_e32 v3, s45, v9
	s_delay_alu instid0(VALU_DEP_1)
	v_cmpx_ne_u64_e32 0, v[2:3]
	s_wait_alu 0xfffe
	s_xor_b32 s1, exec_lo, s0
	s_cbranch_execz .LBB42_24
; %bb.23:                               ;   in Loop: Header=BB42_22 Depth=2
	s_ashr_i32 s46, s45, 31
	v_ashrrev_i32_e32 v3, 31, v9
	s_wait_alu 0xfffe
	s_mov_b32 s47, s46
	s_wait_alu 0xfffe
	s_add_nc_u64 s[48:49], s[44:45], s[46:47]
	v_add_co_u32 v12, vcc_lo, v8, v3
	s_wait_alu 0xfffe
	s_xor_b64 s[48:49], s[48:49], s[46:47]
	s_wait_alu 0xfffd
	v_add_co_ci_u32_e64 v13, null, v9, v3, vcc_lo
	s_wait_alu 0xfffe
	s_cvt_f32_u32 s0, s48
	s_cvt_f32_u32 s14, s49
	s_sub_nc_u64 s[52:53], 0, s[48:49]
	v_xor_b32_e32 v18, v12, v3
	v_xor_b32_e32 v19, v13, v3
	s_wait_alu 0xfffe
	s_fmamk_f32 s0, s14, 0x4f800000, s0
	v_xor_b32_e32 v3, s46, v3
	s_wait_alu 0xfffe
	s_delay_alu instid0(SALU_CYCLE_1) | instskip(NEXT) | instid1(TRANS32_DEP_1)
	v_s_rcp_f32 s0, s0
	s_mul_f32 s0, s0, 0x5f7ffffc
	s_wait_alu 0xfffe
	s_delay_alu instid0(SALU_CYCLE_2) | instskip(SKIP_1) | instid1(SALU_CYCLE_2)
	s_mul_f32 s14, s0, 0x2f800000
	s_wait_alu 0xfffe
	s_trunc_f32 s14, s14
	s_wait_alu 0xfffe
	s_delay_alu instid0(SALU_CYCLE_2) | instskip(SKIP_2) | instid1(SALU_CYCLE_1)
	s_fmamk_f32 s0, s14, 0xcf800000, s0
	s_cvt_u32_f32 s51, s14
	s_wait_alu 0xfffe
	s_cvt_u32_f32 s50, s0
	s_wait_alu 0xfffe
	s_delay_alu instid0(SALU_CYCLE_2)
	s_mul_u64 s[54:55], s[52:53], s[50:51]
	s_wait_alu 0xfffe
	s_mul_hi_u32 s57, s50, s55
	s_mul_i32 s56, s50, s55
	s_mul_hi_u32 s14, s50, s54
	s_mul_i32 s47, s51, s54
	s_wait_alu 0xfffe
	s_add_nc_u64 s[56:57], s[14:15], s[56:57]
	s_mul_hi_u32 s0, s51, s54
	s_mul_hi_u32 s58, s51, s55
	s_wait_alu 0xfffe
	s_add_co_u32 s14, s56, s47
	s_add_co_ci_u32 s14, s57, s0
	s_mul_i32 s54, s51, s55
	s_add_co_ci_u32 s55, s58, 0
	s_wait_alu 0xfffe
	s_add_nc_u64 s[54:55], s[14:15], s[54:55]
	s_wait_alu 0xfffe
	s_add_co_u32 s50, s50, s54
	s_cselect_b32 s0, -1, 0
	s_wait_alu 0xfffe
	s_cmp_lg_u32 s0, 0
	s_add_co_ci_u32 s51, s51, s55
	s_wait_alu 0xfffe
	s_mul_u64 s[52:53], s[52:53], s[50:51]
	s_wait_alu 0xfffe
	s_mul_hi_u32 s55, s50, s53
	s_mul_i32 s54, s50, s53
	s_mul_hi_u32 s14, s50, s52
	s_mul_i32 s47, s51, s52
	s_wait_alu 0xfffe
	s_add_nc_u64 s[54:55], s[14:15], s[54:55]
	s_mul_hi_u32 s0, s51, s52
	s_mul_hi_u32 s56, s51, s53
	s_wait_alu 0xfffe
	s_add_co_u32 s14, s54, s47
	s_add_co_ci_u32 s14, s55, s0
	s_mul_i32 s52, s51, s53
	s_add_co_ci_u32 s53, s56, 0
	s_wait_alu 0xfffe
	s_add_nc_u64 s[52:53], s[14:15], s[52:53]
	s_wait_alu 0xfffe
	s_add_co_u32 s0, s50, s52
	s_cselect_b32 s14, -1, 0
	s_wait_alu 0xfffe
	v_mul_hi_u32 v24, v18, s0
	s_cmp_lg_u32 s14, 0
	v_mad_co_u64_u32 v[14:15], null, v19, s0, 0
	s_add_co_ci_u32 s14, s51, s53
	s_wait_alu 0xfffe
	v_mad_co_u64_u32 v[12:13], null, v18, s14, 0
	v_mad_co_u64_u32 v[16:17], null, v19, s14, 0
	s_delay_alu instid0(VALU_DEP_2) | instskip(SKIP_1) | instid1(VALU_DEP_3)
	v_add_co_u32 v12, vcc_lo, v24, v12
	s_wait_alu 0xfffd
	v_add_co_ci_u32_e64 v13, null, 0, v13, vcc_lo
	s_delay_alu instid0(VALU_DEP_2) | instskip(SKIP_1) | instid1(VALU_DEP_2)
	v_add_co_u32 v12, vcc_lo, v12, v14
	s_wait_alu 0xfffd
	v_add_co_ci_u32_e32 v12, vcc_lo, v13, v15, vcc_lo
	s_wait_alu 0xfffd
	v_add_co_ci_u32_e32 v13, vcc_lo, 0, v17, vcc_lo
	s_delay_alu instid0(VALU_DEP_2) | instskip(SKIP_1) | instid1(VALU_DEP_2)
	v_add_co_u32 v14, vcc_lo, v12, v16
	s_wait_alu 0xfffd
	v_add_co_ci_u32_e64 v15, null, 0, v13, vcc_lo
	s_delay_alu instid0(VALU_DEP_2) | instskip(SKIP_1) | instid1(VALU_DEP_3)
	v_mul_lo_u32 v16, s49, v14
	v_mad_co_u64_u32 v[12:13], null, s48, v14, 0
	v_mul_lo_u32 v17, s48, v15
	s_delay_alu instid0(VALU_DEP_2) | instskip(NEXT) | instid1(VALU_DEP_2)
	v_sub_co_u32 v12, vcc_lo, v18, v12
	v_add3_u32 v13, v13, v17, v16
	v_add_co_u32 v17, s0, v14, 2
	s_wait_alu 0xf1ff
	v_add_co_ci_u32_e64 v18, null, 0, v15, s0
	s_delay_alu instid0(VALU_DEP_3) | instskip(SKIP_3) | instid1(VALU_DEP_3)
	v_sub_nc_u32_e32 v16, v19, v13
	v_sub_co_u32 v24, s0, v12, s48
	s_wait_alu 0xfffd
	v_sub_co_ci_u32_e64 v13, null, v19, v13, vcc_lo
	v_subrev_co_ci_u32_e64 v16, null, s49, v16, vcc_lo
	s_delay_alu instid0(VALU_DEP_3) | instskip(SKIP_1) | instid1(VALU_DEP_2)
	v_cmp_le_u32_e32 vcc_lo, s48, v24
	s_wait_alu 0xf1ff
	v_subrev_co_ci_u32_e64 v16, null, 0, v16, s0
	s_wait_alu 0xfffd
	v_cndmask_b32_e64 v19, 0, -1, vcc_lo
	s_delay_alu instid0(VALU_DEP_2)
	v_cmp_le_u32_e32 vcc_lo, s49, v16
	s_wait_alu 0xfffd
	v_cndmask_b32_e64 v24, 0, -1, vcc_lo
	v_cmp_le_u32_e32 vcc_lo, s48, v12
	s_wait_alu 0xfffd
	v_cndmask_b32_e64 v12, 0, -1, vcc_lo
	;; [unrolled: 3-line block ×3, first 2 shown]
	v_cmp_eq_u32_e32 vcc_lo, s49, v16
	s_wait_alu 0xfffd
	v_cndmask_b32_e32 v16, v24, v19, vcc_lo
	v_add_co_u32 v19, vcc_lo, v14, 1
	s_wait_alu 0xfffd
	v_add_co_ci_u32_e64 v24, null, 0, v15, vcc_lo
	v_cmp_eq_u32_e32 vcc_lo, s49, v13
	s_wait_alu 0xfffd
	v_cndmask_b32_e32 v12, v25, v12, vcc_lo
	v_cmp_ne_u32_e32 vcc_lo, 0, v16
	s_wait_alu 0xfffd
	v_cndmask_b32_e32 v13, v24, v18, vcc_lo
	s_delay_alu instid0(VALU_DEP_3) | instskip(SKIP_2) | instid1(VALU_DEP_2)
	v_cmp_ne_u32_e64 s0, 0, v12
	v_cndmask_b32_e32 v12, v19, v17, vcc_lo
	s_wait_alu 0xf1ff
	v_cndmask_b32_e64 v13, v15, v13, s0
	s_delay_alu instid0(VALU_DEP_2) | instskip(NEXT) | instid1(VALU_DEP_2)
	v_cndmask_b32_e64 v12, v14, v12, s0
	v_xor_b32_e32 v13, v13, v3
	s_delay_alu instid0(VALU_DEP_2) | instskip(NEXT) | instid1(VALU_DEP_1)
	v_xor_b32_e32 v12, v12, v3
	v_sub_co_u32 v12, vcc_lo, v12, v3
	s_wait_alu 0xfffd
	s_delay_alu instid0(VALU_DEP_3)
	v_sub_co_ci_u32_e64 v13, null, v13, v3, vcc_lo
.LBB42_24:                              ;   in Loop: Header=BB42_22 Depth=2
	s_wait_alu 0xfffe
	s_and_not1_saveexec_b32 s0, s1
	s_cbranch_execz .LBB42_26
; %bb.25:                               ;   in Loop: Header=BB42_22 Depth=2
	v_cvt_f32_u32_e32 v3, s44
	s_sub_co_i32 s1, 0, s44
	s_delay_alu instid0(VALU_DEP_1) | instskip(NEXT) | instid1(TRANS32_DEP_1)
	v_rcp_iflag_f32_e32 v3, v3
	v_mul_f32_e32 v3, 0x4f7ffffe, v3
	s_delay_alu instid0(VALU_DEP_1) | instskip(SKIP_1) | instid1(VALU_DEP_1)
	v_cvt_u32_f32_e32 v3, v3
	s_wait_alu 0xfffe
	v_mul_lo_u32 v12, s1, v3
	s_delay_alu instid0(VALU_DEP_1) | instskip(NEXT) | instid1(VALU_DEP_1)
	v_mul_hi_u32 v12, v3, v12
	v_add_nc_u32_e32 v3, v3, v12
	s_delay_alu instid0(VALU_DEP_1) | instskip(NEXT) | instid1(VALU_DEP_1)
	v_mul_hi_u32 v3, v8, v3
	v_mul_lo_u32 v12, v3, s44
	v_add_nc_u32_e32 v13, 1, v3
	s_delay_alu instid0(VALU_DEP_2) | instskip(NEXT) | instid1(VALU_DEP_1)
	v_sub_nc_u32_e32 v12, v8, v12
	v_subrev_nc_u32_e32 v14, s44, v12
	v_cmp_le_u32_e32 vcc_lo, s44, v12
	s_wait_alu 0xfffd
	s_delay_alu instid0(VALU_DEP_2) | instskip(NEXT) | instid1(VALU_DEP_1)
	v_dual_cndmask_b32 v12, v12, v14 :: v_dual_cndmask_b32 v3, v3, v13
	v_cmp_le_u32_e32 vcc_lo, s44, v12
	s_delay_alu instid0(VALU_DEP_2) | instskip(SKIP_1) | instid1(VALU_DEP_1)
	v_add_nc_u32_e32 v13, 1, v3
	s_wait_alu 0xfffd
	v_dual_cndmask_b32 v12, v3, v13 :: v_dual_mov_b32 v13, v2
.LBB42_26:                              ;   in Loop: Header=BB42_22 Depth=2
	s_wait_alu 0xfffe
	s_or_b32 exec_lo, exec_lo, s0
	s_load_b64 s[48:49], s[40:41], 0x10
	s_load_b64 s[46:47], s[38:39], 0x18
                                        ; implicit-def: $vgpr14_vgpr15
	s_mov_b32 s0, exec_lo
	s_wait_kmcnt 0x0
	v_or_b32_e32 v3, s49, v13
	s_delay_alu instid0(VALU_DEP_1)
	v_cmpx_ne_u64_e32 0, v[2:3]
	s_wait_alu 0xfffe
	s_xor_b32 s1, exec_lo, s0
	s_cbranch_execz .LBB42_28
; %bb.27:                               ;   in Loop: Header=BB42_22 Depth=2
	s_ashr_i32 s50, s49, 31
	v_ashrrev_i32_e32 v3, 31, v13
	s_wait_alu 0xfffe
	s_mov_b32 s51, s50
	s_wait_alu 0xfffe
	s_add_nc_u64 s[52:53], s[48:49], s[50:51]
	v_add_co_u32 v14, vcc_lo, v12, v3
	s_wait_alu 0xfffe
	s_xor_b64 s[52:53], s[52:53], s[50:51]
	s_wait_alu 0xfffd
	v_add_co_ci_u32_e64 v15, null, v13, v3, vcc_lo
	s_wait_alu 0xfffe
	s_cvt_f32_u32 s0, s52
	s_cvt_f32_u32 s14, s53
	s_sub_nc_u64 s[56:57], 0, s[52:53]
	v_xor_b32_e32 v24, v14, v3
	v_xor_b32_e32 v25, v15, v3
	s_wait_alu 0xfffe
	s_fmamk_f32 s0, s14, 0x4f800000, s0
	v_xor_b32_e32 v3, s50, v3
	s_wait_alu 0xfffe
	s_delay_alu instid0(SALU_CYCLE_1) | instskip(NEXT) | instid1(TRANS32_DEP_1)
	v_s_rcp_f32 s0, s0
	s_mul_f32 s0, s0, 0x5f7ffffc
	s_wait_alu 0xfffe
	s_delay_alu instid0(SALU_CYCLE_2) | instskip(SKIP_1) | instid1(SALU_CYCLE_2)
	s_mul_f32 s14, s0, 0x2f800000
	s_wait_alu 0xfffe
	s_trunc_f32 s14, s14
	s_wait_alu 0xfffe
	s_delay_alu instid0(SALU_CYCLE_2) | instskip(SKIP_2) | instid1(SALU_CYCLE_1)
	s_fmamk_f32 s0, s14, 0xcf800000, s0
	s_cvt_u32_f32 s55, s14
	s_wait_alu 0xfffe
	s_cvt_u32_f32 s54, s0
	s_wait_alu 0xfffe
	s_delay_alu instid0(SALU_CYCLE_2)
	s_mul_u64 s[58:59], s[56:57], s[54:55]
	s_wait_alu 0xfffe
	s_mul_hi_u32 s61, s54, s59
	s_mul_i32 s60, s54, s59
	s_mul_hi_u32 s14, s54, s58
	s_mul_i32 s51, s55, s58
	s_wait_alu 0xfffe
	s_add_nc_u64 s[60:61], s[14:15], s[60:61]
	s_mul_hi_u32 s0, s55, s58
	s_mul_hi_u32 s66, s55, s59
	s_wait_alu 0xfffe
	s_add_co_u32 s14, s60, s51
	s_add_co_ci_u32 s14, s61, s0
	s_mul_i32 s58, s55, s59
	s_add_co_ci_u32 s59, s66, 0
	s_wait_alu 0xfffe
	s_add_nc_u64 s[58:59], s[14:15], s[58:59]
	s_wait_alu 0xfffe
	s_add_co_u32 s54, s54, s58
	s_cselect_b32 s0, -1, 0
	s_wait_alu 0xfffe
	s_cmp_lg_u32 s0, 0
	s_add_co_ci_u32 s55, s55, s59
	s_wait_alu 0xfffe
	s_mul_u64 s[56:57], s[56:57], s[54:55]
	s_wait_alu 0xfffe
	s_mul_hi_u32 s59, s54, s57
	s_mul_i32 s58, s54, s57
	s_mul_hi_u32 s14, s54, s56
	s_mul_i32 s51, s55, s56
	s_wait_alu 0xfffe
	s_add_nc_u64 s[58:59], s[14:15], s[58:59]
	s_mul_hi_u32 s0, s55, s56
	s_mul_hi_u32 s60, s55, s57
	s_wait_alu 0xfffe
	s_add_co_u32 s14, s58, s51
	s_add_co_ci_u32 s14, s59, s0
	s_mul_i32 s56, s55, s57
	s_add_co_ci_u32 s57, s60, 0
	s_wait_alu 0xfffe
	s_add_nc_u64 s[56:57], s[14:15], s[56:57]
	s_wait_alu 0xfffe
	s_add_co_u32 s0, s54, s56
	s_cselect_b32 s14, -1, 0
	s_wait_alu 0xfffe
	v_mul_hi_u32 v26, v24, s0
	s_cmp_lg_u32 s14, 0
	v_mad_co_u64_u32 v[16:17], null, v25, s0, 0
	s_add_co_ci_u32 s14, s55, s57
	s_wait_alu 0xfffe
	v_mad_co_u64_u32 v[14:15], null, v24, s14, 0
	v_mad_co_u64_u32 v[18:19], null, v25, s14, 0
	s_delay_alu instid0(VALU_DEP_2) | instskip(SKIP_1) | instid1(VALU_DEP_3)
	v_add_co_u32 v14, vcc_lo, v26, v14
	s_wait_alu 0xfffd
	v_add_co_ci_u32_e64 v15, null, 0, v15, vcc_lo
	s_delay_alu instid0(VALU_DEP_2) | instskip(SKIP_1) | instid1(VALU_DEP_2)
	v_add_co_u32 v14, vcc_lo, v14, v16
	s_wait_alu 0xfffd
	v_add_co_ci_u32_e32 v14, vcc_lo, v15, v17, vcc_lo
	s_wait_alu 0xfffd
	v_add_co_ci_u32_e32 v15, vcc_lo, 0, v19, vcc_lo
	s_delay_alu instid0(VALU_DEP_2) | instskip(SKIP_1) | instid1(VALU_DEP_2)
	v_add_co_u32 v16, vcc_lo, v14, v18
	s_wait_alu 0xfffd
	v_add_co_ci_u32_e64 v17, null, 0, v15, vcc_lo
	s_delay_alu instid0(VALU_DEP_2) | instskip(SKIP_1) | instid1(VALU_DEP_3)
	v_mul_lo_u32 v18, s53, v16
	v_mad_co_u64_u32 v[14:15], null, s52, v16, 0
	v_mul_lo_u32 v19, s52, v17
	s_delay_alu instid0(VALU_DEP_2) | instskip(NEXT) | instid1(VALU_DEP_2)
	v_sub_co_u32 v14, vcc_lo, v24, v14
	v_add3_u32 v15, v15, v19, v18
	v_add_co_u32 v19, s0, v16, 2
	s_wait_alu 0xf1ff
	v_add_co_ci_u32_e64 v24, null, 0, v17, s0
	s_delay_alu instid0(VALU_DEP_3) | instskip(SKIP_3) | instid1(VALU_DEP_3)
	v_sub_nc_u32_e32 v18, v25, v15
	v_sub_co_u32 v26, s0, v14, s52
	s_wait_alu 0xfffd
	v_sub_co_ci_u32_e64 v15, null, v25, v15, vcc_lo
	v_subrev_co_ci_u32_e64 v18, null, s53, v18, vcc_lo
	s_delay_alu instid0(VALU_DEP_3) | instskip(SKIP_1) | instid1(VALU_DEP_2)
	v_cmp_le_u32_e32 vcc_lo, s52, v26
	s_wait_alu 0xf1ff
	v_subrev_co_ci_u32_e64 v18, null, 0, v18, s0
	s_wait_alu 0xfffd
	v_cndmask_b32_e64 v25, 0, -1, vcc_lo
	s_delay_alu instid0(VALU_DEP_2)
	v_cmp_le_u32_e32 vcc_lo, s53, v18
	s_wait_alu 0xfffd
	v_cndmask_b32_e64 v26, 0, -1, vcc_lo
	v_cmp_le_u32_e32 vcc_lo, s52, v14
	s_wait_alu 0xfffd
	v_cndmask_b32_e64 v14, 0, -1, vcc_lo
	;; [unrolled: 3-line block ×3, first 2 shown]
	v_cmp_eq_u32_e32 vcc_lo, s53, v18
	s_wait_alu 0xfffd
	v_cndmask_b32_e32 v18, v26, v25, vcc_lo
	v_add_co_u32 v25, vcc_lo, v16, 1
	s_wait_alu 0xfffd
	v_add_co_ci_u32_e64 v26, null, 0, v17, vcc_lo
	v_cmp_eq_u32_e32 vcc_lo, s53, v15
	s_wait_alu 0xfffd
	v_cndmask_b32_e32 v14, v27, v14, vcc_lo
	v_cmp_ne_u32_e32 vcc_lo, 0, v18
	s_wait_alu 0xfffd
	v_cndmask_b32_e32 v15, v26, v24, vcc_lo
	s_delay_alu instid0(VALU_DEP_3) | instskip(SKIP_2) | instid1(VALU_DEP_2)
	v_cmp_ne_u32_e64 s0, 0, v14
	v_cndmask_b32_e32 v14, v25, v19, vcc_lo
	s_wait_alu 0xf1ff
	v_cndmask_b32_e64 v15, v17, v15, s0
	s_delay_alu instid0(VALU_DEP_2) | instskip(NEXT) | instid1(VALU_DEP_2)
	v_cndmask_b32_e64 v14, v16, v14, s0
	v_xor_b32_e32 v15, v15, v3
	s_delay_alu instid0(VALU_DEP_2) | instskip(NEXT) | instid1(VALU_DEP_1)
	v_xor_b32_e32 v14, v14, v3
	v_sub_co_u32 v14, vcc_lo, v14, v3
	s_wait_alu 0xfffd
	s_delay_alu instid0(VALU_DEP_3)
	v_sub_co_ci_u32_e64 v15, null, v15, v3, vcc_lo
.LBB42_28:                              ;   in Loop: Header=BB42_22 Depth=2
	s_wait_alu 0xfffe
	s_and_not1_saveexec_b32 s0, s1
	s_cbranch_execz .LBB42_30
; %bb.29:                               ;   in Loop: Header=BB42_22 Depth=2
	v_cvt_f32_u32_e32 v3, s48
	s_sub_co_i32 s1, 0, s48
	s_delay_alu instid0(VALU_DEP_1) | instskip(NEXT) | instid1(TRANS32_DEP_1)
	v_rcp_iflag_f32_e32 v3, v3
	v_mul_f32_e32 v3, 0x4f7ffffe, v3
	s_delay_alu instid0(VALU_DEP_1) | instskip(SKIP_1) | instid1(VALU_DEP_1)
	v_cvt_u32_f32_e32 v3, v3
	s_wait_alu 0xfffe
	v_mul_lo_u32 v14, s1, v3
	s_delay_alu instid0(VALU_DEP_1) | instskip(NEXT) | instid1(VALU_DEP_1)
	v_mul_hi_u32 v14, v3, v14
	v_add_nc_u32_e32 v3, v3, v14
	s_delay_alu instid0(VALU_DEP_1) | instskip(NEXT) | instid1(VALU_DEP_1)
	v_mul_hi_u32 v3, v12, v3
	v_mul_lo_u32 v14, v3, s48
	v_add_nc_u32_e32 v15, 1, v3
	s_delay_alu instid0(VALU_DEP_2) | instskip(NEXT) | instid1(VALU_DEP_1)
	v_sub_nc_u32_e32 v14, v12, v14
	v_subrev_nc_u32_e32 v16, s48, v14
	v_cmp_le_u32_e32 vcc_lo, s48, v14
	s_wait_alu 0xfffd
	s_delay_alu instid0(VALU_DEP_2) | instskip(NEXT) | instid1(VALU_DEP_1)
	v_dual_cndmask_b32 v14, v14, v16 :: v_dual_cndmask_b32 v3, v3, v15
	v_cmp_le_u32_e32 vcc_lo, s48, v14
	s_delay_alu instid0(VALU_DEP_2) | instskip(SKIP_1) | instid1(VALU_DEP_1)
	v_add_nc_u32_e32 v15, 1, v3
	s_wait_alu 0xfffd
	v_dual_cndmask_b32 v14, v3, v15 :: v_dual_mov_b32 v15, v2
.LBB42_30:                              ;   in Loop: Header=BB42_22 Depth=2
	s_wait_alu 0xfffe
	s_or_b32 exec_lo, exec_lo, s0
	s_load_b64 s[52:53], s[40:41], 0x8
	s_load_b64 s[50:51], s[38:39], 0x10
                                        ; implicit-def: $vgpr16_vgpr17
	s_mov_b32 s0, exec_lo
	s_wait_kmcnt 0x0
	v_or_b32_e32 v3, s53, v15
	s_delay_alu instid0(VALU_DEP_1)
	v_cmpx_ne_u64_e32 0, v[2:3]
	s_wait_alu 0xfffe
	s_xor_b32 s1, exec_lo, s0
	s_cbranch_execz .LBB42_32
; %bb.31:                               ;   in Loop: Header=BB42_22 Depth=2
	s_ashr_i32 s54, s53, 31
	v_ashrrev_i32_e32 v3, 31, v15
	s_wait_alu 0xfffe
	s_mov_b32 s55, s54
	s_wait_alu 0xfffe
	s_add_nc_u64 s[56:57], s[52:53], s[54:55]
	v_add_co_u32 v16, vcc_lo, v14, v3
	s_wait_alu 0xfffe
	s_xor_b64 s[56:57], s[56:57], s[54:55]
	s_wait_alu 0xfffd
	v_add_co_ci_u32_e64 v17, null, v15, v3, vcc_lo
	s_wait_alu 0xfffe
	s_cvt_f32_u32 s0, s56
	s_cvt_f32_u32 s14, s57
	s_sub_nc_u64 s[60:61], 0, s[56:57]
	v_xor_b32_e32 v26, v16, v3
	v_xor_b32_e32 v27, v17, v3
	s_wait_alu 0xfffe
	s_fmamk_f32 s0, s14, 0x4f800000, s0
	v_xor_b32_e32 v3, s54, v3
	s_wait_alu 0xfffe
	s_delay_alu instid0(SALU_CYCLE_1) | instskip(NEXT) | instid1(TRANS32_DEP_1)
	v_s_rcp_f32 s0, s0
	s_mul_f32 s0, s0, 0x5f7ffffc
	s_wait_alu 0xfffe
	s_delay_alu instid0(SALU_CYCLE_2) | instskip(SKIP_1) | instid1(SALU_CYCLE_2)
	s_mul_f32 s14, s0, 0x2f800000
	s_wait_alu 0xfffe
	s_trunc_f32 s14, s14
	s_wait_alu 0xfffe
	s_delay_alu instid0(SALU_CYCLE_2) | instskip(SKIP_2) | instid1(SALU_CYCLE_1)
	s_fmamk_f32 s0, s14, 0xcf800000, s0
	s_cvt_u32_f32 s59, s14
	s_wait_alu 0xfffe
	s_cvt_u32_f32 s58, s0
	s_wait_alu 0xfffe
	s_delay_alu instid0(SALU_CYCLE_2) | instskip(NEXT) | instid1(SALU_CYCLE_1)
	s_mul_u64 s[66:67], s[60:61], s[58:59]
	s_mul_hi_u32 s69, s58, s67
	s_mul_i32 s68, s58, s67
	s_mul_hi_u32 s14, s58, s66
	s_mul_i32 s55, s59, s66
	s_wait_alu 0xfffe
	s_add_nc_u64 s[68:69], s[14:15], s[68:69]
	s_mul_hi_u32 s0, s59, s66
	s_mul_hi_u32 s70, s59, s67
	s_add_co_u32 s14, s68, s55
	s_wait_alu 0xfffe
	s_add_co_ci_u32 s14, s69, s0
	s_mul_i32 s66, s59, s67
	s_add_co_ci_u32 s67, s70, 0
	s_wait_alu 0xfffe
	s_add_nc_u64 s[66:67], s[14:15], s[66:67]
	s_delay_alu instid0(SALU_CYCLE_1)
	s_add_co_u32 s58, s58, s66
	s_cselect_b32 s0, -1, 0
	s_wait_alu 0xfffe
	s_cmp_lg_u32 s0, 0
	s_add_co_ci_u32 s59, s59, s67
	s_wait_alu 0xfffe
	s_mul_u64 s[60:61], s[60:61], s[58:59]
	s_wait_alu 0xfffe
	s_mul_hi_u32 s67, s58, s61
	s_mul_i32 s66, s58, s61
	s_mul_hi_u32 s14, s58, s60
	s_mul_i32 s55, s59, s60
	s_wait_alu 0xfffe
	s_add_nc_u64 s[66:67], s[14:15], s[66:67]
	s_mul_hi_u32 s0, s59, s60
	s_mul_hi_u32 s68, s59, s61
	s_add_co_u32 s14, s66, s55
	s_wait_alu 0xfffe
	s_add_co_ci_u32 s14, s67, s0
	s_mul_i32 s60, s59, s61
	s_add_co_ci_u32 s61, s68, 0
	s_wait_alu 0xfffe
	s_add_nc_u64 s[60:61], s[14:15], s[60:61]
	s_wait_alu 0xfffe
	s_add_co_u32 s0, s58, s60
	s_cselect_b32 s14, -1, 0
	s_wait_alu 0xfffe
	v_mul_hi_u32 v28, v26, s0
	s_cmp_lg_u32 s14, 0
	v_mad_co_u64_u32 v[18:19], null, v27, s0, 0
	s_add_co_ci_u32 s14, s59, s61
	s_wait_alu 0xfffe
	v_mad_co_u64_u32 v[16:17], null, v26, s14, 0
	v_mad_co_u64_u32 v[24:25], null, v27, s14, 0
	s_delay_alu instid0(VALU_DEP_2) | instskip(SKIP_1) | instid1(VALU_DEP_3)
	v_add_co_u32 v16, vcc_lo, v28, v16
	s_wait_alu 0xfffd
	v_add_co_ci_u32_e64 v17, null, 0, v17, vcc_lo
	s_delay_alu instid0(VALU_DEP_2) | instskip(SKIP_1) | instid1(VALU_DEP_2)
	v_add_co_u32 v16, vcc_lo, v16, v18
	s_wait_alu 0xfffd
	v_add_co_ci_u32_e32 v16, vcc_lo, v17, v19, vcc_lo
	s_wait_alu 0xfffd
	v_add_co_ci_u32_e32 v17, vcc_lo, 0, v25, vcc_lo
	s_delay_alu instid0(VALU_DEP_2) | instskip(SKIP_1) | instid1(VALU_DEP_2)
	v_add_co_u32 v18, vcc_lo, v16, v24
	s_wait_alu 0xfffd
	v_add_co_ci_u32_e64 v19, null, 0, v17, vcc_lo
	s_delay_alu instid0(VALU_DEP_2) | instskip(SKIP_1) | instid1(VALU_DEP_3)
	v_mul_lo_u32 v24, s57, v18
	v_mad_co_u64_u32 v[16:17], null, s56, v18, 0
	v_mul_lo_u32 v25, s56, v19
	s_delay_alu instid0(VALU_DEP_2) | instskip(NEXT) | instid1(VALU_DEP_2)
	v_sub_co_u32 v16, vcc_lo, v26, v16
	v_add3_u32 v17, v17, v25, v24
	v_add_co_u32 v25, s0, v18, 2
	s_wait_alu 0xf1ff
	v_add_co_ci_u32_e64 v26, null, 0, v19, s0
	s_delay_alu instid0(VALU_DEP_3) | instskip(SKIP_3) | instid1(VALU_DEP_3)
	v_sub_nc_u32_e32 v24, v27, v17
	v_sub_co_u32 v28, s0, v16, s56
	s_wait_alu 0xfffd
	v_sub_co_ci_u32_e64 v17, null, v27, v17, vcc_lo
	v_subrev_co_ci_u32_e64 v24, null, s57, v24, vcc_lo
	s_delay_alu instid0(VALU_DEP_3) | instskip(SKIP_1) | instid1(VALU_DEP_2)
	v_cmp_le_u32_e32 vcc_lo, s56, v28
	s_wait_alu 0xf1ff
	v_subrev_co_ci_u32_e64 v24, null, 0, v24, s0
	s_wait_alu 0xfffd
	v_cndmask_b32_e64 v27, 0, -1, vcc_lo
	s_delay_alu instid0(VALU_DEP_2)
	v_cmp_le_u32_e32 vcc_lo, s57, v24
	s_wait_alu 0xfffd
	v_cndmask_b32_e64 v28, 0, -1, vcc_lo
	v_cmp_le_u32_e32 vcc_lo, s56, v16
	s_wait_alu 0xfffd
	v_cndmask_b32_e64 v16, 0, -1, vcc_lo
	;; [unrolled: 3-line block ×3, first 2 shown]
	v_cmp_eq_u32_e32 vcc_lo, s57, v24
	s_wait_alu 0xfffd
	v_cndmask_b32_e32 v24, v28, v27, vcc_lo
	v_add_co_u32 v27, vcc_lo, v18, 1
	s_wait_alu 0xfffd
	v_add_co_ci_u32_e64 v28, null, 0, v19, vcc_lo
	v_cmp_eq_u32_e32 vcc_lo, s57, v17
	s_wait_alu 0xfffd
	v_cndmask_b32_e32 v16, v29, v16, vcc_lo
	v_cmp_ne_u32_e32 vcc_lo, 0, v24
	s_wait_alu 0xfffd
	v_cndmask_b32_e32 v17, v28, v26, vcc_lo
	s_delay_alu instid0(VALU_DEP_3) | instskip(SKIP_2) | instid1(VALU_DEP_2)
	v_cmp_ne_u32_e64 s0, 0, v16
	v_cndmask_b32_e32 v16, v27, v25, vcc_lo
	s_wait_alu 0xf1ff
	v_cndmask_b32_e64 v17, v19, v17, s0
	s_delay_alu instid0(VALU_DEP_2) | instskip(NEXT) | instid1(VALU_DEP_2)
	v_cndmask_b32_e64 v16, v18, v16, s0
	v_xor_b32_e32 v17, v17, v3
	s_delay_alu instid0(VALU_DEP_2) | instskip(NEXT) | instid1(VALU_DEP_1)
	v_xor_b32_e32 v16, v16, v3
	v_sub_co_u32 v16, vcc_lo, v16, v3
	s_wait_alu 0xfffd
	s_delay_alu instid0(VALU_DEP_3)
	v_sub_co_ci_u32_e64 v17, null, v17, v3, vcc_lo
.LBB42_32:                              ;   in Loop: Header=BB42_22 Depth=2
	s_wait_alu 0xfffe
	s_and_not1_saveexec_b32 s0, s1
	s_cbranch_execz .LBB42_34
; %bb.33:                               ;   in Loop: Header=BB42_22 Depth=2
	v_cvt_f32_u32_e32 v3, s52
	s_sub_co_i32 s1, 0, s52
	s_delay_alu instid0(VALU_DEP_1) | instskip(NEXT) | instid1(TRANS32_DEP_1)
	v_rcp_iflag_f32_e32 v3, v3
	v_mul_f32_e32 v3, 0x4f7ffffe, v3
	s_delay_alu instid0(VALU_DEP_1) | instskip(SKIP_1) | instid1(VALU_DEP_1)
	v_cvt_u32_f32_e32 v3, v3
	s_wait_alu 0xfffe
	v_mul_lo_u32 v16, s1, v3
	s_delay_alu instid0(VALU_DEP_1) | instskip(NEXT) | instid1(VALU_DEP_1)
	v_mul_hi_u32 v16, v3, v16
	v_add_nc_u32_e32 v3, v3, v16
	s_delay_alu instid0(VALU_DEP_1) | instskip(NEXT) | instid1(VALU_DEP_1)
	v_mul_hi_u32 v3, v14, v3
	v_mul_lo_u32 v16, v3, s52
	v_add_nc_u32_e32 v17, 1, v3
	s_delay_alu instid0(VALU_DEP_2) | instskip(NEXT) | instid1(VALU_DEP_1)
	v_sub_nc_u32_e32 v16, v14, v16
	v_subrev_nc_u32_e32 v18, s52, v16
	v_cmp_le_u32_e32 vcc_lo, s52, v16
	s_wait_alu 0xfffd
	s_delay_alu instid0(VALU_DEP_2) | instskip(NEXT) | instid1(VALU_DEP_1)
	v_dual_cndmask_b32 v16, v16, v18 :: v_dual_cndmask_b32 v3, v3, v17
	v_cmp_le_u32_e32 vcc_lo, s52, v16
	s_delay_alu instid0(VALU_DEP_2) | instskip(SKIP_1) | instid1(VALU_DEP_1)
	v_add_nc_u32_e32 v17, 1, v3
	s_wait_alu 0xfffd
	v_dual_cndmask_b32 v16, v3, v17 :: v_dual_mov_b32 v17, v2
.LBB42_34:                              ;   in Loop: Header=BB42_22 Depth=2
	s_wait_alu 0xfffe
	s_or_b32 exec_lo, exec_lo, s0
	s_load_b64 s[56:57], s[40:41], 0x0
	s_load_b64 s[54:55], s[38:39], 0x8
                                        ; implicit-def: $vgpr18_vgpr19
	s_mov_b32 s0, exec_lo
	s_wait_kmcnt 0x0
	v_or_b32_e32 v3, s57, v17
	s_delay_alu instid0(VALU_DEP_1)
	v_cmpx_ne_u64_e32 0, v[2:3]
	s_wait_alu 0xfffe
	s_xor_b32 s1, exec_lo, s0
	s_cbranch_execz .LBB42_36
; %bb.35:                               ;   in Loop: Header=BB42_22 Depth=2
	s_ashr_i32 s58, s57, 31
	v_ashrrev_i32_e32 v3, 31, v17
	s_wait_alu 0xfffe
	s_mov_b32 s59, s58
	s_wait_alu 0xfffe
	s_add_nc_u64 s[60:61], s[56:57], s[58:59]
	v_add_co_u32 v18, vcc_lo, v16, v3
	s_wait_alu 0xfffe
	s_xor_b64 s[60:61], s[60:61], s[58:59]
	s_wait_alu 0xfffd
	v_add_co_ci_u32_e64 v19, null, v17, v3, vcc_lo
	s_wait_alu 0xfffe
	s_cvt_f32_u32 s0, s60
	s_cvt_f32_u32 s14, s61
	s_sub_nc_u64 s[68:69], 0, s[60:61]
	v_xor_b32_e32 v28, v18, v3
	v_xor_b32_e32 v29, v19, v3
	s_wait_alu 0xfffe
	s_fmamk_f32 s0, s14, 0x4f800000, s0
	v_xor_b32_e32 v3, s58, v3
	s_wait_alu 0xfffe
	s_delay_alu instid0(SALU_CYCLE_1) | instskip(NEXT) | instid1(TRANS32_DEP_1)
	v_s_rcp_f32 s0, s0
	s_mul_f32 s0, s0, 0x5f7ffffc
	s_wait_alu 0xfffe
	s_delay_alu instid0(SALU_CYCLE_2) | instskip(SKIP_1) | instid1(SALU_CYCLE_2)
	s_mul_f32 s14, s0, 0x2f800000
	s_wait_alu 0xfffe
	s_trunc_f32 s14, s14
	s_wait_alu 0xfffe
	s_delay_alu instid0(SALU_CYCLE_2) | instskip(SKIP_2) | instid1(SALU_CYCLE_1)
	s_fmamk_f32 s0, s14, 0xcf800000, s0
	s_cvt_u32_f32 s67, s14
	s_wait_alu 0xfffe
	s_cvt_u32_f32 s66, s0
	s_delay_alu instid0(SALU_CYCLE_3) | instskip(NEXT) | instid1(SALU_CYCLE_1)
	s_mul_u64 s[70:71], s[68:69], s[66:67]
	s_mul_hi_u32 s73, s66, s71
	s_mul_i32 s72, s66, s71
	s_mul_hi_u32 s14, s66, s70
	s_mul_i32 s59, s67, s70
	s_wait_alu 0xfffe
	s_add_nc_u64 s[72:73], s[14:15], s[72:73]
	s_mul_hi_u32 s0, s67, s70
	s_mul_hi_u32 s74, s67, s71
	s_add_co_u32 s14, s72, s59
	s_wait_alu 0xfffe
	s_add_co_ci_u32 s14, s73, s0
	s_mul_i32 s70, s67, s71
	s_add_co_ci_u32 s71, s74, 0
	s_wait_alu 0xfffe
	s_add_nc_u64 s[70:71], s[14:15], s[70:71]
	s_delay_alu instid0(SALU_CYCLE_1) | instskip(SKIP_4) | instid1(SALU_CYCLE_1)
	s_add_co_u32 s66, s66, s70
	s_cselect_b32 s0, -1, 0
	s_wait_alu 0xfffe
	s_cmp_lg_u32 s0, 0
	s_add_co_ci_u32 s67, s67, s71
	s_mul_u64 s[68:69], s[68:69], s[66:67]
	s_delay_alu instid0(SALU_CYCLE_1)
	s_mul_hi_u32 s71, s66, s69
	s_mul_i32 s70, s66, s69
	s_mul_hi_u32 s14, s66, s68
	s_mul_i32 s59, s67, s68
	s_wait_alu 0xfffe
	s_add_nc_u64 s[70:71], s[14:15], s[70:71]
	s_mul_hi_u32 s0, s67, s68
	s_mul_hi_u32 s72, s67, s69
	s_add_co_u32 s14, s70, s59
	s_wait_alu 0xfffe
	s_add_co_ci_u32 s14, s71, s0
	s_mul_i32 s68, s67, s69
	s_add_co_ci_u32 s69, s72, 0
	s_wait_alu 0xfffe
	s_add_nc_u64 s[68:69], s[14:15], s[68:69]
	s_delay_alu instid0(SALU_CYCLE_1)
	s_add_co_u32 s0, s66, s68
	s_cselect_b32 s14, -1, 0
	s_wait_alu 0xfffe
	v_mul_hi_u32 v30, v28, s0
	s_cmp_lg_u32 s14, 0
	v_mad_co_u64_u32 v[24:25], null, v29, s0, 0
	s_add_co_ci_u32 s14, s67, s69
	s_wait_alu 0xfffe
	v_mad_co_u64_u32 v[18:19], null, v28, s14, 0
	v_mad_co_u64_u32 v[26:27], null, v29, s14, 0
	s_delay_alu instid0(VALU_DEP_2) | instskip(SKIP_1) | instid1(VALU_DEP_3)
	v_add_co_u32 v18, vcc_lo, v30, v18
	s_wait_alu 0xfffd
	v_add_co_ci_u32_e64 v19, null, 0, v19, vcc_lo
	s_delay_alu instid0(VALU_DEP_2) | instskip(SKIP_1) | instid1(VALU_DEP_2)
	v_add_co_u32 v18, vcc_lo, v18, v24
	s_wait_alu 0xfffd
	v_add_co_ci_u32_e32 v18, vcc_lo, v19, v25, vcc_lo
	s_wait_alu 0xfffd
	v_add_co_ci_u32_e32 v19, vcc_lo, 0, v27, vcc_lo
	s_delay_alu instid0(VALU_DEP_2) | instskip(SKIP_1) | instid1(VALU_DEP_2)
	v_add_co_u32 v24, vcc_lo, v18, v26
	s_wait_alu 0xfffd
	v_add_co_ci_u32_e64 v25, null, 0, v19, vcc_lo
	s_delay_alu instid0(VALU_DEP_2) | instskip(SKIP_1) | instid1(VALU_DEP_3)
	v_mul_lo_u32 v26, s61, v24
	v_mad_co_u64_u32 v[18:19], null, s60, v24, 0
	v_mul_lo_u32 v27, s60, v25
	s_delay_alu instid0(VALU_DEP_2) | instskip(NEXT) | instid1(VALU_DEP_2)
	v_sub_co_u32 v18, vcc_lo, v28, v18
	v_add3_u32 v19, v19, v27, v26
	v_add_co_u32 v27, s0, v24, 2
	s_wait_alu 0xf1ff
	v_add_co_ci_u32_e64 v28, null, 0, v25, s0
	s_delay_alu instid0(VALU_DEP_3) | instskip(SKIP_3) | instid1(VALU_DEP_3)
	v_sub_nc_u32_e32 v26, v29, v19
	v_sub_co_u32 v30, s0, v18, s60
	s_wait_alu 0xfffd
	v_sub_co_ci_u32_e64 v19, null, v29, v19, vcc_lo
	v_subrev_co_ci_u32_e64 v26, null, s61, v26, vcc_lo
	s_delay_alu instid0(VALU_DEP_3) | instskip(SKIP_1) | instid1(VALU_DEP_2)
	v_cmp_le_u32_e32 vcc_lo, s60, v30
	s_wait_alu 0xf1ff
	v_subrev_co_ci_u32_e64 v26, null, 0, v26, s0
	s_wait_alu 0xfffd
	v_cndmask_b32_e64 v29, 0, -1, vcc_lo
	s_delay_alu instid0(VALU_DEP_2)
	v_cmp_le_u32_e32 vcc_lo, s61, v26
	s_wait_alu 0xfffd
	v_cndmask_b32_e64 v30, 0, -1, vcc_lo
	v_cmp_le_u32_e32 vcc_lo, s60, v18
	s_wait_alu 0xfffd
	v_cndmask_b32_e64 v18, 0, -1, vcc_lo
	;; [unrolled: 3-line block ×3, first 2 shown]
	v_cmp_eq_u32_e32 vcc_lo, s61, v26
	s_wait_alu 0xfffd
	v_cndmask_b32_e32 v26, v30, v29, vcc_lo
	v_add_co_u32 v29, vcc_lo, v24, 1
	s_wait_alu 0xfffd
	v_add_co_ci_u32_e64 v30, null, 0, v25, vcc_lo
	v_cmp_eq_u32_e32 vcc_lo, s61, v19
	s_wait_alu 0xfffd
	v_cndmask_b32_e32 v18, v31, v18, vcc_lo
	v_cmp_ne_u32_e32 vcc_lo, 0, v26
	s_wait_alu 0xfffd
	v_cndmask_b32_e32 v19, v30, v28, vcc_lo
	s_delay_alu instid0(VALU_DEP_3) | instskip(SKIP_2) | instid1(VALU_DEP_2)
	v_cmp_ne_u32_e64 s0, 0, v18
	v_cndmask_b32_e32 v18, v29, v27, vcc_lo
	s_wait_alu 0xf1ff
	v_cndmask_b32_e64 v19, v25, v19, s0
	s_delay_alu instid0(VALU_DEP_2) | instskip(NEXT) | instid1(VALU_DEP_2)
	v_cndmask_b32_e64 v18, v24, v18, s0
	v_xor_b32_e32 v19, v19, v3
	s_delay_alu instid0(VALU_DEP_2) | instskip(NEXT) | instid1(VALU_DEP_1)
	v_xor_b32_e32 v18, v18, v3
	v_sub_co_u32 v18, vcc_lo, v18, v3
	s_wait_alu 0xfffd
	s_delay_alu instid0(VALU_DEP_3)
	v_sub_co_ci_u32_e64 v19, null, v19, v3, vcc_lo
.LBB42_36:                              ;   in Loop: Header=BB42_22 Depth=2
	s_wait_alu 0xfffe
	s_and_not1_saveexec_b32 s0, s1
	s_cbranch_execz .LBB42_21
; %bb.37:                               ;   in Loop: Header=BB42_22 Depth=2
	v_cvt_f32_u32_e32 v3, s56
	s_sub_co_i32 s1, 0, s56
	s_delay_alu instid0(VALU_DEP_1) | instskip(NEXT) | instid1(TRANS32_DEP_1)
	v_rcp_iflag_f32_e32 v3, v3
	v_mul_f32_e32 v3, 0x4f7ffffe, v3
	s_delay_alu instid0(VALU_DEP_1) | instskip(SKIP_1) | instid1(VALU_DEP_1)
	v_cvt_u32_f32_e32 v3, v3
	s_wait_alu 0xfffe
	v_mul_lo_u32 v18, s1, v3
	s_delay_alu instid0(VALU_DEP_1) | instskip(NEXT) | instid1(VALU_DEP_1)
	v_mul_hi_u32 v18, v3, v18
	v_add_nc_u32_e32 v3, v3, v18
	s_delay_alu instid0(VALU_DEP_1) | instskip(NEXT) | instid1(VALU_DEP_1)
	v_mul_hi_u32 v3, v16, v3
	v_mul_lo_u32 v18, v3, s56
	v_add_nc_u32_e32 v19, 1, v3
	s_delay_alu instid0(VALU_DEP_2) | instskip(NEXT) | instid1(VALU_DEP_1)
	v_sub_nc_u32_e32 v18, v16, v18
	v_subrev_nc_u32_e32 v24, s56, v18
	v_cmp_le_u32_e32 vcc_lo, s56, v18
	s_wait_alu 0xfffd
	s_delay_alu instid0(VALU_DEP_2) | instskip(NEXT) | instid1(VALU_DEP_1)
	v_dual_cndmask_b32 v18, v18, v24 :: v_dual_cndmask_b32 v3, v3, v19
	v_cmp_le_u32_e32 vcc_lo, s56, v18
	s_delay_alu instid0(VALU_DEP_2) | instskip(SKIP_1) | instid1(VALU_DEP_1)
	v_add_nc_u32_e32 v19, 1, v3
	s_wait_alu 0xfffd
	v_dual_cndmask_b32 v18, v3, v19 :: v_dual_mov_b32 v19, v2
	s_branch .LBB42_21
.LBB42_38:                              ;   in Loop: Header=BB42_3 Depth=1
	s_load_b64 s[38:39], s[24:25], 0x0
	s_wait_kmcnt 0x0
	v_cmp_gt_i64_e32 vcc_lo, s[38:39], v[4:5]
	s_and_b32 exec_lo, exec_lo, vcc_lo
	s_cbranch_execz .LBB42_2
; %bb.39:                               ;   in Loop: Header=BB42_3 Depth=1
	v_lshlrev_b64_e32 v[8:9], 1, v[10:11]
	v_cmp_lt_i64_e32 vcc_lo, s[4:5], v[6:7]
	s_delay_alu instid0(VALU_DEP_2) | instskip(SKIP_1) | instid1(VALU_DEP_3)
	v_add_co_u32 v6, s0, s10, v8
	s_wait_alu 0xf1ff
	v_add_co_ci_u32_e64 v7, null, s11, v9, s0
	s_and_saveexec_b32 s0, vcc_lo
	s_cbranch_execz .LBB42_41
; %bb.40:                               ;   in Loop: Header=BB42_3 Depth=1
	global_store_b16 v[6:7], v2, off
.LBB42_41:                              ;   in Loop: Header=BB42_3 Depth=1
	s_wait_alu 0xfffe
	s_or_b32 exec_lo, exec_lo, s0
	v_add_co_u32 v8, vcc_lo, v4, 1
	s_wait_alu 0xfffd
	v_add_co_ci_u32_e64 v9, null, 0, v5, vcc_lo
	s_delay_alu instid0(VALU_DEP_1)
	v_cmp_gt_i64_e32 vcc_lo, s[38:39], v[8:9]
	s_and_b32 exec_lo, exec_lo, vcc_lo
	s_cbranch_execz .LBB42_2
; %bb.42:                               ;   in Loop: Header=BB42_3 Depth=1
	v_sub_co_u32 v8, vcc_lo, v8, v22
	s_wait_alu 0xfffd
	v_sub_co_ci_u32_e64 v9, null, v9, v23, vcc_lo
	s_mov_b32 s0, exec_lo
	v_cmpx_lt_i64_e64 s[4:5], v[8:9]
	s_cbranch_execz .LBB42_44
; %bb.43:                               ;   in Loop: Header=BB42_3 Depth=1
	s_lshl_b64 s[40:41], s[2:3], 1
	s_wait_alu 0xfffe
	v_add_co_u32 v8, vcc_lo, v6, s40
	s_wait_alu 0xfffd
	v_add_co_ci_u32_e64 v9, null, s41, v7, vcc_lo
	global_store_b16 v[8:9], v2, off
.LBB42_44:                              ;   in Loop: Header=BB42_3 Depth=1
	s_wait_alu 0xfffe
	s_or_b32 exec_lo, exec_lo, s0
	v_add_co_u32 v8, vcc_lo, v4, 2
	s_wait_alu 0xfffd
	v_add_co_ci_u32_e64 v9, null, 0, v5, vcc_lo
	s_delay_alu instid0(VALU_DEP_1)
	v_cmp_gt_i64_e32 vcc_lo, s[38:39], v[8:9]
	s_and_b32 exec_lo, exec_lo, vcc_lo
	s_cbranch_execz .LBB42_2
; %bb.45:                               ;   in Loop: Header=BB42_3 Depth=1
	v_sub_co_u32 v8, vcc_lo, v8, v22
	s_wait_alu 0xfffd
	v_sub_co_ci_u32_e64 v9, null, v9, v23, vcc_lo
	s_mov_b32 s0, exec_lo
	v_cmpx_lt_i64_e64 s[4:5], v[8:9]
	s_cbranch_execz .LBB42_47
; %bb.46:                               ;   in Loop: Header=BB42_3 Depth=1
	s_lshl_b64 s[40:41], s[2:3], 2
	s_wait_alu 0xfffe
	v_add_co_u32 v8, vcc_lo, v6, s40
	s_wait_alu 0xfffd
	v_add_co_ci_u32_e64 v9, null, s41, v7, vcc_lo
	global_store_b16 v[8:9], v2, off
.LBB42_47:                              ;   in Loop: Header=BB42_3 Depth=1
	s_wait_alu 0xfffe
	s_or_b32 exec_lo, exec_lo, s0
	v_add_co_u32 v3, vcc_lo, v4, 3
	s_wait_alu 0xfffd
	v_add_co_ci_u32_e64 v4, null, 0, v5, vcc_lo
	s_delay_alu instid0(VALU_DEP_2) | instskip(SKIP_1) | instid1(VALU_DEP_2)
	v_sub_co_u32 v8, vcc_lo, v3, v22
	s_wait_alu 0xfffd
	v_sub_co_ci_u32_e64 v9, null, v4, v23, vcc_lo
	v_cmp_gt_i64_e32 vcc_lo, s[38:39], v[3:4]
	s_delay_alu instid0(VALU_DEP_2)
	v_cmp_lt_i64_e64 s0, s[4:5], v[8:9]
	s_and_b32 s0, vcc_lo, s0
	s_wait_alu 0xfffe
	s_and_b32 exec_lo, exec_lo, s0
	s_cbranch_execz .LBB42_2
; %bb.48:                               ;   in Loop: Header=BB42_3 Depth=1
	v_mad_co_u64_u32 v[3:4], null, s2, 6, v[6:7]
	s_delay_alu instid0(VALU_DEP_1)
	v_mad_co_u64_u32 v[4:5], null, s3, 6, v[4:5]
	global_store_b16 v[3:4], v2, off
	s_branch .LBB42_2
.LBB42_49:
	s_endpgm
	.section	.rodata,"a",@progbits
	.p2align	6, 0x0
	.amdhsa_kernel _ZN2at6native16triu_tril_kernelIN3c104HalfElLb0ELi4ELb1EEEvNS_4cuda6detail10TensorInfoIT_T0_EENS6_IKS7_S8_EEllS8_
		.amdhsa_group_segment_fixed_size 0
		.amdhsa_private_segment_fixed_size 0
		.amdhsa_kernarg_size 1112
		.amdhsa_user_sgpr_count 2
		.amdhsa_user_sgpr_dispatch_ptr 0
		.amdhsa_user_sgpr_queue_ptr 0
		.amdhsa_user_sgpr_kernarg_segment_ptr 1
		.amdhsa_user_sgpr_dispatch_id 0
		.amdhsa_user_sgpr_private_segment_size 0
		.amdhsa_wavefront_size32 1
		.amdhsa_uses_dynamic_stack 0
		.amdhsa_enable_private_segment 0
		.amdhsa_system_sgpr_workgroup_id_x 1
		.amdhsa_system_sgpr_workgroup_id_y 0
		.amdhsa_system_sgpr_workgroup_id_z 0
		.amdhsa_system_sgpr_workgroup_info 0
		.amdhsa_system_vgpr_workitem_id 0
		.amdhsa_next_free_vgpr 32
		.amdhsa_next_free_sgpr 75
		.amdhsa_reserve_vcc 1
		.amdhsa_float_round_mode_32 0
		.amdhsa_float_round_mode_16_64 0
		.amdhsa_float_denorm_mode_32 3
		.amdhsa_float_denorm_mode_16_64 3
		.amdhsa_fp16_overflow 0
		.amdhsa_workgroup_processor_mode 1
		.amdhsa_memory_ordered 1
		.amdhsa_forward_progress 1
		.amdhsa_inst_pref_size 68
		.amdhsa_round_robin_scheduling 0
		.amdhsa_exception_fp_ieee_invalid_op 0
		.amdhsa_exception_fp_denorm_src 0
		.amdhsa_exception_fp_ieee_div_zero 0
		.amdhsa_exception_fp_ieee_overflow 0
		.amdhsa_exception_fp_ieee_underflow 0
		.amdhsa_exception_fp_ieee_inexact 0
		.amdhsa_exception_int_div_zero 0
	.end_amdhsa_kernel
	.section	.text._ZN2at6native16triu_tril_kernelIN3c104HalfElLb0ELi4ELb1EEEvNS_4cuda6detail10TensorInfoIT_T0_EENS6_IKS7_S8_EEllS8_,"axG",@progbits,_ZN2at6native16triu_tril_kernelIN3c104HalfElLb0ELi4ELb1EEEvNS_4cuda6detail10TensorInfoIT_T0_EENS6_IKS7_S8_EEllS8_,comdat
.Lfunc_end42:
	.size	_ZN2at6native16triu_tril_kernelIN3c104HalfElLb0ELi4ELb1EEEvNS_4cuda6detail10TensorInfoIT_T0_EENS6_IKS7_S8_EEllS8_, .Lfunc_end42-_ZN2at6native16triu_tril_kernelIN3c104HalfElLb0ELi4ELb1EEEvNS_4cuda6detail10TensorInfoIT_T0_EENS6_IKS7_S8_EEllS8_
                                        ; -- End function
	.set _ZN2at6native16triu_tril_kernelIN3c104HalfElLb0ELi4ELb1EEEvNS_4cuda6detail10TensorInfoIT_T0_EENS6_IKS7_S8_EEllS8_.num_vgpr, 32
	.set _ZN2at6native16triu_tril_kernelIN3c104HalfElLb0ELi4ELb1EEEvNS_4cuda6detail10TensorInfoIT_T0_EENS6_IKS7_S8_EEllS8_.num_agpr, 0
	.set _ZN2at6native16triu_tril_kernelIN3c104HalfElLb0ELi4ELb1EEEvNS_4cuda6detail10TensorInfoIT_T0_EENS6_IKS7_S8_EEllS8_.numbered_sgpr, 75
	.set _ZN2at6native16triu_tril_kernelIN3c104HalfElLb0ELi4ELb1EEEvNS_4cuda6detail10TensorInfoIT_T0_EENS6_IKS7_S8_EEllS8_.num_named_barrier, 0
	.set _ZN2at6native16triu_tril_kernelIN3c104HalfElLb0ELi4ELb1EEEvNS_4cuda6detail10TensorInfoIT_T0_EENS6_IKS7_S8_EEllS8_.private_seg_size, 0
	.set _ZN2at6native16triu_tril_kernelIN3c104HalfElLb0ELi4ELb1EEEvNS_4cuda6detail10TensorInfoIT_T0_EENS6_IKS7_S8_EEllS8_.uses_vcc, 1
	.set _ZN2at6native16triu_tril_kernelIN3c104HalfElLb0ELi4ELb1EEEvNS_4cuda6detail10TensorInfoIT_T0_EENS6_IKS7_S8_EEllS8_.uses_flat_scratch, 0
	.set _ZN2at6native16triu_tril_kernelIN3c104HalfElLb0ELi4ELb1EEEvNS_4cuda6detail10TensorInfoIT_T0_EENS6_IKS7_S8_EEllS8_.has_dyn_sized_stack, 0
	.set _ZN2at6native16triu_tril_kernelIN3c104HalfElLb0ELi4ELb1EEEvNS_4cuda6detail10TensorInfoIT_T0_EENS6_IKS7_S8_EEllS8_.has_recursion, 0
	.set _ZN2at6native16triu_tril_kernelIN3c104HalfElLb0ELi4ELb1EEEvNS_4cuda6detail10TensorInfoIT_T0_EENS6_IKS7_S8_EEllS8_.has_indirect_call, 0
	.section	.AMDGPU.csdata,"",@progbits
; Kernel info:
; codeLenInByte = 8604
; TotalNumSgprs: 77
; NumVgprs: 32
; ScratchSize: 0
; MemoryBound: 0
; FloatMode: 240
; IeeeMode: 1
; LDSByteSize: 0 bytes/workgroup (compile time only)
; SGPRBlocks: 0
; VGPRBlocks: 3
; NumSGPRsForWavesPerEU: 77
; NumVGPRsForWavesPerEU: 32
; Occupancy: 16
; WaveLimiterHint : 0
; COMPUTE_PGM_RSRC2:SCRATCH_EN: 0
; COMPUTE_PGM_RSRC2:USER_SGPR: 2
; COMPUTE_PGM_RSRC2:TRAP_HANDLER: 0
; COMPUTE_PGM_RSRC2:TGID_X_EN: 1
; COMPUTE_PGM_RSRC2:TGID_Y_EN: 0
; COMPUTE_PGM_RSRC2:TGID_Z_EN: 0
; COMPUTE_PGM_RSRC2:TIDIG_COMP_CNT: 0
	.section	.text._ZN2at6native16triu_tril_kernelIN3c104HalfElLb0ELi4ELb0EEEvNS_4cuda6detail10TensorInfoIT_T0_EENS6_IKS7_S8_EEllS8_,"axG",@progbits,_ZN2at6native16triu_tril_kernelIN3c104HalfElLb0ELi4ELb0EEEvNS_4cuda6detail10TensorInfoIT_T0_EENS6_IKS7_S8_EEllS8_,comdat
	.protected	_ZN2at6native16triu_tril_kernelIN3c104HalfElLb0ELi4ELb0EEEvNS_4cuda6detail10TensorInfoIT_T0_EENS6_IKS7_S8_EEllS8_ ; -- Begin function _ZN2at6native16triu_tril_kernelIN3c104HalfElLb0ELi4ELb0EEEvNS_4cuda6detail10TensorInfoIT_T0_EENS6_IKS7_S8_EEllS8_
	.globl	_ZN2at6native16triu_tril_kernelIN3c104HalfElLb0ELi4ELb0EEEvNS_4cuda6detail10TensorInfoIT_T0_EENS6_IKS7_S8_EEllS8_
	.p2align	8
	.type	_ZN2at6native16triu_tril_kernelIN3c104HalfElLb0ELi4ELb0EEEvNS_4cuda6detail10TensorInfoIT_T0_EENS6_IKS7_S8_EEllS8_,@function
_ZN2at6native16triu_tril_kernelIN3c104HalfElLb0ELi4ELb0EEEvNS_4cuda6detail10TensorInfoIT_T0_EENS6_IKS7_S8_EEllS8_: ; @_ZN2at6native16triu_tril_kernelIN3c104HalfElLb0ELi4ELb0EEEvNS_4cuda6detail10TensorInfoIT_T0_EENS6_IKS7_S8_EEllS8_
; %bb.0:
	s_clause 0x1
	s_load_b32 s2, s[0:1], 0x364
	s_load_b128 s[4:7], s[0:1], 0x340
	v_mov_b32_e32 v2, 0
	s_delay_alu instid0(VALU_DEP_1) | instskip(SKIP_3) | instid1(VALU_DEP_1)
	v_mov_b32_e32 v1, v2
	s_wait_kmcnt 0x0
	s_and_b32 s26, s2, 0xffff
	s_mov_b32 s2, exec_lo
	v_mad_co_u64_u32 v[0:1], null, s26, ttmp9, v[0:1]
	s_delay_alu instid0(VALU_DEP_1) | instskip(NEXT) | instid1(VALU_DEP_1)
	v_lshlrev_b64_e32 v[0:1], 2, v[0:1]
	v_cmpx_gt_i64_e64 s[6:7], v[0:1]
	s_cbranch_execz .LBB43_44
; %bb.1:
	s_clause 0x2
	s_load_b32 s46, s[0:1], 0x338
	s_load_b64 s[2:3], s[0:1], 0x350
	s_load_b64 s[20:21], s[0:1], 0x1a0
	s_add_nc_u64 s[22:23], s[0:1], 0x1a0
	s_add_nc_u64 s[14:15], s[0:1], 0x358
	s_load_b64 s[24:25], s[0:1], 0x0
	s_mov_b32 s27, 0
	s_mov_b32 s71, 0
	s_wait_kmcnt 0x0
	s_ashr_i32 s47, s46, 31
	v_cvt_f32_u32_e32 v3, s2
	s_lshl_b64 s[12:13], s[46:47], 3
	s_add_co_i32 s28, s46, -3
	s_add_nc_u64 s[16:17], s[22:23], s[12:13]
	s_add_nc_u64 s[12:13], s[0:1], s[12:13]
	s_add_nc_u64 s[8:9], s[16:17], -8
	v_rcp_iflag_f32_e32 v3, v3
	s_load_b128 s[8:11], s[8:9], 0x0
	s_load_b32 s29, s[14:15], 0x0
	s_clause 0x1
	s_load_b128 s[12:15], s[12:13], 0xc0
	s_load_b128 s[16:19], s[16:17], 0xc0
	v_cmp_gt_i64_e64 s70, s[46:47], 2
	s_add_nc_u64 s[46:47], s[0:1], 0xc8
	s_delay_alu instid0(TRANS32_DEP_1) | instskip(NEXT) | instid1(VALU_DEP_1)
	v_mul_f32_e32 v3, 0x4f7ffffe, v3
	v_cvt_u32_f32_e32 v16, v3
	s_wait_kmcnt 0x0
	v_cvt_f32_u32_e32 v4, s8
	s_mul_i32 s26, s29, s26
	s_ashr_i32 s29, s28, 31
	s_wait_alu 0xfffe
	s_lshl_b32 s33, s26, 2
	s_lshl_b64 s[34:35], s[14:15], 2
	v_rcp_iflag_f32_e32 v4, v4
	s_lshl_b64 s[38:39], s[18:19], 2
	s_bitcmp0_b32 s28, 0
	s_add_nc_u64 s[30:31], s[28:29], -1
	s_cselect_b32 s68, -1, 0
	s_lshl_b64 s[44:45], s[28:29], 3
	s_cmp_lg_u32 s28, 0
	s_mul_u64 s[36:37], s[14:15], 6
	s_mul_u64 s[40:41], s[18:19], 6
	s_add_nc_u64 s[42:43], s[22:23], s[44:45]
	v_mul_f32_e32 v3, 0x4f7ffffe, v4
	s_add_nc_u64 s[44:45], s[0:1], s[44:45]
	s_cselect_b32 s69, -1, 0
	s_ashr_i32 s48, s3, 31
	s_delay_alu instid0(VALU_DEP_1)
	v_cvt_u32_f32_e32 v17, v3
	s_branch .LBB43_3
.LBB43_2:                               ;   in Loop: Header=BB43_3 Depth=1
	s_wait_alu 0xfffe
	s_or_b32 exec_lo, exec_lo, s0
	v_add_co_u32 v0, vcc_lo, v0, s33
	s_wait_alu 0xfffd
	v_add_co_ci_u32_e64 v1, null, 0, v1, vcc_lo
	s_delay_alu instid0(VALU_DEP_1) | instskip(SKIP_1) | instid1(SALU_CYCLE_1)
	v_cmp_le_i64_e32 vcc_lo, s[6:7], v[0:1]
	s_or_b32 s71, vcc_lo, s71
	s_and_not1_b32 exec_lo, exec_lo, s71
	s_cbranch_execz .LBB43_44
.LBB43_3:                               ; =>This Loop Header: Depth=1
                                        ;     Child Loop BB43_21 Depth 2
	v_or_b32_e32 v3, s3, v1
                                        ; implicit-def: $vgpr6_vgpr7
	s_mov_b32 s0, exec_lo
	s_delay_alu instid0(VALU_DEP_1)
	v_cmpx_ne_u64_e32 0, v[2:3]
	s_wait_alu 0xfffe
	s_xor_b32 s1, exec_lo, s0
	s_cbranch_execz .LBB43_5
; %bb.4:                                ;   in Loop: Header=BB43_3 Depth=1
	s_mov_b32 s49, s48
	v_ashrrev_i32_e32 v9, 31, v1
	s_wait_alu 0xfffe
	s_add_nc_u64 s[50:51], s[2:3], s[48:49]
	s_wait_alu 0xfffe
	s_xor_b64 s[50:51], s[50:51], s[48:49]
	v_add_co_u32 v3, vcc_lo, v0, v9
	s_wait_alu 0xfffe
	s_cvt_f32_u32 s0, s50
	s_cvt_f32_u32 s26, s51
	s_sub_nc_u64 s[54:55], 0, s[50:51]
	s_wait_alu 0xfffd
	v_add_co_ci_u32_e64 v4, null, v1, v9, vcc_lo
	s_wait_alu 0xfffe
	s_fmamk_f32 s0, s26, 0x4f800000, s0
	v_xor_b32_e32 v10, v3, v9
	s_delay_alu instid0(VALU_DEP_2) | instskip(SKIP_2) | instid1(TRANS32_DEP_1)
	v_xor_b32_e32 v11, v4, v9
	s_wait_alu 0xfffe
	v_s_rcp_f32 s0, s0
	s_mul_f32 s0, s0, 0x5f7ffffc
	s_wait_alu 0xfffe
	s_delay_alu instid0(SALU_CYCLE_2) | instskip(SKIP_1) | instid1(SALU_CYCLE_2)
	s_mul_f32 s26, s0, 0x2f800000
	s_wait_alu 0xfffe
	s_trunc_f32 s26, s26
	s_wait_alu 0xfffe
	s_delay_alu instid0(SALU_CYCLE_2) | instskip(SKIP_2) | instid1(SALU_CYCLE_1)
	s_fmamk_f32 s0, s26, 0xcf800000, s0
	s_cvt_u32_f32 s53, s26
	s_wait_alu 0xfffe
	s_cvt_u32_f32 s52, s0
	s_wait_alu 0xfffe
	s_delay_alu instid0(SALU_CYCLE_2)
	s_mul_u64 s[56:57], s[54:55], s[52:53]
	s_wait_alu 0xfffe
	s_mul_hi_u32 s59, s52, s57
	s_mul_i32 s58, s52, s57
	s_mul_hi_u32 s26, s52, s56
	s_mul_i32 s49, s53, s56
	s_wait_alu 0xfffe
	s_add_nc_u64 s[58:59], s[26:27], s[58:59]
	s_mul_hi_u32 s0, s53, s56
	s_mul_hi_u32 s60, s53, s57
	s_wait_alu 0xfffe
	s_add_co_u32 s26, s58, s49
	s_add_co_ci_u32 s26, s59, s0
	s_mul_i32 s56, s53, s57
	s_add_co_ci_u32 s57, s60, 0
	s_wait_alu 0xfffe
	s_add_nc_u64 s[56:57], s[26:27], s[56:57]
	s_wait_alu 0xfffe
	s_add_co_u32 s52, s52, s56
	s_cselect_b32 s0, -1, 0
	s_wait_alu 0xfffe
	s_cmp_lg_u32 s0, 0
	s_add_co_ci_u32 s53, s53, s57
	s_wait_alu 0xfffe
	s_mul_u64 s[54:55], s[54:55], s[52:53]
	s_wait_alu 0xfffe
	s_mul_hi_u32 s57, s52, s55
	s_mul_i32 s56, s52, s55
	s_mul_hi_u32 s26, s52, s54
	s_mul_i32 s49, s53, s54
	s_wait_alu 0xfffe
	s_add_nc_u64 s[56:57], s[26:27], s[56:57]
	s_mul_hi_u32 s0, s53, s54
	s_mul_hi_u32 s58, s53, s55
	s_wait_alu 0xfffe
	s_add_co_u32 s26, s56, s49
	s_add_co_ci_u32 s26, s57, s0
	s_mul_i32 s54, s53, s55
	s_add_co_ci_u32 s55, s58, 0
	s_wait_alu 0xfffe
	s_add_nc_u64 s[54:55], s[26:27], s[54:55]
	s_wait_alu 0xfffe
	s_add_co_u32 s0, s52, s54
	s_cselect_b32 s26, -1, 0
	s_wait_alu 0xfffe
	v_mul_hi_u32 v12, v10, s0
	s_cmp_lg_u32 s26, 0
	v_mad_co_u64_u32 v[5:6], null, v11, s0, 0
	s_add_co_ci_u32 s26, s53, s55
	s_wait_alu 0xfffe
	v_mad_co_u64_u32 v[3:4], null, v10, s26, 0
	v_mad_co_u64_u32 v[7:8], null, v11, s26, 0
	s_delay_alu instid0(VALU_DEP_2) | instskip(SKIP_1) | instid1(VALU_DEP_3)
	v_add_co_u32 v3, vcc_lo, v12, v3
	s_wait_alu 0xfffd
	v_add_co_ci_u32_e64 v4, null, 0, v4, vcc_lo
	s_delay_alu instid0(VALU_DEP_2) | instskip(SKIP_1) | instid1(VALU_DEP_2)
	v_add_co_u32 v3, vcc_lo, v3, v5
	s_wait_alu 0xfffd
	v_add_co_ci_u32_e32 v3, vcc_lo, v4, v6, vcc_lo
	s_wait_alu 0xfffd
	v_add_co_ci_u32_e32 v4, vcc_lo, 0, v8, vcc_lo
	s_delay_alu instid0(VALU_DEP_2) | instskip(SKIP_1) | instid1(VALU_DEP_2)
	v_add_co_u32 v5, vcc_lo, v3, v7
	s_wait_alu 0xfffd
	v_add_co_ci_u32_e64 v6, null, 0, v4, vcc_lo
	s_delay_alu instid0(VALU_DEP_2) | instskip(SKIP_1) | instid1(VALU_DEP_3)
	v_mul_lo_u32 v7, s51, v5
	v_mad_co_u64_u32 v[3:4], null, s50, v5, 0
	v_mul_lo_u32 v8, s50, v6
	s_delay_alu instid0(VALU_DEP_2) | instskip(NEXT) | instid1(VALU_DEP_2)
	v_sub_co_u32 v3, vcc_lo, v10, v3
	v_add3_u32 v4, v4, v8, v7
	v_add_co_u32 v8, s0, v5, 2
	s_wait_alu 0xf1ff
	v_add_co_ci_u32_e64 v10, null, 0, v6, s0
	s_delay_alu instid0(VALU_DEP_3) | instskip(SKIP_3) | instid1(VALU_DEP_3)
	v_sub_nc_u32_e32 v7, v11, v4
	v_sub_co_u32 v12, s0, v3, s50
	s_wait_alu 0xfffd
	v_sub_co_ci_u32_e64 v4, null, v11, v4, vcc_lo
	v_subrev_co_ci_u32_e64 v7, null, s51, v7, vcc_lo
	s_delay_alu instid0(VALU_DEP_3) | instskip(SKIP_1) | instid1(VALU_DEP_2)
	v_cmp_le_u32_e32 vcc_lo, s50, v12
	s_wait_alu 0xf1ff
	v_subrev_co_ci_u32_e64 v7, null, 0, v7, s0
	s_wait_alu 0xfffd
	v_cndmask_b32_e64 v11, 0, -1, vcc_lo
	s_delay_alu instid0(VALU_DEP_2)
	v_cmp_le_u32_e32 vcc_lo, s51, v7
	s_wait_alu 0xfffd
	v_cndmask_b32_e64 v12, 0, -1, vcc_lo
	v_cmp_le_u32_e32 vcc_lo, s50, v3
	s_wait_alu 0xfffd
	v_cndmask_b32_e64 v3, 0, -1, vcc_lo
	;; [unrolled: 3-line block ×3, first 2 shown]
	v_cmp_eq_u32_e32 vcc_lo, s51, v7
	s_wait_alu 0xfffd
	v_cndmask_b32_e32 v7, v12, v11, vcc_lo
	v_add_co_u32 v11, vcc_lo, v5, 1
	s_wait_alu 0xfffd
	v_add_co_ci_u32_e64 v12, null, 0, v6, vcc_lo
	v_cmp_eq_u32_e32 vcc_lo, s51, v4
	s_wait_alu 0xfffd
	v_cndmask_b32_e32 v3, v13, v3, vcc_lo
	v_cmp_ne_u32_e32 vcc_lo, 0, v7
	v_xor_b32_e32 v7, s48, v9
	s_wait_alu 0xfffd
	v_cndmask_b32_e32 v4, v12, v10, vcc_lo
	v_cmp_ne_u32_e64 s0, 0, v3
	v_cndmask_b32_e32 v3, v11, v8, vcc_lo
	s_wait_alu 0xf1ff
	s_delay_alu instid0(VALU_DEP_2) | instskip(NEXT) | instid1(VALU_DEP_2)
	v_cndmask_b32_e64 v4, v6, v4, s0
	v_cndmask_b32_e64 v3, v5, v3, s0
	s_delay_alu instid0(VALU_DEP_2) | instskip(NEXT) | instid1(VALU_DEP_2)
	v_xor_b32_e32 v4, v4, v7
	v_xor_b32_e32 v3, v3, v7
	s_delay_alu instid0(VALU_DEP_1) | instskip(SKIP_1) | instid1(VALU_DEP_3)
	v_sub_co_u32 v6, vcc_lo, v3, v7
	s_wait_alu 0xfffd
	v_sub_co_ci_u32_e64 v7, null, v4, v7, vcc_lo
.LBB43_5:                               ;   in Loop: Header=BB43_3 Depth=1
	s_wait_alu 0xfffe
	s_and_not1_saveexec_b32 s0, s1
	s_cbranch_execz .LBB43_7
; %bb.6:                                ;   in Loop: Header=BB43_3 Depth=1
	s_sub_co_i32 s1, 0, s2
	v_mov_b32_e32 v7, v2
	s_wait_alu 0xfffe
	v_mul_lo_u32 v3, s1, v16
	s_delay_alu instid0(VALU_DEP_1) | instskip(NEXT) | instid1(VALU_DEP_1)
	v_mul_hi_u32 v3, v16, v3
	v_add_nc_u32_e32 v3, v16, v3
	s_delay_alu instid0(VALU_DEP_1) | instskip(NEXT) | instid1(VALU_DEP_1)
	v_mul_hi_u32 v3, v0, v3
	v_mul_lo_u32 v4, v3, s2
	s_delay_alu instid0(VALU_DEP_1) | instskip(NEXT) | instid1(VALU_DEP_1)
	v_sub_nc_u32_e32 v4, v0, v4
	v_subrev_nc_u32_e32 v6, s2, v4
	v_cmp_le_u32_e32 vcc_lo, s2, v4
	s_wait_alu 0xfffd
	s_delay_alu instid0(VALU_DEP_2) | instskip(NEXT) | instid1(VALU_DEP_1)
	v_dual_cndmask_b32 v4, v4, v6 :: v_dual_add_nc_u32 v5, 1, v3
	v_cndmask_b32_e32 v3, v3, v5, vcc_lo
	s_delay_alu instid0(VALU_DEP_2) | instskip(NEXT) | instid1(VALU_DEP_2)
	v_cmp_le_u32_e32 vcc_lo, s2, v4
	v_add_nc_u32_e32 v5, 1, v3
	s_wait_alu 0xfffd
	s_delay_alu instid0(VALU_DEP_1)
	v_cndmask_b32_e32 v6, v3, v5, vcc_lo
.LBB43_7:                               ;   in Loop: Header=BB43_3 Depth=1
	s_wait_alu 0xfffe
	s_or_b32 exec_lo, exec_lo, s0
	v_or_b32_e32 v3, s9, v7
                                        ; implicit-def: $vgpr10_vgpr11
	s_mov_b32 s0, exec_lo
	s_delay_alu instid0(VALU_DEP_1)
	v_cmpx_ne_u64_e32 0, v[2:3]
	s_wait_alu 0xfffe
	s_xor_b32 s1, exec_lo, s0
	s_cbranch_execz .LBB43_9
; %bb.8:                                ;   in Loop: Header=BB43_3 Depth=1
	s_ashr_i32 s50, s9, 31
	v_ashrrev_i32_e32 v5, 31, v7
	s_wait_alu 0xfffe
	s_mov_b32 s51, s50
	s_wait_alu 0xfffe
	s_add_nc_u64 s[52:53], s[8:9], s[50:51]
	v_add_co_u32 v3, vcc_lo, v6, v5
	s_wait_alu 0xfffe
	s_xor_b64 s[52:53], s[52:53], s[50:51]
	s_wait_alu 0xfffd
	v_add_co_ci_u32_e64 v4, null, v7, v5, vcc_lo
	s_wait_alu 0xfffe
	s_cvt_f32_u32 s0, s52
	s_cvt_f32_u32 s26, s53
	s_sub_nc_u64 s[56:57], 0, s[52:53]
	v_xor_b32_e32 v12, v3, v5
	v_xor_b32_e32 v13, v4, v5
	s_wait_alu 0xfffe
	s_fmamk_f32 s0, s26, 0x4f800000, s0
	v_xor_b32_e32 v5, s50, v5
	s_wait_alu 0xfffe
	s_delay_alu instid0(SALU_CYCLE_1) | instskip(NEXT) | instid1(TRANS32_DEP_1)
	v_s_rcp_f32 s0, s0
	s_mul_f32 s0, s0, 0x5f7ffffc
	s_wait_alu 0xfffe
	s_delay_alu instid0(SALU_CYCLE_2) | instskip(SKIP_1) | instid1(SALU_CYCLE_2)
	s_mul_f32 s26, s0, 0x2f800000
	s_wait_alu 0xfffe
	s_trunc_f32 s26, s26
	s_wait_alu 0xfffe
	s_delay_alu instid0(SALU_CYCLE_2) | instskip(SKIP_2) | instid1(SALU_CYCLE_1)
	s_fmamk_f32 s0, s26, 0xcf800000, s0
	s_cvt_u32_f32 s55, s26
	s_wait_alu 0xfffe
	s_cvt_u32_f32 s54, s0
	s_wait_alu 0xfffe
	s_delay_alu instid0(SALU_CYCLE_2)
	s_mul_u64 s[58:59], s[56:57], s[54:55]
	s_wait_alu 0xfffe
	s_mul_hi_u32 s61, s54, s59
	s_mul_i32 s60, s54, s59
	s_mul_hi_u32 s26, s54, s58
	s_mul_i32 s49, s55, s58
	s_wait_alu 0xfffe
	s_add_nc_u64 s[60:61], s[26:27], s[60:61]
	s_mul_hi_u32 s0, s55, s58
	s_mul_hi_u32 s51, s55, s59
	s_wait_alu 0xfffe
	s_add_co_u32 s26, s60, s49
	s_add_co_ci_u32 s26, s61, s0
	s_mul_i32 s58, s55, s59
	s_add_co_ci_u32 s59, s51, 0
	s_wait_alu 0xfffe
	s_add_nc_u64 s[58:59], s[26:27], s[58:59]
	s_wait_alu 0xfffe
	s_add_co_u32 s54, s54, s58
	s_cselect_b32 s0, -1, 0
	s_wait_alu 0xfffe
	s_cmp_lg_u32 s0, 0
	s_add_co_ci_u32 s55, s55, s59
	s_wait_alu 0xfffe
	s_mul_u64 s[56:57], s[56:57], s[54:55]
	s_wait_alu 0xfffe
	s_mul_hi_u32 s59, s54, s57
	s_mul_i32 s58, s54, s57
	s_mul_hi_u32 s26, s54, s56
	s_mul_i32 s49, s55, s56
	s_wait_alu 0xfffe
	s_add_nc_u64 s[58:59], s[26:27], s[58:59]
	s_mul_hi_u32 s0, s55, s56
	s_mul_hi_u32 s51, s55, s57
	s_wait_alu 0xfffe
	s_add_co_u32 s26, s58, s49
	s_add_co_ci_u32 s26, s59, s0
	s_mul_i32 s56, s55, s57
	s_add_co_ci_u32 s57, s51, 0
	s_wait_alu 0xfffe
	s_add_nc_u64 s[56:57], s[26:27], s[56:57]
	s_wait_alu 0xfffe
	s_add_co_u32 s0, s54, s56
	s_cselect_b32 s26, -1, 0
	s_wait_alu 0xfffe
	v_mul_hi_u32 v14, v12, s0
	s_cmp_lg_u32 s26, 0
	v_mad_co_u64_u32 v[8:9], null, v13, s0, 0
	s_add_co_ci_u32 s26, s55, s57
	s_wait_alu 0xfffe
	v_mad_co_u64_u32 v[3:4], null, v12, s26, 0
	v_mad_co_u64_u32 v[10:11], null, v13, s26, 0
	s_delay_alu instid0(VALU_DEP_2) | instskip(SKIP_1) | instid1(VALU_DEP_3)
	v_add_co_u32 v3, vcc_lo, v14, v3
	s_wait_alu 0xfffd
	v_add_co_ci_u32_e64 v4, null, 0, v4, vcc_lo
	s_delay_alu instid0(VALU_DEP_2) | instskip(SKIP_1) | instid1(VALU_DEP_2)
	v_add_co_u32 v3, vcc_lo, v3, v8
	s_wait_alu 0xfffd
	v_add_co_ci_u32_e32 v3, vcc_lo, v4, v9, vcc_lo
	s_wait_alu 0xfffd
	v_add_co_ci_u32_e32 v4, vcc_lo, 0, v11, vcc_lo
	s_delay_alu instid0(VALU_DEP_2) | instskip(SKIP_1) | instid1(VALU_DEP_2)
	v_add_co_u32 v8, vcc_lo, v3, v10
	s_wait_alu 0xfffd
	v_add_co_ci_u32_e64 v9, null, 0, v4, vcc_lo
	s_delay_alu instid0(VALU_DEP_2) | instskip(SKIP_1) | instid1(VALU_DEP_3)
	v_mul_lo_u32 v10, s53, v8
	v_mad_co_u64_u32 v[3:4], null, s52, v8, 0
	v_mul_lo_u32 v11, s52, v9
	s_delay_alu instid0(VALU_DEP_2) | instskip(NEXT) | instid1(VALU_DEP_2)
	v_sub_co_u32 v3, vcc_lo, v12, v3
	v_add3_u32 v4, v4, v11, v10
	v_add_co_u32 v11, s0, v8, 2
	s_wait_alu 0xf1ff
	v_add_co_ci_u32_e64 v12, null, 0, v9, s0
	s_delay_alu instid0(VALU_DEP_3) | instskip(SKIP_3) | instid1(VALU_DEP_3)
	v_sub_nc_u32_e32 v10, v13, v4
	v_sub_co_u32 v14, s0, v3, s52
	s_wait_alu 0xfffd
	v_sub_co_ci_u32_e64 v4, null, v13, v4, vcc_lo
	v_subrev_co_ci_u32_e64 v10, null, s53, v10, vcc_lo
	s_delay_alu instid0(VALU_DEP_3) | instskip(SKIP_1) | instid1(VALU_DEP_2)
	v_cmp_le_u32_e32 vcc_lo, s52, v14
	s_wait_alu 0xf1ff
	v_subrev_co_ci_u32_e64 v10, null, 0, v10, s0
	s_wait_alu 0xfffd
	v_cndmask_b32_e64 v13, 0, -1, vcc_lo
	s_delay_alu instid0(VALU_DEP_2)
	v_cmp_le_u32_e32 vcc_lo, s53, v10
	s_wait_alu 0xfffd
	v_cndmask_b32_e64 v14, 0, -1, vcc_lo
	v_cmp_le_u32_e32 vcc_lo, s52, v3
	s_wait_alu 0xfffd
	v_cndmask_b32_e64 v3, 0, -1, vcc_lo
	;; [unrolled: 3-line block ×3, first 2 shown]
	v_cmp_eq_u32_e32 vcc_lo, s53, v10
	s_wait_alu 0xfffd
	v_cndmask_b32_e32 v10, v14, v13, vcc_lo
	v_add_co_u32 v13, vcc_lo, v8, 1
	s_wait_alu 0xfffd
	v_add_co_ci_u32_e64 v14, null, 0, v9, vcc_lo
	v_cmp_eq_u32_e32 vcc_lo, s53, v4
	s_wait_alu 0xfffd
	v_cndmask_b32_e32 v3, v15, v3, vcc_lo
	v_cmp_ne_u32_e32 vcc_lo, 0, v10
	s_delay_alu instid0(VALU_DEP_2) | instskip(SKIP_3) | instid1(VALU_DEP_1)
	v_cmp_ne_u32_e64 s0, 0, v3
	s_wait_alu 0xfffd
	v_dual_cndmask_b32 v4, v14, v12 :: v_dual_cndmask_b32 v3, v13, v11
	s_wait_alu 0xf1ff
	v_cndmask_b32_e64 v4, v9, v4, s0
	s_delay_alu instid0(VALU_DEP_2) | instskip(NEXT) | instid1(VALU_DEP_2)
	v_cndmask_b32_e64 v3, v8, v3, s0
	v_xor_b32_e32 v4, v4, v5
	s_delay_alu instid0(VALU_DEP_2) | instskip(NEXT) | instid1(VALU_DEP_1)
	v_xor_b32_e32 v3, v3, v5
	v_sub_co_u32 v10, vcc_lo, v3, v5
	s_wait_alu 0xfffd
	s_delay_alu instid0(VALU_DEP_3)
	v_sub_co_ci_u32_e64 v11, null, v4, v5, vcc_lo
.LBB43_9:                               ;   in Loop: Header=BB43_3 Depth=1
	s_wait_alu 0xfffe
	s_and_not1_saveexec_b32 s0, s1
	s_cbranch_execz .LBB43_11
; %bb.10:                               ;   in Loop: Header=BB43_3 Depth=1
	s_sub_co_i32 s1, 0, s8
	v_mov_b32_e32 v11, v2
	s_wait_alu 0xfffe
	v_mul_lo_u32 v3, s1, v17
	s_delay_alu instid0(VALU_DEP_1) | instskip(NEXT) | instid1(VALU_DEP_1)
	v_mul_hi_u32 v3, v17, v3
	v_add_nc_u32_e32 v3, v17, v3
	s_delay_alu instid0(VALU_DEP_1) | instskip(NEXT) | instid1(VALU_DEP_1)
	v_mul_hi_u32 v3, v6, v3
	v_mul_lo_u32 v4, v3, s8
	v_add_nc_u32_e32 v5, 1, v3
	s_delay_alu instid0(VALU_DEP_2) | instskip(NEXT) | instid1(VALU_DEP_1)
	v_sub_nc_u32_e32 v4, v6, v4
	v_subrev_nc_u32_e32 v8, s8, v4
	v_cmp_le_u32_e32 vcc_lo, s8, v4
	s_wait_alu 0xfffd
	s_delay_alu instid0(VALU_DEP_2) | instskip(NEXT) | instid1(VALU_DEP_1)
	v_dual_cndmask_b32 v4, v4, v8 :: v_dual_cndmask_b32 v3, v3, v5
	v_cmp_le_u32_e32 vcc_lo, s8, v4
	s_delay_alu instid0(VALU_DEP_2) | instskip(SKIP_1) | instid1(VALU_DEP_1)
	v_add_nc_u32_e32 v5, 1, v3
	s_wait_alu 0xfffd
	v_cndmask_b32_e32 v10, v3, v5, vcc_lo
.LBB43_11:                              ;   in Loop: Header=BB43_3 Depth=1
	s_wait_alu 0xfffe
	s_or_b32 exec_lo, exec_lo, s0
	v_mul_lo_u32 v5, v7, s2
	v_mul_lo_u32 v12, v6, s3
	v_mad_co_u64_u32 v[3:4], null, v6, s2, 0
	v_mul_lo_u32 v13, v11, s8
	v_mul_lo_u32 v14, v10, s9
	v_mad_co_u64_u32 v[8:9], null, v10, s8, 0
	s_delay_alu instid0(VALU_DEP_4) | instskip(SKIP_1) | instid1(VALU_DEP_3)
	v_add3_u32 v5, v4, v12, v5
	v_sub_co_u32 v4, vcc_lo, v0, v3
	v_add3_u32 v3, v9, v14, v13
	s_wait_alu 0xfffd
	s_delay_alu instid0(VALU_DEP_3) | instskip(NEXT) | instid1(VALU_DEP_3)
	v_sub_co_ci_u32_e64 v5, null, v1, v5, vcc_lo
	v_mul_lo_u32 v9, s19, v4
	v_mad_co_u64_u32 v[12:13], null, s18, v4, 0
	v_mul_lo_u32 v20, s15, v4
	s_delay_alu instid0(VALU_DEP_4)
	v_mul_lo_u32 v21, s18, v5
	v_mul_lo_u32 v22, s14, v5
	v_mad_co_u64_u32 v[14:15], null, s14, v4, 0
	v_sub_co_u32 v18, vcc_lo, v6, v8
	s_wait_alu 0xfffd
	v_sub_co_ci_u32_e64 v19, null, v7, v3, vcc_lo
	v_add3_u32 v13, v13, v21, v9
	s_delay_alu instid0(VALU_DEP_3) | instskip(SKIP_1) | instid1(VALU_DEP_4)
	v_mul_lo_u32 v3, s17, v18
	v_add3_u32 v15, v15, v22, v20
	v_mul_lo_u32 v21, s16, v19
	s_and_not1_b32 vcc_lo, exec_lo, s70
	v_mad_co_u64_u32 v[8:9], null, s16, v18, v[12:13]
	v_mul_lo_u32 v12, s12, v19
	v_mul_lo_u32 v13, s13, v18
	v_mad_co_u64_u32 v[6:7], null, s12, v18, v[14:15]
	s_delay_alu instid0(VALU_DEP_4) | instskip(NEXT) | instid1(VALU_DEP_2)
	v_add3_u32 v9, v3, v9, v21
	v_add3_u32 v7, v13, v7, v12
	s_wait_alu 0xfffe
	s_cbranch_vccnz .LBB43_29
; %bb.12:                               ;   in Loop: Header=BB43_3 Depth=1
	s_and_not1_b32 vcc_lo, exec_lo, s68
	s_wait_alu 0xfffe
	s_cbranch_vccnz .LBB43_18
; %bb.13:                               ;   in Loop: Header=BB43_3 Depth=1
	s_load_b64 s[50:51], s[42:43], 0x8
                                        ; implicit-def: $vgpr12_vgpr13
	s_mov_b32 s0, exec_lo
	s_wait_kmcnt 0x0
	v_or_b32_e32 v3, s51, v11
	s_delay_alu instid0(VALU_DEP_1)
	v_cmpx_ne_u64_e32 0, v[2:3]
	s_wait_alu 0xfffe
	s_xor_b32 s1, exec_lo, s0
	s_cbranch_execz .LBB43_15
; %bb.14:                               ;   in Loop: Header=BB43_3 Depth=1
	s_ashr_i32 s52, s51, 31
	v_ashrrev_i32_e32 v3, 31, v11
	s_wait_alu 0xfffe
	s_mov_b32 s53, s52
	s_wait_alu 0xfffe
	s_add_nc_u64 s[54:55], s[50:51], s[52:53]
	v_add_co_u32 v12, vcc_lo, v10, v3
	s_wait_alu 0xfffe
	s_xor_b64 s[54:55], s[54:55], s[52:53]
	s_wait_alu 0xfffd
	v_add_co_ci_u32_e64 v13, null, v11, v3, vcc_lo
	s_wait_alu 0xfffe
	s_cvt_f32_u32 s0, s54
	s_cvt_f32_u32 s26, s55
	s_sub_nc_u64 s[58:59], 0, s[54:55]
	v_xor_b32_e32 v22, v12, v3
	v_xor_b32_e32 v23, v13, v3
	s_wait_alu 0xfffe
	s_fmamk_f32 s0, s26, 0x4f800000, s0
	v_xor_b32_e32 v3, s52, v3
	s_wait_alu 0xfffe
	s_delay_alu instid0(SALU_CYCLE_1) | instskip(NEXT) | instid1(TRANS32_DEP_1)
	v_s_rcp_f32 s0, s0
	s_mul_f32 s0, s0, 0x5f7ffffc
	s_wait_alu 0xfffe
	s_delay_alu instid0(SALU_CYCLE_2) | instskip(SKIP_1) | instid1(SALU_CYCLE_2)
	s_mul_f32 s26, s0, 0x2f800000
	s_wait_alu 0xfffe
	s_trunc_f32 s26, s26
	s_wait_alu 0xfffe
	s_delay_alu instid0(SALU_CYCLE_2) | instskip(SKIP_2) | instid1(SALU_CYCLE_1)
	s_fmamk_f32 s0, s26, 0xcf800000, s0
	s_cvt_u32_f32 s57, s26
	s_wait_alu 0xfffe
	s_cvt_u32_f32 s56, s0
	s_wait_alu 0xfffe
	s_delay_alu instid0(SALU_CYCLE_2)
	s_mul_u64 s[60:61], s[58:59], s[56:57]
	s_wait_alu 0xfffe
	s_mul_hi_u32 s63, s56, s61
	s_mul_i32 s62, s56, s61
	s_mul_hi_u32 s26, s56, s60
	s_mul_i32 s49, s57, s60
	s_wait_alu 0xfffe
	s_add_nc_u64 s[62:63], s[26:27], s[62:63]
	s_mul_hi_u32 s0, s57, s60
	s_mul_hi_u32 s53, s57, s61
	s_wait_alu 0xfffe
	s_add_co_u32 s26, s62, s49
	s_add_co_ci_u32 s26, s63, s0
	s_mul_i32 s60, s57, s61
	s_add_co_ci_u32 s61, s53, 0
	s_wait_alu 0xfffe
	s_add_nc_u64 s[60:61], s[26:27], s[60:61]
	s_wait_alu 0xfffe
	s_add_co_u32 s56, s56, s60
	s_cselect_b32 s0, -1, 0
	s_wait_alu 0xfffe
	s_cmp_lg_u32 s0, 0
	s_add_co_ci_u32 s57, s57, s61
	s_wait_alu 0xfffe
	s_mul_u64 s[58:59], s[58:59], s[56:57]
	s_wait_alu 0xfffe
	s_mul_hi_u32 s61, s56, s59
	s_mul_i32 s60, s56, s59
	s_mul_hi_u32 s26, s56, s58
	s_mul_i32 s49, s57, s58
	s_wait_alu 0xfffe
	s_add_nc_u64 s[60:61], s[26:27], s[60:61]
	s_mul_hi_u32 s0, s57, s58
	s_mul_hi_u32 s53, s57, s59
	s_wait_alu 0xfffe
	s_add_co_u32 s26, s60, s49
	s_add_co_ci_u32 s26, s61, s0
	s_mul_i32 s58, s57, s59
	s_add_co_ci_u32 s59, s53, 0
	s_wait_alu 0xfffe
	s_add_nc_u64 s[58:59], s[26:27], s[58:59]
	s_wait_alu 0xfffe
	s_add_co_u32 s0, s56, s58
	s_cselect_b32 s26, -1, 0
	s_wait_alu 0xfffe
	v_mul_hi_u32 v24, v22, s0
	s_cmp_lg_u32 s26, 0
	v_mad_co_u64_u32 v[14:15], null, v23, s0, 0
	s_add_co_ci_u32 s26, s57, s59
	s_wait_alu 0xfffe
	v_mad_co_u64_u32 v[12:13], null, v22, s26, 0
	v_mad_co_u64_u32 v[20:21], null, v23, s26, 0
	s_delay_alu instid0(VALU_DEP_2) | instskip(SKIP_1) | instid1(VALU_DEP_3)
	v_add_co_u32 v12, vcc_lo, v24, v12
	s_wait_alu 0xfffd
	v_add_co_ci_u32_e64 v13, null, 0, v13, vcc_lo
	s_delay_alu instid0(VALU_DEP_2) | instskip(SKIP_1) | instid1(VALU_DEP_2)
	v_add_co_u32 v12, vcc_lo, v12, v14
	s_wait_alu 0xfffd
	v_add_co_ci_u32_e32 v12, vcc_lo, v13, v15, vcc_lo
	s_wait_alu 0xfffd
	v_add_co_ci_u32_e32 v13, vcc_lo, 0, v21, vcc_lo
	s_delay_alu instid0(VALU_DEP_2) | instskip(SKIP_1) | instid1(VALU_DEP_2)
	v_add_co_u32 v14, vcc_lo, v12, v20
	s_wait_alu 0xfffd
	v_add_co_ci_u32_e64 v15, null, 0, v13, vcc_lo
	s_delay_alu instid0(VALU_DEP_2) | instskip(SKIP_1) | instid1(VALU_DEP_3)
	v_mul_lo_u32 v20, s55, v14
	v_mad_co_u64_u32 v[12:13], null, s54, v14, 0
	v_mul_lo_u32 v21, s54, v15
	s_delay_alu instid0(VALU_DEP_2) | instskip(NEXT) | instid1(VALU_DEP_2)
	v_sub_co_u32 v12, vcc_lo, v22, v12
	v_add3_u32 v13, v13, v21, v20
	v_add_co_u32 v21, s0, v14, 2
	s_wait_alu 0xf1ff
	v_add_co_ci_u32_e64 v22, null, 0, v15, s0
	s_delay_alu instid0(VALU_DEP_3) | instskip(SKIP_3) | instid1(VALU_DEP_3)
	v_sub_nc_u32_e32 v20, v23, v13
	v_sub_co_u32 v24, s0, v12, s54
	s_wait_alu 0xfffd
	v_sub_co_ci_u32_e64 v13, null, v23, v13, vcc_lo
	v_subrev_co_ci_u32_e64 v20, null, s55, v20, vcc_lo
	s_delay_alu instid0(VALU_DEP_3) | instskip(SKIP_1) | instid1(VALU_DEP_2)
	v_cmp_le_u32_e32 vcc_lo, s54, v24
	s_wait_alu 0xf1ff
	v_subrev_co_ci_u32_e64 v20, null, 0, v20, s0
	s_wait_alu 0xfffd
	v_cndmask_b32_e64 v23, 0, -1, vcc_lo
	s_delay_alu instid0(VALU_DEP_2)
	v_cmp_le_u32_e32 vcc_lo, s55, v20
	s_wait_alu 0xfffd
	v_cndmask_b32_e64 v24, 0, -1, vcc_lo
	v_cmp_le_u32_e32 vcc_lo, s54, v12
	s_wait_alu 0xfffd
	v_cndmask_b32_e64 v12, 0, -1, vcc_lo
	;; [unrolled: 3-line block ×3, first 2 shown]
	v_cmp_eq_u32_e32 vcc_lo, s55, v20
	s_wait_alu 0xfffd
	v_cndmask_b32_e32 v20, v24, v23, vcc_lo
	v_add_co_u32 v23, vcc_lo, v14, 1
	s_wait_alu 0xfffd
	v_add_co_ci_u32_e64 v24, null, 0, v15, vcc_lo
	v_cmp_eq_u32_e32 vcc_lo, s55, v13
	s_wait_alu 0xfffd
	v_cndmask_b32_e32 v12, v25, v12, vcc_lo
	v_cmp_ne_u32_e32 vcc_lo, 0, v20
	s_wait_alu 0xfffd
	v_cndmask_b32_e32 v13, v24, v22, vcc_lo
	s_delay_alu instid0(VALU_DEP_3) | instskip(SKIP_2) | instid1(VALU_DEP_2)
	v_cmp_ne_u32_e64 s0, 0, v12
	v_cndmask_b32_e32 v12, v23, v21, vcc_lo
	s_wait_alu 0xf1ff
	v_cndmask_b32_e64 v13, v15, v13, s0
	s_delay_alu instid0(VALU_DEP_2) | instskip(NEXT) | instid1(VALU_DEP_2)
	v_cndmask_b32_e64 v12, v14, v12, s0
	v_xor_b32_e32 v13, v13, v3
	s_delay_alu instid0(VALU_DEP_2) | instskip(NEXT) | instid1(VALU_DEP_1)
	v_xor_b32_e32 v12, v12, v3
	v_sub_co_u32 v12, vcc_lo, v12, v3
	s_wait_alu 0xfffd
	s_delay_alu instid0(VALU_DEP_3)
	v_sub_co_ci_u32_e64 v13, null, v13, v3, vcc_lo
.LBB43_15:                              ;   in Loop: Header=BB43_3 Depth=1
	s_wait_alu 0xfffe
	s_and_not1_saveexec_b32 s0, s1
	s_cbranch_execz .LBB43_17
; %bb.16:                               ;   in Loop: Header=BB43_3 Depth=1
	v_cvt_f32_u32_e32 v3, s50
	s_sub_co_i32 s1, 0, s50
	s_delay_alu instid0(VALU_DEP_1) | instskip(NEXT) | instid1(TRANS32_DEP_1)
	v_rcp_iflag_f32_e32 v3, v3
	v_mul_f32_e32 v3, 0x4f7ffffe, v3
	s_delay_alu instid0(VALU_DEP_1) | instskip(SKIP_1) | instid1(VALU_DEP_1)
	v_cvt_u32_f32_e32 v3, v3
	s_wait_alu 0xfffe
	v_mul_lo_u32 v12, s1, v3
	s_delay_alu instid0(VALU_DEP_1) | instskip(NEXT) | instid1(VALU_DEP_1)
	v_mul_hi_u32 v12, v3, v12
	v_add_nc_u32_e32 v3, v3, v12
	s_delay_alu instid0(VALU_DEP_1) | instskip(NEXT) | instid1(VALU_DEP_1)
	v_mul_hi_u32 v3, v10, v3
	v_mul_lo_u32 v12, v3, s50
	v_add_nc_u32_e32 v13, 1, v3
	s_delay_alu instid0(VALU_DEP_2) | instskip(NEXT) | instid1(VALU_DEP_1)
	v_sub_nc_u32_e32 v12, v10, v12
	v_subrev_nc_u32_e32 v14, s50, v12
	v_cmp_le_u32_e32 vcc_lo, s50, v12
	s_wait_alu 0xfffd
	s_delay_alu instid0(VALU_DEP_2) | instskip(NEXT) | instid1(VALU_DEP_1)
	v_dual_cndmask_b32 v12, v12, v14 :: v_dual_cndmask_b32 v3, v3, v13
	v_cmp_le_u32_e32 vcc_lo, s50, v12
	s_delay_alu instid0(VALU_DEP_2) | instskip(SKIP_1) | instid1(VALU_DEP_1)
	v_add_nc_u32_e32 v13, 1, v3
	s_wait_alu 0xfffd
	v_dual_cndmask_b32 v12, v3, v13 :: v_dual_mov_b32 v13, v2
.LBB43_17:                              ;   in Loop: Header=BB43_3 Depth=1
	s_wait_alu 0xfffe
	s_or_b32 exec_lo, exec_lo, s0
	s_delay_alu instid0(VALU_DEP_1) | instskip(NEXT) | instid1(VALU_DEP_2)
	v_mul_lo_u32 v3, v13, s50
	v_mul_lo_u32 v20, v12, s51
	s_load_b64 s[0:1], s[42:43], 0xd0
	v_mad_co_u64_u32 v[14:15], null, v12, s50, 0
	s_load_b64 s[50:51], s[44:45], 0xd0
	v_add3_u32 v3, v15, v20, v3
	v_sub_co_u32 v10, vcc_lo, v10, v14
	s_wait_alu 0xfffd
	s_delay_alu instid0(VALU_DEP_2) | instskip(SKIP_1) | instid1(VALU_DEP_1)
	v_sub_co_ci_u32_e64 v3, null, v11, v3, vcc_lo
	s_wait_kmcnt 0x0
	v_mul_lo_u32 v11, s0, v3
	v_mul_lo_u32 v14, s1, v10
	v_mad_co_u64_u32 v[8:9], null, s0, v10, v[8:9]
	v_mul_lo_u32 v3, s50, v3
	v_mul_lo_u32 v15, s51, v10
	v_mad_co_u64_u32 v[6:7], null, s50, v10, v[6:7]
	s_mov_b64 s[0:1], s[30:31]
	v_add3_u32 v9, v14, v9, v11
	v_dual_mov_b32 v10, v12 :: v_dual_mov_b32 v11, v13
	v_add3_u32 v7, v15, v7, v3
	s_and_not1_b32 vcc_lo, exec_lo, s69
	s_wait_alu 0xfffe
	s_cbranch_vccz .LBB43_19
	s_branch .LBB43_29
.LBB43_18:                              ;   in Loop: Header=BB43_3 Depth=1
	s_mov_b64 s[0:1], s[28:29]
	s_and_not1_b32 vcc_lo, exec_lo, s69
	s_wait_alu 0xfffe
	s_cbranch_vccnz .LBB43_29
.LBB43_19:                              ;   in Loop: Header=BB43_3 Depth=1
	s_lshl_b64 s[52:53], s[0:1], 3
	s_add_nc_u64 s[54:55], s[0:1], 1
	s_wait_alu 0xfffe
	s_add_nc_u64 s[50:51], s[46:47], s[52:53]
	s_add_nc_u64 s[52:53], s[22:23], s[52:53]
	s_branch .LBB43_21
.LBB43_20:                              ;   in Loop: Header=BB43_21 Depth=2
	s_wait_alu 0xfffe
	s_or_b32 exec_lo, exec_lo, s0
	v_mul_lo_u32 v3, v13, s56
	v_mul_lo_u32 v24, v12, s57
	v_mad_co_u64_u32 v[20:21], null, v12, s56, 0
	s_load_b64 s[0:1], s[52:53], 0xc8
	s_load_b64 s[56:57], s[50:51], 0x0
	v_mul_lo_u32 v25, v15, s62
	v_mul_lo_u32 v26, v14, s63
	v_mad_co_u64_u32 v[22:23], null, v14, s62, 0
	v_add3_u32 v3, v21, v24, v3
	v_sub_co_u32 v10, vcc_lo, v10, v20
	s_add_nc_u64 s[54:55], s[54:55], -2
	s_add_nc_u64 s[50:51], s[50:51], -16
	s_wait_alu 0xfffd
	v_sub_co_ci_u32_e64 v3, null, v11, v3, vcc_lo
	v_mul_lo_u32 v11, s61, v10
	v_mad_co_u64_u32 v[8:9], null, s60, v10, v[8:9]
	s_delay_alu instid0(VALU_DEP_3)
	v_mul_lo_u32 v20, s60, v3
	v_mul_lo_u32 v21, s59, v10
	v_mad_co_u64_u32 v[6:7], null, s58, v10, v[6:7]
	v_mul_lo_u32 v3, s58, v3
	v_add3_u32 v10, v23, v26, v25
	s_wait_alu 0xfffe
	s_cmp_eq_u64 s[54:55], 0
	s_add_nc_u64 s[52:53], s[52:53], -16
	v_add3_u32 v9, v11, v9, v20
	v_sub_co_u32 v11, vcc_lo, v12, v22
	s_wait_alu 0xfffd
	v_sub_co_ci_u32_e64 v10, null, v13, v10, vcc_lo
	v_add3_u32 v7, v21, v7, v3
	s_wait_kmcnt 0x0
	v_mad_co_u64_u32 v[8:9], null, s0, v11, v[8:9]
	s_delay_alu instid0(VALU_DEP_3) | instskip(SKIP_4) | instid1(VALU_DEP_4)
	v_mul_lo_u32 v3, s0, v10
	v_mul_lo_u32 v12, s1, v11
	v_mul_lo_u32 v10, s56, v10
	v_mul_lo_u32 v13, s57, v11
	v_mad_co_u64_u32 v[6:7], null, s56, v11, v[6:7]
	v_add3_u32 v9, v12, v9, v3
	s_delay_alu instid0(VALU_DEP_2)
	v_add3_u32 v7, v13, v7, v10
	v_dual_mov_b32 v10, v14 :: v_dual_mov_b32 v11, v15
	s_cbranch_scc1 .LBB43_29
.LBB43_21:                              ;   Parent Loop BB43_3 Depth=1
                                        ; =>  This Inner Loop Header: Depth=2
	s_load_b64 s[56:57], s[52:53], 0x8
                                        ; implicit-def: $vgpr12_vgpr13
	s_mov_b32 s0, exec_lo
	s_wait_kmcnt 0x0
	v_or_b32_e32 v3, s57, v11
	s_delay_alu instid0(VALU_DEP_1)
	v_cmpx_ne_u64_e32 0, v[2:3]
	s_wait_alu 0xfffe
	s_xor_b32 s1, exec_lo, s0
	s_cbranch_execz .LBB43_23
; %bb.22:                               ;   in Loop: Header=BB43_21 Depth=2
	s_ashr_i32 s58, s57, 31
	v_ashrrev_i32_e32 v3, 31, v11
	s_wait_alu 0xfffe
	s_mov_b32 s59, s58
	s_wait_alu 0xfffe
	s_add_nc_u64 s[60:61], s[56:57], s[58:59]
	v_add_co_u32 v12, vcc_lo, v10, v3
	s_wait_alu 0xfffe
	s_xor_b64 s[60:61], s[60:61], s[58:59]
	s_wait_alu 0xfffd
	v_add_co_ci_u32_e64 v13, null, v11, v3, vcc_lo
	s_wait_alu 0xfffe
	s_cvt_f32_u32 s0, s60
	s_cvt_f32_u32 s26, s61
	s_sub_nc_u64 s[64:65], 0, s[60:61]
	v_xor_b32_e32 v22, v12, v3
	v_xor_b32_e32 v23, v13, v3
	s_wait_alu 0xfffe
	s_fmamk_f32 s0, s26, 0x4f800000, s0
	v_xor_b32_e32 v3, s58, v3
	s_wait_alu 0xfffe
	s_delay_alu instid0(SALU_CYCLE_1) | instskip(NEXT) | instid1(TRANS32_DEP_1)
	v_s_rcp_f32 s0, s0
	s_mul_f32 s0, s0, 0x5f7ffffc
	s_wait_alu 0xfffe
	s_delay_alu instid0(SALU_CYCLE_2) | instskip(SKIP_1) | instid1(SALU_CYCLE_2)
	s_mul_f32 s26, s0, 0x2f800000
	s_wait_alu 0xfffe
	s_trunc_f32 s26, s26
	s_wait_alu 0xfffe
	s_delay_alu instid0(SALU_CYCLE_2) | instskip(SKIP_2) | instid1(SALU_CYCLE_1)
	s_fmamk_f32 s0, s26, 0xcf800000, s0
	s_cvt_u32_f32 s63, s26
	s_wait_alu 0xfffe
	s_cvt_u32_f32 s62, s0
	s_wait_alu 0xfffe
	s_delay_alu instid0(SALU_CYCLE_2)
	s_mul_u64 s[66:67], s[64:65], s[62:63]
	s_wait_alu 0xfffe
	s_mul_hi_u32 s73, s62, s67
	s_mul_i32 s72, s62, s67
	s_mul_hi_u32 s26, s62, s66
	s_mul_i32 s49, s63, s66
	s_wait_alu 0xfffe
	s_add_nc_u64 s[72:73], s[26:27], s[72:73]
	s_mul_hi_u32 s0, s63, s66
	s_mul_hi_u32 s59, s63, s67
	s_add_co_u32 s26, s72, s49
	s_wait_alu 0xfffe
	s_add_co_ci_u32 s26, s73, s0
	s_mul_i32 s66, s63, s67
	s_add_co_ci_u32 s67, s59, 0
	s_wait_alu 0xfffe
	s_add_nc_u64 s[66:67], s[26:27], s[66:67]
	s_wait_alu 0xfffe
	s_add_co_u32 s62, s62, s66
	s_cselect_b32 s0, -1, 0
	s_wait_alu 0xfffe
	s_cmp_lg_u32 s0, 0
	s_add_co_ci_u32 s63, s63, s67
	s_wait_alu 0xfffe
	s_mul_u64 s[64:65], s[64:65], s[62:63]
	s_wait_alu 0xfffe
	s_mul_hi_u32 s67, s62, s65
	s_mul_i32 s66, s62, s65
	s_mul_hi_u32 s26, s62, s64
	s_mul_i32 s49, s63, s64
	s_wait_alu 0xfffe
	s_add_nc_u64 s[66:67], s[26:27], s[66:67]
	s_mul_hi_u32 s0, s63, s64
	s_mul_hi_u32 s59, s63, s65
	s_wait_alu 0xfffe
	s_add_co_u32 s26, s66, s49
	s_add_co_ci_u32 s26, s67, s0
	s_mul_i32 s64, s63, s65
	s_add_co_ci_u32 s65, s59, 0
	s_wait_alu 0xfffe
	s_add_nc_u64 s[64:65], s[26:27], s[64:65]
	s_wait_alu 0xfffe
	s_add_co_u32 s0, s62, s64
	s_cselect_b32 s26, -1, 0
	s_wait_alu 0xfffe
	v_mul_hi_u32 v24, v22, s0
	s_cmp_lg_u32 s26, 0
	v_mad_co_u64_u32 v[14:15], null, v23, s0, 0
	s_add_co_ci_u32 s26, s63, s65
	s_wait_alu 0xfffe
	v_mad_co_u64_u32 v[12:13], null, v22, s26, 0
	v_mad_co_u64_u32 v[20:21], null, v23, s26, 0
	s_delay_alu instid0(VALU_DEP_2) | instskip(SKIP_1) | instid1(VALU_DEP_3)
	v_add_co_u32 v12, vcc_lo, v24, v12
	s_wait_alu 0xfffd
	v_add_co_ci_u32_e64 v13, null, 0, v13, vcc_lo
	s_delay_alu instid0(VALU_DEP_2) | instskip(SKIP_1) | instid1(VALU_DEP_2)
	v_add_co_u32 v12, vcc_lo, v12, v14
	s_wait_alu 0xfffd
	v_add_co_ci_u32_e32 v12, vcc_lo, v13, v15, vcc_lo
	s_wait_alu 0xfffd
	v_add_co_ci_u32_e32 v13, vcc_lo, 0, v21, vcc_lo
	s_delay_alu instid0(VALU_DEP_2) | instskip(SKIP_1) | instid1(VALU_DEP_2)
	v_add_co_u32 v14, vcc_lo, v12, v20
	s_wait_alu 0xfffd
	v_add_co_ci_u32_e64 v15, null, 0, v13, vcc_lo
	s_delay_alu instid0(VALU_DEP_2) | instskip(SKIP_1) | instid1(VALU_DEP_3)
	v_mul_lo_u32 v20, s61, v14
	v_mad_co_u64_u32 v[12:13], null, s60, v14, 0
	v_mul_lo_u32 v21, s60, v15
	s_delay_alu instid0(VALU_DEP_2) | instskip(NEXT) | instid1(VALU_DEP_2)
	v_sub_co_u32 v12, vcc_lo, v22, v12
	v_add3_u32 v13, v13, v21, v20
	v_add_co_u32 v21, s0, v14, 2
	s_wait_alu 0xf1ff
	v_add_co_ci_u32_e64 v22, null, 0, v15, s0
	s_delay_alu instid0(VALU_DEP_3) | instskip(SKIP_3) | instid1(VALU_DEP_3)
	v_sub_nc_u32_e32 v20, v23, v13
	v_sub_co_u32 v24, s0, v12, s60
	s_wait_alu 0xfffd
	v_sub_co_ci_u32_e64 v13, null, v23, v13, vcc_lo
	v_subrev_co_ci_u32_e64 v20, null, s61, v20, vcc_lo
	s_delay_alu instid0(VALU_DEP_3) | instskip(SKIP_1) | instid1(VALU_DEP_2)
	v_cmp_le_u32_e32 vcc_lo, s60, v24
	s_wait_alu 0xf1ff
	v_subrev_co_ci_u32_e64 v20, null, 0, v20, s0
	s_wait_alu 0xfffd
	v_cndmask_b32_e64 v23, 0, -1, vcc_lo
	s_delay_alu instid0(VALU_DEP_2)
	v_cmp_le_u32_e32 vcc_lo, s61, v20
	s_wait_alu 0xfffd
	v_cndmask_b32_e64 v24, 0, -1, vcc_lo
	v_cmp_le_u32_e32 vcc_lo, s60, v12
	s_wait_alu 0xfffd
	v_cndmask_b32_e64 v12, 0, -1, vcc_lo
	;; [unrolled: 3-line block ×3, first 2 shown]
	v_cmp_eq_u32_e32 vcc_lo, s61, v20
	s_wait_alu 0xfffd
	v_cndmask_b32_e32 v20, v24, v23, vcc_lo
	v_add_co_u32 v23, vcc_lo, v14, 1
	s_wait_alu 0xfffd
	v_add_co_ci_u32_e64 v24, null, 0, v15, vcc_lo
	v_cmp_eq_u32_e32 vcc_lo, s61, v13
	s_wait_alu 0xfffd
	v_cndmask_b32_e32 v12, v25, v12, vcc_lo
	v_cmp_ne_u32_e32 vcc_lo, 0, v20
	s_wait_alu 0xfffd
	v_cndmask_b32_e32 v13, v24, v22, vcc_lo
	s_delay_alu instid0(VALU_DEP_3) | instskip(SKIP_2) | instid1(VALU_DEP_2)
	v_cmp_ne_u32_e64 s0, 0, v12
	v_cndmask_b32_e32 v12, v23, v21, vcc_lo
	s_wait_alu 0xf1ff
	v_cndmask_b32_e64 v13, v15, v13, s0
	s_delay_alu instid0(VALU_DEP_2) | instskip(NEXT) | instid1(VALU_DEP_2)
	v_cndmask_b32_e64 v12, v14, v12, s0
	v_xor_b32_e32 v13, v13, v3
	s_delay_alu instid0(VALU_DEP_2) | instskip(NEXT) | instid1(VALU_DEP_1)
	v_xor_b32_e32 v12, v12, v3
	v_sub_co_u32 v12, vcc_lo, v12, v3
	s_wait_alu 0xfffd
	s_delay_alu instid0(VALU_DEP_3)
	v_sub_co_ci_u32_e64 v13, null, v13, v3, vcc_lo
.LBB43_23:                              ;   in Loop: Header=BB43_21 Depth=2
	s_wait_alu 0xfffe
	s_and_not1_saveexec_b32 s0, s1
	s_cbranch_execz .LBB43_25
; %bb.24:                               ;   in Loop: Header=BB43_21 Depth=2
	v_cvt_f32_u32_e32 v3, s56
	s_sub_co_i32 s1, 0, s56
	s_delay_alu instid0(VALU_DEP_1) | instskip(NEXT) | instid1(TRANS32_DEP_1)
	v_rcp_iflag_f32_e32 v3, v3
	v_mul_f32_e32 v3, 0x4f7ffffe, v3
	s_delay_alu instid0(VALU_DEP_1) | instskip(SKIP_1) | instid1(VALU_DEP_1)
	v_cvt_u32_f32_e32 v3, v3
	s_wait_alu 0xfffe
	v_mul_lo_u32 v12, s1, v3
	s_delay_alu instid0(VALU_DEP_1) | instskip(NEXT) | instid1(VALU_DEP_1)
	v_mul_hi_u32 v12, v3, v12
	v_add_nc_u32_e32 v3, v3, v12
	s_delay_alu instid0(VALU_DEP_1) | instskip(NEXT) | instid1(VALU_DEP_1)
	v_mul_hi_u32 v3, v10, v3
	v_mul_lo_u32 v12, v3, s56
	v_add_nc_u32_e32 v13, 1, v3
	s_delay_alu instid0(VALU_DEP_2) | instskip(NEXT) | instid1(VALU_DEP_1)
	v_sub_nc_u32_e32 v12, v10, v12
	v_subrev_nc_u32_e32 v14, s56, v12
	v_cmp_le_u32_e32 vcc_lo, s56, v12
	s_wait_alu 0xfffd
	s_delay_alu instid0(VALU_DEP_2) | instskip(NEXT) | instid1(VALU_DEP_1)
	v_dual_cndmask_b32 v12, v12, v14 :: v_dual_cndmask_b32 v3, v3, v13
	v_cmp_le_u32_e32 vcc_lo, s56, v12
	s_delay_alu instid0(VALU_DEP_2) | instskip(SKIP_1) | instid1(VALU_DEP_1)
	v_add_nc_u32_e32 v13, 1, v3
	s_wait_alu 0xfffd
	v_dual_cndmask_b32 v12, v3, v13 :: v_dual_mov_b32 v13, v2
.LBB43_25:                              ;   in Loop: Header=BB43_21 Depth=2
	s_wait_alu 0xfffe
	s_or_b32 exec_lo, exec_lo, s0
	s_clause 0x1
	s_load_b64 s[62:63], s[52:53], 0x0
	s_load_b64 s[60:61], s[52:53], 0xd0
	;; [unrolled: 1-line block ×3, first 2 shown]
                                        ; implicit-def: $vgpr14_vgpr15
	s_mov_b32 s0, exec_lo
	s_wait_kmcnt 0x0
	v_or_b32_e32 v3, s63, v13
	s_delay_alu instid0(VALU_DEP_1)
	v_cmpx_ne_u64_e32 0, v[2:3]
	s_wait_alu 0xfffe
	s_xor_b32 s1, exec_lo, s0
	s_cbranch_execz .LBB43_27
; %bb.26:                               ;   in Loop: Header=BB43_21 Depth=2
	s_ashr_i32 s64, s63, 31
	v_ashrrev_i32_e32 v3, 31, v13
	s_wait_alu 0xfffe
	s_mov_b32 s65, s64
	s_wait_alu 0xfffe
	s_add_nc_u64 s[66:67], s[62:63], s[64:65]
	v_add_co_u32 v14, vcc_lo, v12, v3
	s_wait_alu 0xfffe
	s_xor_b64 s[66:67], s[66:67], s[64:65]
	s_wait_alu 0xfffd
	v_add_co_ci_u32_e64 v15, null, v13, v3, vcc_lo
	s_wait_alu 0xfffe
	s_cvt_f32_u32 s0, s66
	s_cvt_f32_u32 s26, s67
	s_sub_nc_u64 s[74:75], 0, s[66:67]
	v_xor_b32_e32 v24, v14, v3
	v_xor_b32_e32 v25, v15, v3
	s_wait_alu 0xfffe
	s_fmamk_f32 s0, s26, 0x4f800000, s0
	v_xor_b32_e32 v3, s64, v3
	s_wait_alu 0xfffe
	s_delay_alu instid0(SALU_CYCLE_1) | instskip(NEXT) | instid1(TRANS32_DEP_1)
	v_s_rcp_f32 s0, s0
	s_mul_f32 s0, s0, 0x5f7ffffc
	s_wait_alu 0xfffe
	s_delay_alu instid0(SALU_CYCLE_2) | instskip(SKIP_1) | instid1(SALU_CYCLE_2)
	s_mul_f32 s26, s0, 0x2f800000
	s_wait_alu 0xfffe
	s_trunc_f32 s26, s26
	s_wait_alu 0xfffe
	s_delay_alu instid0(SALU_CYCLE_2) | instskip(SKIP_2) | instid1(SALU_CYCLE_1)
	s_fmamk_f32 s0, s26, 0xcf800000, s0
	s_cvt_u32_f32 s73, s26
	s_wait_alu 0xfffe
	s_cvt_u32_f32 s72, s0
	s_delay_alu instid0(SALU_CYCLE_3) | instskip(NEXT) | instid1(SALU_CYCLE_1)
	s_mul_u64 s[76:77], s[74:75], s[72:73]
	s_mul_hi_u32 s79, s72, s77
	s_mul_i32 s78, s72, s77
	s_mul_hi_u32 s26, s72, s76
	s_mul_i32 s49, s73, s76
	s_wait_alu 0xfffe
	s_add_nc_u64 s[78:79], s[26:27], s[78:79]
	s_mul_hi_u32 s0, s73, s76
	s_mul_hi_u32 s65, s73, s77
	s_add_co_u32 s26, s78, s49
	s_wait_alu 0xfffe
	s_add_co_ci_u32 s26, s79, s0
	s_mul_i32 s76, s73, s77
	s_add_co_ci_u32 s77, s65, 0
	s_wait_alu 0xfffe
	s_add_nc_u64 s[76:77], s[26:27], s[76:77]
	s_delay_alu instid0(SALU_CYCLE_1) | instskip(SKIP_4) | instid1(SALU_CYCLE_1)
	s_add_co_u32 s72, s72, s76
	s_cselect_b32 s0, -1, 0
	s_wait_alu 0xfffe
	s_cmp_lg_u32 s0, 0
	s_add_co_ci_u32 s73, s73, s77
	s_mul_u64 s[74:75], s[74:75], s[72:73]
	s_delay_alu instid0(SALU_CYCLE_1)
	s_mul_hi_u32 s77, s72, s75
	s_mul_i32 s76, s72, s75
	s_mul_hi_u32 s26, s72, s74
	s_mul_i32 s49, s73, s74
	s_wait_alu 0xfffe
	s_add_nc_u64 s[76:77], s[26:27], s[76:77]
	s_mul_hi_u32 s0, s73, s74
	s_mul_hi_u32 s65, s73, s75
	s_add_co_u32 s26, s76, s49
	s_wait_alu 0xfffe
	s_add_co_ci_u32 s26, s77, s0
	s_mul_i32 s74, s73, s75
	s_add_co_ci_u32 s75, s65, 0
	s_wait_alu 0xfffe
	s_add_nc_u64 s[74:75], s[26:27], s[74:75]
	s_delay_alu instid0(SALU_CYCLE_1)
	s_add_co_u32 s0, s72, s74
	s_cselect_b32 s26, -1, 0
	s_wait_alu 0xfffe
	v_mul_hi_u32 v26, v24, s0
	s_cmp_lg_u32 s26, 0
	v_mad_co_u64_u32 v[20:21], null, v25, s0, 0
	s_add_co_ci_u32 s26, s73, s75
	s_wait_alu 0xfffe
	v_mad_co_u64_u32 v[14:15], null, v24, s26, 0
	v_mad_co_u64_u32 v[22:23], null, v25, s26, 0
	s_delay_alu instid0(VALU_DEP_2) | instskip(SKIP_1) | instid1(VALU_DEP_3)
	v_add_co_u32 v14, vcc_lo, v26, v14
	s_wait_alu 0xfffd
	v_add_co_ci_u32_e64 v15, null, 0, v15, vcc_lo
	s_delay_alu instid0(VALU_DEP_2) | instskip(SKIP_1) | instid1(VALU_DEP_2)
	v_add_co_u32 v14, vcc_lo, v14, v20
	s_wait_alu 0xfffd
	v_add_co_ci_u32_e32 v14, vcc_lo, v15, v21, vcc_lo
	s_wait_alu 0xfffd
	v_add_co_ci_u32_e32 v15, vcc_lo, 0, v23, vcc_lo
	s_delay_alu instid0(VALU_DEP_2) | instskip(SKIP_1) | instid1(VALU_DEP_2)
	v_add_co_u32 v20, vcc_lo, v14, v22
	s_wait_alu 0xfffd
	v_add_co_ci_u32_e64 v21, null, 0, v15, vcc_lo
	s_delay_alu instid0(VALU_DEP_2) | instskip(SKIP_1) | instid1(VALU_DEP_3)
	v_mul_lo_u32 v22, s67, v20
	v_mad_co_u64_u32 v[14:15], null, s66, v20, 0
	v_mul_lo_u32 v23, s66, v21
	s_delay_alu instid0(VALU_DEP_2) | instskip(NEXT) | instid1(VALU_DEP_2)
	v_sub_co_u32 v14, vcc_lo, v24, v14
	v_add3_u32 v15, v15, v23, v22
	v_add_co_u32 v23, s0, v20, 2
	s_wait_alu 0xf1ff
	v_add_co_ci_u32_e64 v24, null, 0, v21, s0
	s_delay_alu instid0(VALU_DEP_3) | instskip(SKIP_3) | instid1(VALU_DEP_3)
	v_sub_nc_u32_e32 v22, v25, v15
	v_sub_co_u32 v26, s0, v14, s66
	s_wait_alu 0xfffd
	v_sub_co_ci_u32_e64 v15, null, v25, v15, vcc_lo
	v_subrev_co_ci_u32_e64 v22, null, s67, v22, vcc_lo
	s_delay_alu instid0(VALU_DEP_3) | instskip(SKIP_1) | instid1(VALU_DEP_2)
	v_cmp_le_u32_e32 vcc_lo, s66, v26
	s_wait_alu 0xf1ff
	v_subrev_co_ci_u32_e64 v22, null, 0, v22, s0
	s_wait_alu 0xfffd
	v_cndmask_b32_e64 v25, 0, -1, vcc_lo
	s_delay_alu instid0(VALU_DEP_2)
	v_cmp_le_u32_e32 vcc_lo, s67, v22
	s_wait_alu 0xfffd
	v_cndmask_b32_e64 v26, 0, -1, vcc_lo
	v_cmp_le_u32_e32 vcc_lo, s66, v14
	s_wait_alu 0xfffd
	v_cndmask_b32_e64 v14, 0, -1, vcc_lo
	;; [unrolled: 3-line block ×3, first 2 shown]
	v_cmp_eq_u32_e32 vcc_lo, s67, v22
	s_wait_alu 0xfffd
	v_cndmask_b32_e32 v22, v26, v25, vcc_lo
	v_add_co_u32 v25, vcc_lo, v20, 1
	s_wait_alu 0xfffd
	v_add_co_ci_u32_e64 v26, null, 0, v21, vcc_lo
	v_cmp_eq_u32_e32 vcc_lo, s67, v15
	s_wait_alu 0xfffd
	v_cndmask_b32_e32 v14, v27, v14, vcc_lo
	v_cmp_ne_u32_e32 vcc_lo, 0, v22
	s_wait_alu 0xfffd
	v_cndmask_b32_e32 v15, v26, v24, vcc_lo
	s_delay_alu instid0(VALU_DEP_3) | instskip(SKIP_2) | instid1(VALU_DEP_2)
	v_cmp_ne_u32_e64 s0, 0, v14
	v_cndmask_b32_e32 v14, v25, v23, vcc_lo
	s_wait_alu 0xf1ff
	v_cndmask_b32_e64 v15, v21, v15, s0
	s_delay_alu instid0(VALU_DEP_2) | instskip(NEXT) | instid1(VALU_DEP_2)
	v_cndmask_b32_e64 v14, v20, v14, s0
	v_xor_b32_e32 v15, v15, v3
	s_delay_alu instid0(VALU_DEP_2) | instskip(NEXT) | instid1(VALU_DEP_1)
	v_xor_b32_e32 v14, v14, v3
	v_sub_co_u32 v14, vcc_lo, v14, v3
	s_wait_alu 0xfffd
	s_delay_alu instid0(VALU_DEP_3)
	v_sub_co_ci_u32_e64 v15, null, v15, v3, vcc_lo
.LBB43_27:                              ;   in Loop: Header=BB43_21 Depth=2
	s_wait_alu 0xfffe
	s_and_not1_saveexec_b32 s0, s1
	s_cbranch_execz .LBB43_20
; %bb.28:                               ;   in Loop: Header=BB43_21 Depth=2
	v_cvt_f32_u32_e32 v3, s62
	s_sub_co_i32 s1, 0, s62
	s_delay_alu instid0(VALU_DEP_1) | instskip(NEXT) | instid1(TRANS32_DEP_1)
	v_rcp_iflag_f32_e32 v3, v3
	v_mul_f32_e32 v3, 0x4f7ffffe, v3
	s_delay_alu instid0(VALU_DEP_1) | instskip(SKIP_1) | instid1(VALU_DEP_1)
	v_cvt_u32_f32_e32 v3, v3
	s_wait_alu 0xfffe
	v_mul_lo_u32 v14, s1, v3
	s_delay_alu instid0(VALU_DEP_1) | instskip(NEXT) | instid1(VALU_DEP_1)
	v_mul_hi_u32 v14, v3, v14
	v_add_nc_u32_e32 v3, v3, v14
	s_delay_alu instid0(VALU_DEP_1) | instskip(NEXT) | instid1(VALU_DEP_1)
	v_mul_hi_u32 v3, v12, v3
	v_mul_lo_u32 v14, v3, s62
	v_add_nc_u32_e32 v15, 1, v3
	s_delay_alu instid0(VALU_DEP_2) | instskip(NEXT) | instid1(VALU_DEP_1)
	v_sub_nc_u32_e32 v14, v12, v14
	v_subrev_nc_u32_e32 v20, s62, v14
	v_cmp_le_u32_e32 vcc_lo, s62, v14
	s_wait_alu 0xfffd
	s_delay_alu instid0(VALU_DEP_2) | instskip(NEXT) | instid1(VALU_DEP_1)
	v_dual_cndmask_b32 v14, v14, v20 :: v_dual_cndmask_b32 v3, v3, v15
	v_cmp_le_u32_e32 vcc_lo, s62, v14
	s_delay_alu instid0(VALU_DEP_2) | instskip(SKIP_1) | instid1(VALU_DEP_1)
	v_add_nc_u32_e32 v15, 1, v3
	s_wait_alu 0xfffd
	v_dual_cndmask_b32 v14, v3, v15 :: v_dual_mov_b32 v15, v2
	s_branch .LBB43_20
.LBB43_29:                              ;   in Loop: Header=BB43_3 Depth=1
	v_sub_co_u32 v10, vcc_lo, v4, v18
	s_wait_alu 0xfffd
	v_sub_co_ci_u32_e64 v11, null, v5, v19, vcc_lo
	v_dual_mov_b32 v3, 0 :: v_dual_mov_b32 v12, 0
	v_mov_b32_e32 v15, 0
	v_mov_b32_e32 v13, 0
	s_mov_b32 s0, exec_lo
	v_cmpx_ge_i64_e64 s[4:5], v[10:11]
	s_cbranch_execz .LBB43_39
; %bb.30:                               ;   in Loop: Header=BB43_3 Depth=1
	v_dual_mov_b32 v14, 0 :: v_dual_mov_b32 v13, 0
	v_dual_mov_b32 v12, 0 :: v_dual_mov_b32 v3, 0
	s_mov_b32 s1, exec_lo
	v_cmpx_gt_i64_e64 s[10:11], v[4:5]
	s_cbranch_execz .LBB43_38
; %bb.31:                               ;   in Loop: Header=BB43_3 Depth=1
	v_lshlrev_b64_e32 v[8:9], 1, v[8:9]
	v_mov_b32_e32 v14, 0
	s_delay_alu instid0(VALU_DEP_2) | instskip(SKIP_1) | instid1(VALU_DEP_3)
	v_add_co_u32 v8, vcc_lo, s20, v8
	s_wait_alu 0xfffd
	v_add_co_ci_u32_e64 v9, null, s21, v9, vcc_lo
	v_add_co_u32 v12, vcc_lo, v4, 1
	s_wait_alu 0xfffd
	v_add_co_ci_u32_e64 v13, null, 0, v5, vcc_lo
	global_load_u16 v3, v[8:9], off
	v_cmp_gt_i64_e32 vcc_lo, s[10:11], v[12:13]
	v_dual_mov_b32 v12, 0 :: v_dual_mov_b32 v13, 0
	s_and_saveexec_b32 s26, vcc_lo
	s_cbranch_execz .LBB43_37
; %bb.32:                               ;   in Loop: Header=BB43_3 Depth=1
	s_lshl_b64 s[50:51], s[18:19], 1
	s_wait_alu 0xfffe
	v_add_co_u32 v12, vcc_lo, v8, s50
	s_wait_alu 0xfffd
	v_add_co_ci_u32_e64 v13, null, s51, v9, vcc_lo
	global_load_u16 v12, v[12:13], off
	v_add_co_u32 v13, vcc_lo, v4, 2
	s_wait_alu 0xfffd
	v_add_co_ci_u32_e64 v14, null, 0, v5, vcc_lo
	s_delay_alu instid0(VALU_DEP_1)
	v_cmp_gt_i64_e32 vcc_lo, s[10:11], v[13:14]
	v_dual_mov_b32 v13, 0 :: v_dual_mov_b32 v14, 0
	s_and_saveexec_b32 s49, vcc_lo
	s_cbranch_execz .LBB43_36
; %bb.33:                               ;   in Loop: Header=BB43_3 Depth=1
	v_add_co_u32 v13, vcc_lo, v8, s38
	s_wait_alu 0xfffd
	v_add_co_ci_u32_e64 v14, null, s39, v9, vcc_lo
	global_load_u16 v13, v[13:14], off
	v_add_co_u32 v14, vcc_lo, v4, 3
	s_wait_alu 0xfffd
	v_add_co_ci_u32_e64 v15, null, 0, v5, vcc_lo
	s_delay_alu instid0(VALU_DEP_1)
	v_cmp_gt_i64_e32 vcc_lo, s[10:11], v[14:15]
	v_mov_b32_e32 v14, 0
	s_and_saveexec_b32 s50, vcc_lo
	s_cbranch_execz .LBB43_35
; %bb.34:                               ;   in Loop: Header=BB43_3 Depth=1
	v_add_co_u32 v8, vcc_lo, v8, s40
	s_wait_alu 0xfffd
	v_add_co_ci_u32_e64 v9, null, s41, v9, vcc_lo
	global_load_u16 v14, v[8:9], off
.LBB43_35:                              ;   in Loop: Header=BB43_3 Depth=1
	s_wait_alu 0xfffe
	s_or_b32 exec_lo, exec_lo, s50
.LBB43_36:                              ;   in Loop: Header=BB43_3 Depth=1
	s_wait_alu 0xfffe
	s_or_b32 exec_lo, exec_lo, s49
.LBB43_37:                              ;   in Loop: Header=BB43_3 Depth=1
	s_wait_alu 0xfffe
	s_or_b32 exec_lo, exec_lo, s26
.LBB43_38:                              ;   in Loop: Header=BB43_3 Depth=1
	s_wait_alu 0xfffe
	s_or_b32 exec_lo, exec_lo, s1
	v_add_co_u32 v8, vcc_lo, v10, 1
	s_wait_alu 0xfffd
	v_add_co_ci_u32_e64 v9, null, 0, v11, vcc_lo
	v_add_co_u32 v18, vcc_lo, v10, 2
	s_wait_alu 0xfffd
	v_add_co_ci_u32_e64 v19, null, 0, v11, vcc_lo
	;; [unrolled: 3-line block ×3, first 2 shown]
	v_cmp_ge_i64_e32 vcc_lo, s[4:5], v[8:9]
	s_wait_loadcnt 0x0
	s_wait_alu 0xfffd
	v_cndmask_b32_e32 v15, 0, v12, vcc_lo
	v_cmp_ge_i64_e32 vcc_lo, s[4:5], v[18:19]
	s_wait_alu 0xfffd
	v_cndmask_b32_e32 v13, 0, v13, vcc_lo
	v_cmp_ge_i64_e32 vcc_lo, s[4:5], v[10:11]
	s_wait_alu 0xfffd
	v_cndmask_b32_e32 v12, 0, v14, vcc_lo
.LBB43_39:                              ;   in Loop: Header=BB43_3 Depth=1
	s_wait_alu 0xfffe
	s_or_b32 exec_lo, exec_lo, s0
	s_delay_alu instid0(SALU_CYCLE_1)
	s_mov_b32 s0, exec_lo
	v_cmpx_gt_i64_e64 s[10:11], v[4:5]
	s_cbranch_execz .LBB43_2
; %bb.40:                               ;   in Loop: Header=BB43_3 Depth=1
	v_lshlrev_b64_e32 v[6:7], 1, v[6:7]
	v_add_co_u32 v8, vcc_lo, v4, 1
	s_wait_alu 0xfffd
	v_add_co_ci_u32_e64 v9, null, 0, v5, vcc_lo
	s_mov_b32 s1, exec_lo
	v_add_co_u32 v6, vcc_lo, s24, v6
	s_wait_alu 0xfffd
	v_add_co_ci_u32_e64 v7, null, s25, v7, vcc_lo
	global_store_b16 v[6:7], v3, off
	v_cmpx_gt_i64_e64 s[10:11], v[8:9]
	s_wait_alu 0xfffe
	s_xor_b32 s1, exec_lo, s1
	s_cbranch_execz .LBB43_2
; %bb.41:                               ;   in Loop: Header=BB43_3 Depth=1
	s_lshl_b64 s[50:51], s[14:15], 1
	v_add_co_u32 v8, vcc_lo, v4, 2
	s_wait_alu 0xfffd
	v_add_co_ci_u32_e64 v9, null, 0, v5, vcc_lo
	s_wait_alu 0xfffe
	v_add_co_u32 v10, vcc_lo, v6, s50
	s_wait_alu 0xfffd
	v_add_co_ci_u32_e64 v11, null, s51, v7, vcc_lo
	s_mov_b32 s1, exec_lo
	global_store_b16 v[10:11], v15, off
	v_cmpx_gt_i64_e64 s[10:11], v[8:9]
	s_wait_alu 0xfffe
	s_xor_b32 s1, exec_lo, s1
	s_cbranch_execz .LBB43_2
; %bb.42:                               ;   in Loop: Header=BB43_3 Depth=1
	v_add_co_u32 v3, vcc_lo, v4, 3
	s_wait_alu 0xfffd
	v_add_co_ci_u32_e64 v4, null, 0, v5, vcc_lo
	v_add_co_u32 v8, vcc_lo, v6, s34
	s_wait_alu 0xfffd
	v_add_co_ci_u32_e64 v9, null, s35, v7, vcc_lo
	s_mov_b32 s1, exec_lo
	global_store_b16 v[8:9], v13, off
	v_cmpx_gt_i64_e64 s[10:11], v[3:4]
	s_wait_alu 0xfffe
	s_xor_b32 s1, exec_lo, s1
	s_cbranch_execz .LBB43_2
; %bb.43:                               ;   in Loop: Header=BB43_3 Depth=1
	v_add_co_u32 v3, vcc_lo, v6, s36
	s_wait_alu 0xfffd
	v_add_co_ci_u32_e64 v4, null, s37, v7, vcc_lo
	global_store_b16 v[3:4], v12, off
	s_branch .LBB43_2
.LBB43_44:
	s_endpgm
	.section	.rodata,"a",@progbits
	.p2align	6, 0x0
	.amdhsa_kernel _ZN2at6native16triu_tril_kernelIN3c104HalfElLb0ELi4ELb0EEEvNS_4cuda6detail10TensorInfoIT_T0_EENS6_IKS7_S8_EEllS8_
		.amdhsa_group_segment_fixed_size 0
		.amdhsa_private_segment_fixed_size 0
		.amdhsa_kernarg_size 1112
		.amdhsa_user_sgpr_count 2
		.amdhsa_user_sgpr_dispatch_ptr 0
		.amdhsa_user_sgpr_queue_ptr 0
		.amdhsa_user_sgpr_kernarg_segment_ptr 1
		.amdhsa_user_sgpr_dispatch_id 0
		.amdhsa_user_sgpr_private_segment_size 0
		.amdhsa_wavefront_size32 1
		.amdhsa_uses_dynamic_stack 0
		.amdhsa_enable_private_segment 0
		.amdhsa_system_sgpr_workgroup_id_x 1
		.amdhsa_system_sgpr_workgroup_id_y 0
		.amdhsa_system_sgpr_workgroup_id_z 0
		.amdhsa_system_sgpr_workgroup_info 0
		.amdhsa_system_vgpr_workitem_id 0
		.amdhsa_next_free_vgpr 28
		.amdhsa_next_free_sgpr 80
		.amdhsa_reserve_vcc 1
		.amdhsa_float_round_mode_32 0
		.amdhsa_float_round_mode_16_64 0
		.amdhsa_float_denorm_mode_32 3
		.amdhsa_float_denorm_mode_16_64 3
		.amdhsa_fp16_overflow 0
		.amdhsa_workgroup_processor_mode 1
		.amdhsa_memory_ordered 1
		.amdhsa_forward_progress 1
		.amdhsa_inst_pref_size 54
		.amdhsa_round_robin_scheduling 0
		.amdhsa_exception_fp_ieee_invalid_op 0
		.amdhsa_exception_fp_denorm_src 0
		.amdhsa_exception_fp_ieee_div_zero 0
		.amdhsa_exception_fp_ieee_overflow 0
		.amdhsa_exception_fp_ieee_underflow 0
		.amdhsa_exception_fp_ieee_inexact 0
		.amdhsa_exception_int_div_zero 0
	.end_amdhsa_kernel
	.section	.text._ZN2at6native16triu_tril_kernelIN3c104HalfElLb0ELi4ELb0EEEvNS_4cuda6detail10TensorInfoIT_T0_EENS6_IKS7_S8_EEllS8_,"axG",@progbits,_ZN2at6native16triu_tril_kernelIN3c104HalfElLb0ELi4ELb0EEEvNS_4cuda6detail10TensorInfoIT_T0_EENS6_IKS7_S8_EEllS8_,comdat
.Lfunc_end43:
	.size	_ZN2at6native16triu_tril_kernelIN3c104HalfElLb0ELi4ELb0EEEvNS_4cuda6detail10TensorInfoIT_T0_EENS6_IKS7_S8_EEllS8_, .Lfunc_end43-_ZN2at6native16triu_tril_kernelIN3c104HalfElLb0ELi4ELb0EEEvNS_4cuda6detail10TensorInfoIT_T0_EENS6_IKS7_S8_EEllS8_
                                        ; -- End function
	.set _ZN2at6native16triu_tril_kernelIN3c104HalfElLb0ELi4ELb0EEEvNS_4cuda6detail10TensorInfoIT_T0_EENS6_IKS7_S8_EEllS8_.num_vgpr, 28
	.set _ZN2at6native16triu_tril_kernelIN3c104HalfElLb0ELi4ELb0EEEvNS_4cuda6detail10TensorInfoIT_T0_EENS6_IKS7_S8_EEllS8_.num_agpr, 0
	.set _ZN2at6native16triu_tril_kernelIN3c104HalfElLb0ELi4ELb0EEEvNS_4cuda6detail10TensorInfoIT_T0_EENS6_IKS7_S8_EEllS8_.numbered_sgpr, 80
	.set _ZN2at6native16triu_tril_kernelIN3c104HalfElLb0ELi4ELb0EEEvNS_4cuda6detail10TensorInfoIT_T0_EENS6_IKS7_S8_EEllS8_.num_named_barrier, 0
	.set _ZN2at6native16triu_tril_kernelIN3c104HalfElLb0ELi4ELb0EEEvNS_4cuda6detail10TensorInfoIT_T0_EENS6_IKS7_S8_EEllS8_.private_seg_size, 0
	.set _ZN2at6native16triu_tril_kernelIN3c104HalfElLb0ELi4ELb0EEEvNS_4cuda6detail10TensorInfoIT_T0_EENS6_IKS7_S8_EEllS8_.uses_vcc, 1
	.set _ZN2at6native16triu_tril_kernelIN3c104HalfElLb0ELi4ELb0EEEvNS_4cuda6detail10TensorInfoIT_T0_EENS6_IKS7_S8_EEllS8_.uses_flat_scratch, 0
	.set _ZN2at6native16triu_tril_kernelIN3c104HalfElLb0ELi4ELb0EEEvNS_4cuda6detail10TensorInfoIT_T0_EENS6_IKS7_S8_EEllS8_.has_dyn_sized_stack, 0
	.set _ZN2at6native16triu_tril_kernelIN3c104HalfElLb0ELi4ELb0EEEvNS_4cuda6detail10TensorInfoIT_T0_EENS6_IKS7_S8_EEllS8_.has_recursion, 0
	.set _ZN2at6native16triu_tril_kernelIN3c104HalfElLb0ELi4ELb0EEEvNS_4cuda6detail10TensorInfoIT_T0_EENS6_IKS7_S8_EEllS8_.has_indirect_call, 0
	.section	.AMDGPU.csdata,"",@progbits
; Kernel info:
; codeLenInByte = 6872
; TotalNumSgprs: 82
; NumVgprs: 28
; ScratchSize: 0
; MemoryBound: 0
; FloatMode: 240
; IeeeMode: 1
; LDSByteSize: 0 bytes/workgroup (compile time only)
; SGPRBlocks: 0
; VGPRBlocks: 3
; NumSGPRsForWavesPerEU: 82
; NumVGPRsForWavesPerEU: 28
; Occupancy: 16
; WaveLimiterHint : 0
; COMPUTE_PGM_RSRC2:SCRATCH_EN: 0
; COMPUTE_PGM_RSRC2:USER_SGPR: 2
; COMPUTE_PGM_RSRC2:TRAP_HANDLER: 0
; COMPUTE_PGM_RSRC2:TGID_X_EN: 1
; COMPUTE_PGM_RSRC2:TGID_Y_EN: 0
; COMPUTE_PGM_RSRC2:TGID_Z_EN: 0
; COMPUTE_PGM_RSRC2:TIDIG_COMP_CNT: 0
	.section	.text._ZN2at6native16triu_tril_kernelIN3c108BFloat16EiLb0ELi4ELb1EEEvNS_4cuda6detail10TensorInfoIT_T0_EENS6_IKS7_S8_EEllS8_,"axG",@progbits,_ZN2at6native16triu_tril_kernelIN3c108BFloat16EiLb0ELi4ELb1EEEvNS_4cuda6detail10TensorInfoIT_T0_EENS6_IKS7_S8_EEllS8_,comdat
	.protected	_ZN2at6native16triu_tril_kernelIN3c108BFloat16EiLb0ELi4ELb1EEEvNS_4cuda6detail10TensorInfoIT_T0_EENS6_IKS7_S8_EEllS8_ ; -- Begin function _ZN2at6native16triu_tril_kernelIN3c108BFloat16EiLb0ELi4ELb1EEEvNS_4cuda6detail10TensorInfoIT_T0_EENS6_IKS7_S8_EEllS8_
	.globl	_ZN2at6native16triu_tril_kernelIN3c108BFloat16EiLb0ELi4ELb1EEEvNS_4cuda6detail10TensorInfoIT_T0_EENS6_IKS7_S8_EEllS8_
	.p2align	8
	.type	_ZN2at6native16triu_tril_kernelIN3c108BFloat16EiLb0ELi4ELb1EEEvNS_4cuda6detail10TensorInfoIT_T0_EENS6_IKS7_S8_EEllS8_,@function
_ZN2at6native16triu_tril_kernelIN3c108BFloat16EiLb0ELi4ELb1EEEvNS_4cuda6detail10TensorInfoIT_T0_EENS6_IKS7_S8_EEllS8_: ; @_ZN2at6native16triu_tril_kernelIN3c108BFloat16EiLb0ELi4ELb1EEEvNS_4cuda6detail10TensorInfoIT_T0_EENS6_IKS7_S8_EEllS8_
; %bb.0:
	s_clause 0x1
	s_load_b32 s2, s[0:1], 0x1d4
	s_load_b128 s[4:7], s[0:1], 0x1b0
	v_mov_b32_e32 v2, 0
	s_mov_b32 s3, exec_lo
	s_delay_alu instid0(VALU_DEP_1)
	v_mov_b32_e32 v1, v2
	s_wait_kmcnt 0x0
	s_and_b32 s2, s2, 0xffff
	s_delay_alu instid0(VALU_DEP_1) | instid1(SALU_CYCLE_1)
	v_mad_co_u64_u32 v[0:1], null, s2, ttmp9, v[0:1]
	s_delay_alu instid0(VALU_DEP_1) | instskip(NEXT) | instid1(VALU_DEP_1)
	v_lshlrev_b64_e32 v[0:1], 2, v[0:1]
	v_cmpx_gt_i64_e64 s[6:7], v[0:1]
	s_cbranch_execz .LBB44_68
; %bb.1:
	s_clause 0x1
	s_load_b32 s20, s[0:1], 0x1a8
	s_load_b32 s8, s[0:1], 0x1c0
	s_add_nc_u64 s[12:13], s[0:1], 0x1c8
	s_add_nc_u64 s[10:11], s[0:1], 0xd8
	s_load_b32 s3, s[12:13], 0x0
	s_mov_b32 s19, 0
	s_mov_b32 s57, 0
	s_wait_kmcnt 0x0
	s_ashr_i32 s21, s20, 31
	v_cvt_f32_u32_e32 v3, s8
	s_lshl_b64 s[22:23], s[20:21], 2
	s_add_co_i32 s9, s20, 6
	s_add_nc_u64 s[12:13], s[10:11], s[22:23]
	s_mul_i32 s3, s3, s2
	s_clause 0x1
	s_load_b32 s14, s[12:13], 0x0
	s_load_b64 s[16:17], s[0:1], 0x0
	v_rcp_iflag_f32_e32 v3, v3
	s_and_b32 s18, s20, 7
	s_add_co_i32 s33, s20, -3
	s_and_b32 s52, s9, 7
	s_lshl_b32 s53, s3, 2
	s_ashr_i32 s9, s8, 31
	v_cmp_gt_i64_e64 s56, s[20:21], 2
	s_add_nc_u64 s[20:21], s[0:1], s[22:23]
	s_wait_kmcnt 0x0
	v_cvt_f32_u32_e32 v4, s14
	s_ashr_i32 s15, s14, 31
	s_cmp_lg_u32 s18, 2
	s_cselect_b32 s54, -1, 0
	s_delay_alu instid0(VALU_DEP_1)
	v_rcp_iflag_f32_e32 v4, v4
	v_mul_f32_e32 v3, 0x4f7ffffe, v3
	s_cmp_gt_u32 s33, 6
	s_cselect_b32 s55, -1, 0
	s_sub_co_i32 s2, 0, s8
	s_wait_alu 0xfffe
	s_ashr_i32 s22, s9, 31
	s_ashr_i32 s24, s15, 31
	s_delay_alu instid0(TRANS32_DEP_1) | instskip(SKIP_1) | instid1(VALU_DEP_2)
	v_mul_f32_e32 v4, 0x4f7ffffe, v4
	v_cvt_u32_f32_e32 v3, v3
	v_cvt_u32_f32_e32 v25, v4
	s_delay_alu instid0(VALU_DEP_2) | instskip(NEXT) | instid1(VALU_DEP_1)
	v_mul_lo_u32 v5, s2, v3
	v_mul_hi_u32 v5, v3, v5
	s_delay_alu instid0(VALU_DEP_1)
	v_add_nc_u32_e32 v26, v3, v5
	s_branch .LBB44_3
.LBB44_2:                               ;   in Loop: Header=BB44_3 Depth=1
	s_wait_alu 0xfffe
	s_or_b32 exec_lo, exec_lo, s23
	v_add_co_u32 v0, vcc_lo, v0, s53
	s_wait_alu 0xfffd
	v_add_co_ci_u32_e64 v1, null, 0, v1, vcc_lo
	s_delay_alu instid0(VALU_DEP_1) | instskip(SKIP_1) | instid1(SALU_CYCLE_1)
	v_cmp_le_i64_e32 vcc_lo, s[6:7], v[0:1]
	s_or_b32 s57, vcc_lo, s57
	s_and_not1_b32 exec_lo, exec_lo, s57
	s_cbranch_execz .LBB44_68
.LBB44_3:                               ; =>This Loop Header: Depth=1
                                        ;     Child Loop BB44_16 Depth 2
                                        ;     Child Loop BB44_22 Depth 2
	v_or_b32_e32 v3, s9, v1
                                        ; implicit-def: $vgpr4_vgpr5
	s_mov_b32 s2, exec_lo
	s_delay_alu instid0(VALU_DEP_1)
	v_cmpx_ne_u64_e32 0, v[2:3]
	s_wait_alu 0xfffe
	s_xor_b32 s3, exec_lo, s2
	s_cbranch_execz .LBB44_5
; %bb.4:                                ;   in Loop: Header=BB44_3 Depth=1
	s_mov_b32 s23, s22
	v_ashrrev_i32_e32 v9, 31, v1
	s_wait_alu 0xfffe
	s_add_nc_u64 s[26:27], s[8:9], s[22:23]
	s_wait_alu 0xfffe
	s_xor_b64 s[26:27], s[26:27], s[22:23]
	v_add_co_u32 v3, vcc_lo, v0, v9
	s_wait_alu 0xfffe
	s_cvt_f32_u32 s2, s26
	s_cvt_f32_u32 s18, s27
	s_sub_nc_u64 s[30:31], 0, s[26:27]
	s_wait_alu 0xfffd
	v_add_co_ci_u32_e64 v4, null, v1, v9, vcc_lo
	s_wait_alu 0xfffe
	s_fmamk_f32 s2, s18, 0x4f800000, s2
	v_xor_b32_e32 v10, v3, v9
	s_delay_alu instid0(VALU_DEP_2) | instskip(SKIP_2) | instid1(TRANS32_DEP_1)
	v_xor_b32_e32 v11, v4, v9
	s_wait_alu 0xfffe
	v_s_rcp_f32 s2, s2
	s_mul_f32 s2, s2, 0x5f7ffffc
	s_wait_alu 0xfffe
	s_delay_alu instid0(SALU_CYCLE_2) | instskip(SKIP_1) | instid1(SALU_CYCLE_2)
	s_mul_f32 s18, s2, 0x2f800000
	s_wait_alu 0xfffe
	s_trunc_f32 s18, s18
	s_wait_alu 0xfffe
	s_delay_alu instid0(SALU_CYCLE_2) | instskip(SKIP_2) | instid1(SALU_CYCLE_1)
	s_fmamk_f32 s2, s18, 0xcf800000, s2
	s_cvt_u32_f32 s29, s18
	s_wait_alu 0xfffe
	s_cvt_u32_f32 s28, s2
	s_wait_alu 0xfffe
	s_delay_alu instid0(SALU_CYCLE_2)
	s_mul_u64 s[34:35], s[30:31], s[28:29]
	s_wait_alu 0xfffe
	s_mul_hi_u32 s37, s28, s35
	s_mul_i32 s36, s28, s35
	s_mul_hi_u32 s18, s28, s34
	s_mul_i32 s23, s29, s34
	s_wait_alu 0xfffe
	s_add_nc_u64 s[36:37], s[18:19], s[36:37]
	s_mul_hi_u32 s2, s29, s34
	s_mul_hi_u32 s25, s29, s35
	s_wait_alu 0xfffe
	s_add_co_u32 s18, s36, s23
	s_add_co_ci_u32 s18, s37, s2
	s_mul_i32 s34, s29, s35
	s_add_co_ci_u32 s35, s25, 0
	s_wait_alu 0xfffe
	s_add_nc_u64 s[34:35], s[18:19], s[34:35]
	s_wait_alu 0xfffe
	s_add_co_u32 s28, s28, s34
	s_cselect_b32 s2, -1, 0
	s_wait_alu 0xfffe
	s_cmp_lg_u32 s2, 0
	s_add_co_ci_u32 s29, s29, s35
	s_wait_alu 0xfffe
	s_mul_u64 s[30:31], s[30:31], s[28:29]
	s_wait_alu 0xfffe
	s_mul_hi_u32 s35, s28, s31
	s_mul_i32 s34, s28, s31
	s_mul_hi_u32 s18, s28, s30
	s_mul_i32 s23, s29, s30
	s_wait_alu 0xfffe
	s_add_nc_u64 s[34:35], s[18:19], s[34:35]
	s_mul_hi_u32 s2, s29, s30
	s_mul_hi_u32 s25, s29, s31
	s_wait_alu 0xfffe
	s_add_co_u32 s18, s34, s23
	s_add_co_ci_u32 s18, s35, s2
	s_mul_i32 s30, s29, s31
	s_add_co_ci_u32 s31, s25, 0
	s_wait_alu 0xfffe
	s_add_nc_u64 s[30:31], s[18:19], s[30:31]
	s_wait_alu 0xfffe
	s_add_co_u32 s2, s28, s30
	s_cselect_b32 s18, -1, 0
	s_wait_alu 0xfffe
	v_mul_hi_u32 v12, v10, s2
	s_cmp_lg_u32 s18, 0
	v_mad_co_u64_u32 v[5:6], null, v11, s2, 0
	s_add_co_ci_u32 s18, s29, s31
	s_wait_alu 0xfffe
	v_mad_co_u64_u32 v[3:4], null, v10, s18, 0
	v_mad_co_u64_u32 v[7:8], null, v11, s18, 0
	s_delay_alu instid0(VALU_DEP_2) | instskip(SKIP_1) | instid1(VALU_DEP_3)
	v_add_co_u32 v3, vcc_lo, v12, v3
	s_wait_alu 0xfffd
	v_add_co_ci_u32_e64 v4, null, 0, v4, vcc_lo
	s_delay_alu instid0(VALU_DEP_2) | instskip(SKIP_1) | instid1(VALU_DEP_2)
	v_add_co_u32 v3, vcc_lo, v3, v5
	s_wait_alu 0xfffd
	v_add_co_ci_u32_e32 v3, vcc_lo, v4, v6, vcc_lo
	s_wait_alu 0xfffd
	v_add_co_ci_u32_e32 v4, vcc_lo, 0, v8, vcc_lo
	s_delay_alu instid0(VALU_DEP_2) | instskip(SKIP_1) | instid1(VALU_DEP_2)
	v_add_co_u32 v5, vcc_lo, v3, v7
	s_wait_alu 0xfffd
	v_add_co_ci_u32_e64 v6, null, 0, v4, vcc_lo
	s_delay_alu instid0(VALU_DEP_2) | instskip(SKIP_1) | instid1(VALU_DEP_3)
	v_mul_lo_u32 v7, s27, v5
	v_mad_co_u64_u32 v[3:4], null, s26, v5, 0
	v_mul_lo_u32 v8, s26, v6
	s_delay_alu instid0(VALU_DEP_2) | instskip(NEXT) | instid1(VALU_DEP_2)
	v_sub_co_u32 v3, vcc_lo, v10, v3
	v_add3_u32 v4, v4, v8, v7
	v_add_co_u32 v8, s2, v5, 2
	s_wait_alu 0xf1ff
	v_add_co_ci_u32_e64 v10, null, 0, v6, s2
	s_delay_alu instid0(VALU_DEP_3) | instskip(SKIP_3) | instid1(VALU_DEP_3)
	v_sub_nc_u32_e32 v7, v11, v4
	v_sub_co_u32 v12, s2, v3, s26
	s_wait_alu 0xfffd
	v_sub_co_ci_u32_e64 v4, null, v11, v4, vcc_lo
	v_subrev_co_ci_u32_e64 v7, null, s27, v7, vcc_lo
	s_delay_alu instid0(VALU_DEP_3) | instskip(SKIP_1) | instid1(VALU_DEP_2)
	v_cmp_le_u32_e32 vcc_lo, s26, v12
	s_wait_alu 0xf1ff
	v_subrev_co_ci_u32_e64 v7, null, 0, v7, s2
	s_wait_alu 0xfffd
	v_cndmask_b32_e64 v11, 0, -1, vcc_lo
	s_delay_alu instid0(VALU_DEP_2)
	v_cmp_le_u32_e32 vcc_lo, s27, v7
	s_wait_alu 0xfffd
	v_cndmask_b32_e64 v12, 0, -1, vcc_lo
	v_cmp_le_u32_e32 vcc_lo, s26, v3
	s_wait_alu 0xfffd
	v_cndmask_b32_e64 v3, 0, -1, vcc_lo
	;; [unrolled: 3-line block ×3, first 2 shown]
	v_cmp_eq_u32_e32 vcc_lo, s27, v7
	s_wait_alu 0xfffd
	v_cndmask_b32_e32 v7, v12, v11, vcc_lo
	v_add_co_u32 v11, vcc_lo, v5, 1
	s_wait_alu 0xfffd
	v_add_co_ci_u32_e64 v12, null, 0, v6, vcc_lo
	v_cmp_eq_u32_e32 vcc_lo, s27, v4
	s_wait_alu 0xfffd
	v_cndmask_b32_e32 v3, v13, v3, vcc_lo
	v_cmp_ne_u32_e32 vcc_lo, 0, v7
	v_xor_b32_e32 v7, s22, v9
	s_wait_alu 0xfffd
	v_cndmask_b32_e32 v4, v12, v10, vcc_lo
	v_cmp_ne_u32_e64 s2, 0, v3
	v_cndmask_b32_e32 v3, v11, v8, vcc_lo
	s_wait_alu 0xf1ff
	s_delay_alu instid0(VALU_DEP_2) | instskip(NEXT) | instid1(VALU_DEP_2)
	v_cndmask_b32_e64 v4, v6, v4, s2
	v_cndmask_b32_e64 v3, v5, v3, s2
	s_delay_alu instid0(VALU_DEP_2) | instskip(NEXT) | instid1(VALU_DEP_2)
	v_xor_b32_e32 v5, v4, v7
	v_xor_b32_e32 v3, v3, v7
	s_delay_alu instid0(VALU_DEP_1) | instskip(SKIP_1) | instid1(VALU_DEP_3)
	v_sub_co_u32 v4, vcc_lo, v3, v7
	s_wait_alu 0xfffd
	v_sub_co_ci_u32_e64 v5, null, v5, v7, vcc_lo
.LBB44_5:                               ;   in Loop: Header=BB44_3 Depth=1
	s_wait_alu 0xfffe
	s_and_not1_saveexec_b32 s2, s3
	s_cbranch_execz .LBB44_7
; %bb.6:                                ;   in Loop: Header=BB44_3 Depth=1
	v_mul_hi_u32 v3, v0, v26
	s_delay_alu instid0(VALU_DEP_1) | instskip(NEXT) | instid1(VALU_DEP_1)
	v_mul_lo_u32 v4, v3, s8
	v_sub_nc_u32_e32 v4, v0, v4
	s_delay_alu instid0(VALU_DEP_1) | instskip(SKIP_2) | instid1(VALU_DEP_2)
	v_subrev_nc_u32_e32 v6, s8, v4
	v_cmp_le_u32_e32 vcc_lo, s8, v4
	s_wait_alu 0xfffd
	v_dual_cndmask_b32 v4, v4, v6 :: v_dual_add_nc_u32 v5, 1, v3
	s_delay_alu instid0(VALU_DEP_1) | instskip(NEXT) | instid1(VALU_DEP_2)
	v_cndmask_b32_e32 v3, v3, v5, vcc_lo
	v_cmp_le_u32_e32 vcc_lo, s8, v4
	s_delay_alu instid0(VALU_DEP_2) | instskip(SKIP_1) | instid1(VALU_DEP_1)
	v_add_nc_u32_e32 v5, 1, v3
	s_wait_alu 0xfffd
	v_dual_cndmask_b32 v4, v3, v5 :: v_dual_mov_b32 v5, v2
.LBB44_7:                               ;   in Loop: Header=BB44_3 Depth=1
	s_wait_alu 0xfffe
	s_or_b32 exec_lo, exec_lo, s2
	s_delay_alu instid0(VALU_DEP_1) | instskip(SKIP_1) | instid1(VALU_DEP_1)
	v_or_b32_e32 v3, s15, v5
                                        ; implicit-def: $vgpr7_vgpr8
	s_mov_b32 s2, exec_lo
	v_cmpx_ne_u64_e32 0, v[2:3]
	s_wait_alu 0xfffe
	s_xor_b32 s3, exec_lo, s2
	s_cbranch_execz .LBB44_9
; %bb.8:                                ;   in Loop: Header=BB44_3 Depth=1
	s_mov_b32 s25, s24
	v_ashrrev_i32_e32 v3, 31, v5
	s_wait_alu 0xfffe
	s_add_nc_u64 s[26:27], s[14:15], s[24:25]
	s_wait_alu 0xfffe
	s_xor_b64 s[26:27], s[26:27], s[24:25]
	v_add_co_u32 v6, vcc_lo, v4, v3
	s_wait_alu 0xfffe
	s_cvt_f32_u32 s2, s26
	s_cvt_f32_u32 s18, s27
	s_sub_nc_u64 s[30:31], 0, s[26:27]
	s_wait_alu 0xfffd
	v_add_co_ci_u32_e64 v5, null, v5, v3, vcc_lo
	s_wait_alu 0xfffe
	s_fmamk_f32 s2, s18, 0x4f800000, s2
	v_xor_b32_e32 v11, v6, v3
	s_delay_alu instid0(VALU_DEP_2) | instskip(SKIP_3) | instid1(TRANS32_DEP_1)
	v_xor_b32_e32 v12, v5, v3
	s_wait_alu 0xfffe
	v_s_rcp_f32 s2, s2
	v_xor_b32_e32 v3, s24, v3
	s_mul_f32 s2, s2, 0x5f7ffffc
	s_wait_alu 0xfffe
	s_delay_alu instid0(SALU_CYCLE_2) | instskip(SKIP_1) | instid1(SALU_CYCLE_2)
	s_mul_f32 s18, s2, 0x2f800000
	s_wait_alu 0xfffe
	s_trunc_f32 s18, s18
	s_wait_alu 0xfffe
	s_delay_alu instid0(SALU_CYCLE_2) | instskip(SKIP_2) | instid1(SALU_CYCLE_1)
	s_fmamk_f32 s2, s18, 0xcf800000, s2
	s_cvt_u32_f32 s29, s18
	s_wait_alu 0xfffe
	s_cvt_u32_f32 s28, s2
	s_wait_alu 0xfffe
	s_delay_alu instid0(SALU_CYCLE_2)
	s_mul_u64 s[34:35], s[30:31], s[28:29]
	s_wait_alu 0xfffe
	s_mul_hi_u32 s37, s28, s35
	s_mul_i32 s36, s28, s35
	s_mul_hi_u32 s18, s28, s34
	s_mul_i32 s23, s29, s34
	s_wait_alu 0xfffe
	s_add_nc_u64 s[36:37], s[18:19], s[36:37]
	s_mul_hi_u32 s2, s29, s34
	s_mul_hi_u32 s25, s29, s35
	s_wait_alu 0xfffe
	s_add_co_u32 s18, s36, s23
	s_add_co_ci_u32 s18, s37, s2
	s_mul_i32 s34, s29, s35
	s_add_co_ci_u32 s35, s25, 0
	s_wait_alu 0xfffe
	s_add_nc_u64 s[34:35], s[18:19], s[34:35]
	s_wait_alu 0xfffe
	s_add_co_u32 s28, s28, s34
	s_cselect_b32 s2, -1, 0
	s_wait_alu 0xfffe
	s_cmp_lg_u32 s2, 0
	s_add_co_ci_u32 s29, s29, s35
	s_wait_alu 0xfffe
	s_mul_u64 s[30:31], s[30:31], s[28:29]
	s_wait_alu 0xfffe
	s_mul_hi_u32 s35, s28, s31
	s_mul_i32 s34, s28, s31
	s_mul_hi_u32 s18, s28, s30
	s_mul_i32 s23, s29, s30
	s_wait_alu 0xfffe
	s_add_nc_u64 s[34:35], s[18:19], s[34:35]
	s_mul_hi_u32 s2, s29, s30
	s_mul_hi_u32 s25, s29, s31
	s_wait_alu 0xfffe
	s_add_co_u32 s18, s34, s23
	s_add_co_ci_u32 s18, s35, s2
	s_mul_i32 s30, s29, s31
	s_add_co_ci_u32 s31, s25, 0
	s_wait_alu 0xfffe
	s_add_nc_u64 s[30:31], s[18:19], s[30:31]
	s_wait_alu 0xfffe
	s_add_co_u32 s2, s28, s30
	s_cselect_b32 s18, -1, 0
	s_wait_alu 0xfffe
	v_mul_hi_u32 v13, v11, s2
	s_cmp_lg_u32 s18, 0
	v_mad_co_u64_u32 v[7:8], null, v12, s2, 0
	s_add_co_ci_u32 s18, s29, s31
	s_wait_alu 0xfffe
	v_mad_co_u64_u32 v[5:6], null, v11, s18, 0
	v_mad_co_u64_u32 v[9:10], null, v12, s18, 0
	s_delay_alu instid0(VALU_DEP_2) | instskip(SKIP_1) | instid1(VALU_DEP_3)
	v_add_co_u32 v5, vcc_lo, v13, v5
	s_wait_alu 0xfffd
	v_add_co_ci_u32_e64 v6, null, 0, v6, vcc_lo
	s_delay_alu instid0(VALU_DEP_2) | instskip(SKIP_1) | instid1(VALU_DEP_2)
	v_add_co_u32 v5, vcc_lo, v5, v7
	s_wait_alu 0xfffd
	v_add_co_ci_u32_e32 v5, vcc_lo, v6, v8, vcc_lo
	s_wait_alu 0xfffd
	v_add_co_ci_u32_e32 v6, vcc_lo, 0, v10, vcc_lo
	s_delay_alu instid0(VALU_DEP_2) | instskip(SKIP_1) | instid1(VALU_DEP_2)
	v_add_co_u32 v7, vcc_lo, v5, v9
	s_wait_alu 0xfffd
	v_add_co_ci_u32_e64 v8, null, 0, v6, vcc_lo
	s_delay_alu instid0(VALU_DEP_2) | instskip(SKIP_1) | instid1(VALU_DEP_3)
	v_mul_lo_u32 v9, s27, v7
	v_mad_co_u64_u32 v[5:6], null, s26, v7, 0
	v_mul_lo_u32 v10, s26, v8
	s_delay_alu instid0(VALU_DEP_2) | instskip(NEXT) | instid1(VALU_DEP_2)
	v_sub_co_u32 v5, vcc_lo, v11, v5
	v_add3_u32 v6, v6, v10, v9
	v_add_co_u32 v10, s2, v7, 2
	s_wait_alu 0xf1ff
	v_add_co_ci_u32_e64 v11, null, 0, v8, s2
	s_delay_alu instid0(VALU_DEP_3) | instskip(SKIP_3) | instid1(VALU_DEP_3)
	v_sub_nc_u32_e32 v9, v12, v6
	v_sub_co_u32 v13, s2, v5, s26
	s_wait_alu 0xfffd
	v_sub_co_ci_u32_e64 v6, null, v12, v6, vcc_lo
	v_subrev_co_ci_u32_e64 v9, null, s27, v9, vcc_lo
	s_delay_alu instid0(VALU_DEP_3) | instskip(SKIP_1) | instid1(VALU_DEP_2)
	v_cmp_le_u32_e32 vcc_lo, s26, v13
	s_wait_alu 0xf1ff
	v_subrev_co_ci_u32_e64 v9, null, 0, v9, s2
	s_wait_alu 0xfffd
	v_cndmask_b32_e64 v12, 0, -1, vcc_lo
	s_delay_alu instid0(VALU_DEP_2)
	v_cmp_le_u32_e32 vcc_lo, s27, v9
	s_wait_alu 0xfffd
	v_cndmask_b32_e64 v13, 0, -1, vcc_lo
	v_cmp_le_u32_e32 vcc_lo, s26, v5
	s_wait_alu 0xfffd
	v_cndmask_b32_e64 v5, 0, -1, vcc_lo
	;; [unrolled: 3-line block ×3, first 2 shown]
	v_cmp_eq_u32_e32 vcc_lo, s27, v9
	s_wait_alu 0xfffd
	v_cndmask_b32_e32 v9, v13, v12, vcc_lo
	v_add_co_u32 v12, vcc_lo, v7, 1
	s_wait_alu 0xfffd
	v_add_co_ci_u32_e64 v13, null, 0, v8, vcc_lo
	v_cmp_eq_u32_e32 vcc_lo, s27, v6
	s_wait_alu 0xfffd
	v_cndmask_b32_e32 v5, v14, v5, vcc_lo
	v_cmp_ne_u32_e32 vcc_lo, 0, v9
	s_wait_alu 0xfffd
	v_cndmask_b32_e32 v6, v13, v11, vcc_lo
	s_delay_alu instid0(VALU_DEP_3) | instskip(SKIP_2) | instid1(VALU_DEP_2)
	v_cmp_ne_u32_e64 s2, 0, v5
	v_cndmask_b32_e32 v5, v12, v10, vcc_lo
	s_wait_alu 0xf1ff
	v_cndmask_b32_e64 v6, v8, v6, s2
	s_delay_alu instid0(VALU_DEP_2) | instskip(NEXT) | instid1(VALU_DEP_2)
	v_cndmask_b32_e64 v5, v7, v5, s2
	v_xor_b32_e32 v6, v6, v3
	s_delay_alu instid0(VALU_DEP_2) | instskip(NEXT) | instid1(VALU_DEP_1)
	v_xor_b32_e32 v5, v5, v3
	v_sub_co_u32 v7, vcc_lo, v5, v3
	s_wait_alu 0xfffd
	s_delay_alu instid0(VALU_DEP_3)
	v_sub_co_ci_u32_e64 v8, null, v6, v3, vcc_lo
.LBB44_9:                               ;   in Loop: Header=BB44_3 Depth=1
	s_wait_alu 0xfffe
	s_and_not1_saveexec_b32 s2, s3
	s_cbranch_execz .LBB44_11
; %bb.10:                               ;   in Loop: Header=BB44_3 Depth=1
	s_sub_co_i32 s3, 0, s14
	v_mov_b32_e32 v8, v2
	s_wait_alu 0xfffe
	v_mul_lo_u32 v3, s3, v25
	s_delay_alu instid0(VALU_DEP_1) | instskip(NEXT) | instid1(VALU_DEP_1)
	v_mul_hi_u32 v3, v25, v3
	v_add_nc_u32_e32 v3, v25, v3
	s_delay_alu instid0(VALU_DEP_1) | instskip(NEXT) | instid1(VALU_DEP_1)
	v_mul_hi_u32 v3, v4, v3
	v_mul_lo_u32 v5, v3, s14
	v_add_nc_u32_e32 v6, 1, v3
	s_delay_alu instid0(VALU_DEP_2) | instskip(NEXT) | instid1(VALU_DEP_1)
	v_sub_nc_u32_e32 v5, v4, v5
	v_subrev_nc_u32_e32 v7, s14, v5
	v_cmp_le_u32_e32 vcc_lo, s14, v5
	s_wait_alu 0xfffd
	s_delay_alu instid0(VALU_DEP_2) | instskip(SKIP_1) | instid1(VALU_DEP_2)
	v_cndmask_b32_e32 v5, v5, v7, vcc_lo
	v_cndmask_b32_e32 v3, v3, v6, vcc_lo
	v_cmp_le_u32_e32 vcc_lo, s14, v5
	s_delay_alu instid0(VALU_DEP_2) | instskip(SKIP_1) | instid1(VALU_DEP_1)
	v_add_nc_u32_e32 v6, 1, v3
	s_wait_alu 0xfffd
	v_cndmask_b32_e32 v7, v3, v6, vcc_lo
.LBB44_11:                              ;   in Loop: Header=BB44_3 Depth=1
	s_wait_alu 0xfffe
	s_or_b32 exec_lo, exec_lo, s2
	v_mad_co_u64_u32 v[5:6], null, v4, s8, 0
	s_delay_alu instid0(VALU_DEP_2) | instskip(SKIP_3) | instid1(VALU_DEP_1)
	v_mad_co_u64_u32 v[9:10], null, v7, s14, 0
	s_mov_b32 s23, exec_lo
	v_sub_co_u32 v28, null, v0, v5
	v_sub_co_u32 v27, null, v4, v9
	v_sub_nc_u32_e32 v6, v28, v27
	s_delay_alu instid0(VALU_DEP_1) | instskip(NEXT) | instid1(VALU_DEP_1)
	v_add_nc_u32_e32 v3, 4, v6
	v_ashrrev_i32_e32 v4, 31, v3
	s_delay_alu instid0(VALU_DEP_1)
	v_cmpx_lt_i64_e64 s[4:5], v[3:4]
	s_cbranch_execz .LBB44_2
; %bb.12:                               ;   in Loop: Header=BB44_3 Depth=1
	s_load_b64 s[2:3], s[20:21], 0x64
	s_and_not1_b32 vcc_lo, exec_lo, s56
	s_wait_kmcnt 0x0
	v_mul_lo_u32 v3, s3, v28
	s_delay_alu instid0(VALU_DEP_1)
	v_mad_co_u64_u32 v[4:5], null, s2, v27, v[3:4]
	s_wait_alu 0xfffe
	s_cbranch_vccnz .LBB44_56
; %bb.13:                               ;   in Loop: Header=BB44_3 Depth=1
	s_mov_b32 s25, s52
	s_and_not1_b32 vcc_lo, exec_lo, s54
	s_mov_b32 s18, s33
	s_mov_b32 s2, s33
	s_wait_alu 0xfffe
	s_cbranch_vccz .LBB44_16
; %bb.14:                               ;   in Loop: Header=BB44_3 Depth=1
	s_and_not1_b32 vcc_lo, exec_lo, s55
	s_wait_alu 0xfffe
	s_cbranch_vccz .LBB44_21
	s_branch .LBB44_56
.LBB44_15:                              ;   in Loop: Header=BB44_16 Depth=2
	s_wait_alu 0xfffe
	s_or_b32 exec_lo, exec_lo, s2
	s_add_nc_u64 s[26:27], s[0:1], s[26:27]
	v_mul_lo_u32 v3, v9, s28
	s_load_b32 s2, s[26:27], 0x6c
	s_add_co_i32 s25, s25, -1
	s_add_co_i32 s18, s18, -1
	s_wait_alu 0xfffe
	s_cmp_lg_u32 s25, 0
	s_delay_alu instid0(VALU_DEP_1) | instskip(SKIP_2) | instid1(VALU_DEP_2)
	v_sub_nc_u32_e32 v3, v7, v3
	v_dual_mov_b32 v7, v9 :: v_dual_mov_b32 v8, v10
	s_wait_kmcnt 0x0
	v_mad_co_u64_u32 v[4:5], null, s2, v3, v[4:5]
	s_cbranch_scc0 .LBB44_20
.LBB44_16:                              ;   Parent Loop BB44_3 Depth=1
                                        ; =>  This Inner Loop Header: Depth=2
	s_lshl_b64 s[26:27], s[18:19], 2
                                        ; implicit-def: $vgpr9_vgpr10
	s_mov_b32 s2, exec_lo
	s_wait_alu 0xfffe
	s_add_nc_u64 s[28:29], s[10:11], s[26:27]
	s_load_b32 s28, s[28:29], 0x8
	s_wait_kmcnt 0x0
	s_ashr_i32 s29, s28, 31
	s_wait_alu 0xfffe
	v_or_b32_e32 v3, s29, v8
	s_delay_alu instid0(VALU_DEP_1)
	v_cmpx_ne_u64_e32 0, v[2:3]
	s_xor_b32 s36, exec_lo, s2
	s_cbranch_execz .LBB44_18
; %bb.17:                               ;   in Loop: Header=BB44_16 Depth=2
	s_ashr_i32 s30, s29, 31
	s_mov_b32 s43, s19
	s_wait_alu 0xfffe
	s_mov_b32 s31, s30
	s_mov_b32 s47, s19
	s_wait_alu 0xfffe
	s_add_nc_u64 s[34:35], s[28:29], s[30:31]
	v_ashrrev_i32_e32 v3, 31, v8
	s_wait_alu 0xfffe
	s_xor_b64 s[34:35], s[34:35], s[30:31]
	s_wait_alu 0xfffe
	s_cvt_f32_u32 s2, s34
	s_cvt_f32_u32 s29, s35
	s_sub_nc_u64 s[40:41], 0, s[34:35]
	v_add_co_u32 v5, vcc_lo, v7, v3
	s_wait_alu 0xfffe
	s_fmamk_f32 s2, s29, 0x4f800000, s2
	s_wait_alu 0xfffd
	v_add_co_ci_u32_e64 v8, null, v8, v3, vcc_lo
	v_xor_b32_e32 v5, v5, v3
	s_wait_alu 0xfffe
	v_s_rcp_f32 s2, s2
	s_delay_alu instid0(VALU_DEP_2) | instskip(SKIP_1) | instid1(TRANS32_DEP_1)
	v_xor_b32_e32 v14, v8, v3
	v_xor_b32_e32 v3, s30, v3
	s_mul_f32 s2, s2, 0x5f7ffffc
	s_wait_alu 0xfffe
	s_delay_alu instid0(SALU_CYCLE_2) | instskip(SKIP_1) | instid1(SALU_CYCLE_2)
	s_mul_f32 s29, s2, 0x2f800000
	s_wait_alu 0xfffe
	s_trunc_f32 s29, s29
	s_wait_alu 0xfffe
	s_delay_alu instid0(SALU_CYCLE_2) | instskip(SKIP_2) | instid1(SALU_CYCLE_1)
	s_fmamk_f32 s2, s29, 0xcf800000, s2
	s_cvt_u32_f32 s39, s29
	s_wait_alu 0xfffe
	s_cvt_u32_f32 s38, s2
	s_wait_alu 0xfffe
	s_delay_alu instid0(SALU_CYCLE_2)
	s_mul_u64 s[44:45], s[40:41], s[38:39]
	s_wait_alu 0xfffe
	s_mul_hi_u32 s49, s38, s45
	s_mul_i32 s48, s38, s45
	s_mul_hi_u32 s42, s38, s44
	s_mul_i32 s29, s39, s44
	s_wait_alu 0xfffe
	s_add_nc_u64 s[42:43], s[42:43], s[48:49]
	s_mul_hi_u32 s2, s39, s44
	s_mul_hi_u32 s31, s39, s45
	s_wait_alu 0xfffe
	s_add_co_u32 s29, s42, s29
	s_add_co_ci_u32 s46, s43, s2
	s_mul_i32 s44, s39, s45
	s_add_co_ci_u32 s45, s31, 0
	s_wait_alu 0xfffe
	s_add_nc_u64 s[42:43], s[46:47], s[44:45]
	s_mov_b32 s45, s19
	s_wait_alu 0xfffe
	s_add_co_u32 s38, s38, s42
	s_cselect_b32 s2, -1, 0
	s_wait_alu 0xfffe
	s_cmp_lg_u32 s2, 0
	s_add_co_ci_u32 s39, s39, s43
	s_mov_b32 s43, s19
	s_wait_alu 0xfffe
	s_mul_u64 s[40:41], s[40:41], s[38:39]
	s_wait_alu 0xfffe
	s_mul_hi_u32 s47, s38, s41
	s_mul_i32 s46, s38, s41
	s_mul_hi_u32 s44, s38, s40
	s_mul_i32 s29, s39, s40
	s_wait_alu 0xfffe
	s_add_nc_u64 s[44:45], s[44:45], s[46:47]
	s_mul_hi_u32 s2, s39, s40
	s_mul_hi_u32 s31, s39, s41
	s_wait_alu 0xfffe
	s_add_co_u32 s29, s44, s29
	s_add_co_ci_u32 s42, s45, s2
	s_mul_i32 s40, s39, s41
	s_add_co_ci_u32 s41, s31, 0
	s_wait_alu 0xfffe
	s_add_nc_u64 s[40:41], s[42:43], s[40:41]
	s_wait_alu 0xfffe
	s_add_co_u32 s2, s38, s40
	s_cselect_b32 s29, -1, 0
	s_wait_alu 0xfffe
	v_mul_hi_u32 v15, v5, s2
	s_cmp_lg_u32 s29, 0
	v_mad_co_u64_u32 v[10:11], null, v14, s2, 0
	s_add_co_ci_u32 s29, s39, s41
	s_wait_alu 0xfffe
	v_mad_co_u64_u32 v[8:9], null, v5, s29, 0
	v_mad_co_u64_u32 v[12:13], null, v14, s29, 0
	s_delay_alu instid0(VALU_DEP_2) | instskip(SKIP_1) | instid1(VALU_DEP_3)
	v_add_co_u32 v8, vcc_lo, v15, v8
	s_wait_alu 0xfffd
	v_add_co_ci_u32_e64 v9, null, 0, v9, vcc_lo
	s_delay_alu instid0(VALU_DEP_2) | instskip(SKIP_1) | instid1(VALU_DEP_2)
	v_add_co_u32 v8, vcc_lo, v8, v10
	s_wait_alu 0xfffd
	v_add_co_ci_u32_e32 v8, vcc_lo, v9, v11, vcc_lo
	s_wait_alu 0xfffd
	v_add_co_ci_u32_e32 v9, vcc_lo, 0, v13, vcc_lo
	s_delay_alu instid0(VALU_DEP_2) | instskip(SKIP_1) | instid1(VALU_DEP_2)
	v_add_co_u32 v10, vcc_lo, v8, v12
	s_wait_alu 0xfffd
	v_add_co_ci_u32_e64 v11, null, 0, v9, vcc_lo
	s_delay_alu instid0(VALU_DEP_2) | instskip(SKIP_1) | instid1(VALU_DEP_3)
	v_mul_lo_u32 v12, s35, v10
	v_mad_co_u64_u32 v[8:9], null, s34, v10, 0
	v_mul_lo_u32 v13, s34, v11
	s_delay_alu instid0(VALU_DEP_2) | instskip(NEXT) | instid1(VALU_DEP_2)
	v_sub_co_u32 v5, vcc_lo, v5, v8
	v_add3_u32 v9, v9, v13, v12
	s_delay_alu instid0(VALU_DEP_1) | instskip(SKIP_2) | instid1(VALU_DEP_2)
	v_sub_nc_u32_e32 v12, v14, v9
	s_wait_alu 0xfffd
	v_sub_co_ci_u32_e64 v9, null, v14, v9, vcc_lo
	v_subrev_co_ci_u32_e64 v8, null, s35, v12, vcc_lo
	v_add_co_u32 v12, s2, v10, 2
	s_wait_alu 0xf1ff
	v_add_co_ci_u32_e64 v13, null, 0, v11, s2
	v_sub_co_u32 v15, s2, v5, s34
	s_wait_alu 0xf1ff
	v_subrev_co_ci_u32_e64 v8, null, 0, v8, s2
	s_delay_alu instid0(VALU_DEP_2) | instskip(SKIP_2) | instid1(VALU_DEP_3)
	v_cmp_le_u32_e32 vcc_lo, s34, v15
	s_wait_alu 0xfffd
	v_cndmask_b32_e64 v14, 0, -1, vcc_lo
	v_cmp_le_u32_e32 vcc_lo, s35, v8
	s_wait_alu 0xfffd
	v_cndmask_b32_e64 v15, 0, -1, vcc_lo
	;; [unrolled: 3-line block ×4, first 2 shown]
	v_cmp_eq_u32_e32 vcc_lo, s35, v8
	s_wait_alu 0xfffd
	v_cndmask_b32_e32 v8, v15, v14, vcc_lo
	v_add_co_u32 v14, vcc_lo, v10, 1
	s_wait_alu 0xfffd
	v_add_co_ci_u32_e64 v15, null, 0, v11, vcc_lo
	v_cmp_eq_u32_e32 vcc_lo, s35, v9
	s_wait_alu 0xfffd
	v_cndmask_b32_e32 v5, v16, v5, vcc_lo
	v_cmp_ne_u32_e32 vcc_lo, 0, v8
	s_delay_alu instid0(VALU_DEP_2) | instskip(SKIP_3) | instid1(VALU_DEP_1)
	v_cmp_ne_u32_e64 s2, 0, v5
	s_wait_alu 0xfffd
	v_dual_cndmask_b32 v8, v15, v13 :: v_dual_cndmask_b32 v5, v14, v12
	s_wait_alu 0xf1ff
	v_cndmask_b32_e64 v8, v11, v8, s2
	s_delay_alu instid0(VALU_DEP_2) | instskip(NEXT) | instid1(VALU_DEP_2)
	v_cndmask_b32_e64 v5, v10, v5, s2
	v_xor_b32_e32 v8, v8, v3
	s_delay_alu instid0(VALU_DEP_2) | instskip(NEXT) | instid1(VALU_DEP_1)
	v_xor_b32_e32 v5, v5, v3
	v_sub_co_u32 v9, vcc_lo, v5, v3
	s_wait_alu 0xfffd
	s_delay_alu instid0(VALU_DEP_3)
	v_sub_co_ci_u32_e64 v10, null, v8, v3, vcc_lo
.LBB44_18:                              ;   in Loop: Header=BB44_16 Depth=2
	s_wait_alu 0xfffe
	s_and_not1_saveexec_b32 s2, s36
	s_cbranch_execz .LBB44_15
; %bb.19:                               ;   in Loop: Header=BB44_16 Depth=2
	v_cvt_f32_u32_e32 v3, s28
	s_sub_co_i32 s29, 0, s28
	v_mov_b32_e32 v10, v2
	s_delay_alu instid0(VALU_DEP_2) | instskip(NEXT) | instid1(TRANS32_DEP_1)
	v_rcp_iflag_f32_e32 v3, v3
	v_mul_f32_e32 v3, 0x4f7ffffe, v3
	s_delay_alu instid0(VALU_DEP_1) | instskip(SKIP_1) | instid1(VALU_DEP_1)
	v_cvt_u32_f32_e32 v3, v3
	s_wait_alu 0xfffe
	v_mul_lo_u32 v5, s29, v3
	s_delay_alu instid0(VALU_DEP_1) | instskip(NEXT) | instid1(VALU_DEP_1)
	v_mul_hi_u32 v5, v3, v5
	v_add_nc_u32_e32 v3, v3, v5
	s_delay_alu instid0(VALU_DEP_1) | instskip(NEXT) | instid1(VALU_DEP_1)
	v_mul_hi_u32 v3, v7, v3
	v_mul_lo_u32 v5, v3, s28
	s_delay_alu instid0(VALU_DEP_1) | instskip(NEXT) | instid1(VALU_DEP_1)
	v_sub_nc_u32_e32 v5, v7, v5
	v_subrev_nc_u32_e32 v9, s28, v5
	v_cmp_le_u32_e32 vcc_lo, s28, v5
	s_wait_alu 0xfffd
	s_delay_alu instid0(VALU_DEP_2) | instskip(NEXT) | instid1(VALU_DEP_1)
	v_dual_cndmask_b32 v5, v5, v9 :: v_dual_add_nc_u32 v8, 1, v3
	v_cndmask_b32_e32 v3, v3, v8, vcc_lo
	s_delay_alu instid0(VALU_DEP_2) | instskip(NEXT) | instid1(VALU_DEP_2)
	v_cmp_le_u32_e32 vcc_lo, s28, v5
	v_add_nc_u32_e32 v8, 1, v3
	s_wait_alu 0xfffd
	s_delay_alu instid0(VALU_DEP_1)
	v_cndmask_b32_e32 v9, v3, v8, vcc_lo
	s_branch .LBB44_15
.LBB44_20:                              ;   in Loop: Header=BB44_3 Depth=1
	s_mov_b32 s2, s18
	s_and_not1_b32 vcc_lo, exec_lo, s55
	s_wait_alu 0xfffe
	s_cbranch_vccnz .LBB44_56
.LBB44_21:                              ;   in Loop: Header=BB44_3 Depth=1
	s_add_co_i32 s26, s2, -7
.LBB44_22:                              ;   Parent Loop BB44_3 Depth=1
                                        ; =>  This Inner Loop Header: Depth=2
	s_wait_alu 0xfffe
	s_add_co_i32 s18, s26, 7
                                        ; implicit-def: $vgpr9_vgpr10
	s_mov_b32 s2, exec_lo
	s_wait_alu 0xfffe
	s_lshl_b64 s[34:35], s[18:19], 2
	s_wait_alu 0xfffe
	s_add_nc_u64 s[28:29], s[10:11], s[34:35]
	s_load_b32 s28, s[28:29], 0x8
	s_wait_kmcnt 0x0
	s_ashr_i32 s29, s28, 31
	s_wait_alu 0xfffe
	v_or_b32_e32 v3, s29, v8
	s_delay_alu instid0(VALU_DEP_1)
	v_cmpx_ne_u64_e32 0, v[2:3]
	s_xor_b32 s25, exec_lo, s2
	s_cbranch_execz .LBB44_24
; %bb.23:                               ;   in Loop: Header=BB44_22 Depth=2
	s_ashr_i32 s30, s29, 31
	v_ashrrev_i32_e32 v3, 31, v8
	s_wait_alu 0xfffe
	s_mov_b32 s31, s30
	s_wait_alu 0xfffe
	s_add_nc_u64 s[36:37], s[28:29], s[30:31]
	v_add_co_u32 v5, vcc_lo, v7, v3
	s_wait_alu 0xfffe
	s_xor_b64 s[36:37], s[36:37], s[30:31]
	s_wait_alu 0xfffd
	v_add_co_ci_u32_e64 v8, null, v8, v3, vcc_lo
	s_wait_alu 0xfffe
	s_cvt_f32_u32 s2, s36
	s_cvt_f32_u32 s18, s37
	s_sub_nc_u64 s[40:41], 0, s[36:37]
	v_xor_b32_e32 v5, v5, v3
	v_xor_b32_e32 v14, v8, v3
	s_wait_alu 0xfffe
	s_fmamk_f32 s2, s18, 0x4f800000, s2
	v_xor_b32_e32 v3, s30, v3
	s_wait_alu 0xfffe
	s_delay_alu instid0(SALU_CYCLE_1) | instskip(NEXT) | instid1(TRANS32_DEP_1)
	v_s_rcp_f32 s2, s2
	s_mul_f32 s2, s2, 0x5f7ffffc
	s_wait_alu 0xfffe
	s_delay_alu instid0(SALU_CYCLE_2) | instskip(SKIP_1) | instid1(SALU_CYCLE_2)
	s_mul_f32 s18, s2, 0x2f800000
	s_wait_alu 0xfffe
	s_trunc_f32 s18, s18
	s_wait_alu 0xfffe
	s_delay_alu instid0(SALU_CYCLE_2) | instskip(SKIP_2) | instid1(SALU_CYCLE_1)
	s_fmamk_f32 s2, s18, 0xcf800000, s2
	s_cvt_u32_f32 s39, s18
	s_wait_alu 0xfffe
	s_cvt_u32_f32 s38, s2
	s_wait_alu 0xfffe
	s_delay_alu instid0(SALU_CYCLE_2)
	s_mul_u64 s[42:43], s[40:41], s[38:39]
	s_wait_alu 0xfffe
	s_mul_hi_u32 s45, s38, s43
	s_mul_i32 s44, s38, s43
	s_mul_hi_u32 s18, s38, s42
	s_mul_i32 s27, s39, s42
	s_wait_alu 0xfffe
	s_add_nc_u64 s[44:45], s[18:19], s[44:45]
	s_mul_hi_u32 s2, s39, s42
	s_mul_hi_u32 s29, s39, s43
	s_wait_alu 0xfffe
	s_add_co_u32 s18, s44, s27
	s_add_co_ci_u32 s18, s45, s2
	s_mul_i32 s42, s39, s43
	s_add_co_ci_u32 s43, s29, 0
	s_wait_alu 0xfffe
	s_add_nc_u64 s[42:43], s[18:19], s[42:43]
	s_wait_alu 0xfffe
	s_add_co_u32 s38, s38, s42
	s_cselect_b32 s2, -1, 0
	s_wait_alu 0xfffe
	s_cmp_lg_u32 s2, 0
	s_add_co_ci_u32 s39, s39, s43
	s_wait_alu 0xfffe
	s_mul_u64 s[40:41], s[40:41], s[38:39]
	s_wait_alu 0xfffe
	s_mul_hi_u32 s43, s38, s41
	s_mul_i32 s42, s38, s41
	s_mul_hi_u32 s18, s38, s40
	s_mul_i32 s27, s39, s40
	s_wait_alu 0xfffe
	s_add_nc_u64 s[42:43], s[18:19], s[42:43]
	s_mul_hi_u32 s2, s39, s40
	s_mul_hi_u32 s29, s39, s41
	s_wait_alu 0xfffe
	s_add_co_u32 s18, s42, s27
	s_add_co_ci_u32 s18, s43, s2
	s_mul_i32 s40, s39, s41
	s_add_co_ci_u32 s41, s29, 0
	s_wait_alu 0xfffe
	s_add_nc_u64 s[40:41], s[18:19], s[40:41]
	s_wait_alu 0xfffe
	s_add_co_u32 s2, s38, s40
	s_cselect_b32 s18, -1, 0
	s_wait_alu 0xfffe
	v_mul_hi_u32 v15, v5, s2
	s_cmp_lg_u32 s18, 0
	v_mad_co_u64_u32 v[10:11], null, v14, s2, 0
	s_add_co_ci_u32 s18, s39, s41
	s_wait_alu 0xfffe
	v_mad_co_u64_u32 v[8:9], null, v5, s18, 0
	v_mad_co_u64_u32 v[12:13], null, v14, s18, 0
	s_delay_alu instid0(VALU_DEP_2) | instskip(SKIP_1) | instid1(VALU_DEP_3)
	v_add_co_u32 v8, vcc_lo, v15, v8
	s_wait_alu 0xfffd
	v_add_co_ci_u32_e64 v9, null, 0, v9, vcc_lo
	s_delay_alu instid0(VALU_DEP_2) | instskip(SKIP_1) | instid1(VALU_DEP_2)
	v_add_co_u32 v8, vcc_lo, v8, v10
	s_wait_alu 0xfffd
	v_add_co_ci_u32_e32 v8, vcc_lo, v9, v11, vcc_lo
	s_wait_alu 0xfffd
	v_add_co_ci_u32_e32 v9, vcc_lo, 0, v13, vcc_lo
	s_delay_alu instid0(VALU_DEP_2) | instskip(SKIP_1) | instid1(VALU_DEP_2)
	v_add_co_u32 v10, vcc_lo, v8, v12
	s_wait_alu 0xfffd
	v_add_co_ci_u32_e64 v11, null, 0, v9, vcc_lo
	s_delay_alu instid0(VALU_DEP_2) | instskip(SKIP_1) | instid1(VALU_DEP_3)
	v_mul_lo_u32 v12, s37, v10
	v_mad_co_u64_u32 v[8:9], null, s36, v10, 0
	v_mul_lo_u32 v13, s36, v11
	s_delay_alu instid0(VALU_DEP_2) | instskip(NEXT) | instid1(VALU_DEP_2)
	v_sub_co_u32 v5, vcc_lo, v5, v8
	v_add3_u32 v9, v9, v13, v12
	s_delay_alu instid0(VALU_DEP_1) | instskip(SKIP_2) | instid1(VALU_DEP_2)
	v_sub_nc_u32_e32 v12, v14, v9
	s_wait_alu 0xfffd
	v_sub_co_ci_u32_e64 v9, null, v14, v9, vcc_lo
	v_subrev_co_ci_u32_e64 v8, null, s37, v12, vcc_lo
	v_add_co_u32 v12, s2, v10, 2
	s_wait_alu 0xf1ff
	v_add_co_ci_u32_e64 v13, null, 0, v11, s2
	v_sub_co_u32 v15, s2, v5, s36
	s_wait_alu 0xf1ff
	v_subrev_co_ci_u32_e64 v8, null, 0, v8, s2
	s_delay_alu instid0(VALU_DEP_2) | instskip(SKIP_2) | instid1(VALU_DEP_3)
	v_cmp_le_u32_e32 vcc_lo, s36, v15
	s_wait_alu 0xfffd
	v_cndmask_b32_e64 v14, 0, -1, vcc_lo
	v_cmp_le_u32_e32 vcc_lo, s37, v8
	s_wait_alu 0xfffd
	v_cndmask_b32_e64 v15, 0, -1, vcc_lo
	;; [unrolled: 3-line block ×4, first 2 shown]
	v_cmp_eq_u32_e32 vcc_lo, s37, v8
	s_wait_alu 0xfffd
	v_cndmask_b32_e32 v8, v15, v14, vcc_lo
	v_add_co_u32 v14, vcc_lo, v10, 1
	s_wait_alu 0xfffd
	v_add_co_ci_u32_e64 v15, null, 0, v11, vcc_lo
	v_cmp_eq_u32_e32 vcc_lo, s37, v9
	s_wait_alu 0xfffd
	v_cndmask_b32_e32 v5, v16, v5, vcc_lo
	v_cmp_ne_u32_e32 vcc_lo, 0, v8
	s_delay_alu instid0(VALU_DEP_2) | instskip(SKIP_3) | instid1(VALU_DEP_1)
	v_cmp_ne_u32_e64 s2, 0, v5
	s_wait_alu 0xfffd
	v_dual_cndmask_b32 v8, v15, v13 :: v_dual_cndmask_b32 v5, v14, v12
	s_wait_alu 0xf1ff
	v_cndmask_b32_e64 v8, v11, v8, s2
	s_delay_alu instid0(VALU_DEP_2) | instskip(NEXT) | instid1(VALU_DEP_2)
	v_cndmask_b32_e64 v5, v10, v5, s2
	v_xor_b32_e32 v8, v8, v3
	s_delay_alu instid0(VALU_DEP_2) | instskip(NEXT) | instid1(VALU_DEP_1)
	v_xor_b32_e32 v5, v5, v3
	v_sub_co_u32 v9, vcc_lo, v5, v3
	s_wait_alu 0xfffd
	s_delay_alu instid0(VALU_DEP_3)
	v_sub_co_ci_u32_e64 v10, null, v8, v3, vcc_lo
.LBB44_24:                              ;   in Loop: Header=BB44_22 Depth=2
	s_wait_alu 0xfffe
	s_and_not1_saveexec_b32 s2, s25
	s_cbranch_execz .LBB44_26
; %bb.25:                               ;   in Loop: Header=BB44_22 Depth=2
	v_cvt_f32_u32_e32 v3, s28
	s_sub_co_i32 s18, 0, s28
	v_mov_b32_e32 v10, v2
	s_delay_alu instid0(VALU_DEP_2) | instskip(NEXT) | instid1(TRANS32_DEP_1)
	v_rcp_iflag_f32_e32 v3, v3
	v_mul_f32_e32 v3, 0x4f7ffffe, v3
	s_delay_alu instid0(VALU_DEP_1) | instskip(SKIP_1) | instid1(VALU_DEP_1)
	v_cvt_u32_f32_e32 v3, v3
	s_wait_alu 0xfffe
	v_mul_lo_u32 v5, s18, v3
	s_delay_alu instid0(VALU_DEP_1) | instskip(NEXT) | instid1(VALU_DEP_1)
	v_mul_hi_u32 v5, v3, v5
	v_add_nc_u32_e32 v3, v3, v5
	s_delay_alu instid0(VALU_DEP_1) | instskip(NEXT) | instid1(VALU_DEP_1)
	v_mul_hi_u32 v3, v7, v3
	v_mul_lo_u32 v5, v3, s28
	s_delay_alu instid0(VALU_DEP_1) | instskip(NEXT) | instid1(VALU_DEP_1)
	v_sub_nc_u32_e32 v5, v7, v5
	v_subrev_nc_u32_e32 v9, s28, v5
	v_cmp_le_u32_e32 vcc_lo, s28, v5
	s_wait_alu 0xfffd
	s_delay_alu instid0(VALU_DEP_2) | instskip(NEXT) | instid1(VALU_DEP_1)
	v_dual_cndmask_b32 v5, v5, v9 :: v_dual_add_nc_u32 v8, 1, v3
	v_cndmask_b32_e32 v3, v3, v8, vcc_lo
	s_delay_alu instid0(VALU_DEP_2) | instskip(NEXT) | instid1(VALU_DEP_2)
	v_cmp_le_u32_e32 vcc_lo, s28, v5
	v_add_nc_u32_e32 v8, 1, v3
	s_wait_alu 0xfffd
	s_delay_alu instid0(VALU_DEP_1)
	v_cndmask_b32_e32 v9, v3, v8, vcc_lo
.LBB44_26:                              ;   in Loop: Header=BB44_22 Depth=2
	s_wait_alu 0xfffe
	s_or_b32 exec_lo, exec_lo, s2
	s_add_co_i32 s18, s26, 6
	s_add_nc_u64 s[34:35], s[0:1], s[34:35]
	s_wait_alu 0xfffe
	s_lshl_b64 s[36:37], s[18:19], 2
                                        ; implicit-def: $vgpr11_vgpr12
	s_mov_b32 s2, exec_lo
	s_wait_alu 0xfffe
	s_add_nc_u64 s[30:31], s[10:11], s[36:37]
	s_clause 0x1
	s_load_b32 s25, s[34:35], 0x6c
	s_load_b32 s30, s[30:31], 0x8
	s_wait_kmcnt 0x0
	s_ashr_i32 s31, s30, 31
	s_wait_alu 0xfffe
	v_or_b32_e32 v3, s31, v10
	s_delay_alu instid0(VALU_DEP_1)
	v_cmpx_ne_u64_e32 0, v[2:3]
	s_xor_b32 s27, exec_lo, s2
	s_cbranch_execz .LBB44_28
; %bb.27:                               ;   in Loop: Header=BB44_22 Depth=2
	s_ashr_i32 s34, s31, 31
	v_ashrrev_i32_e32 v3, 31, v10
	s_wait_alu 0xfffe
	s_mov_b32 s35, s34
	s_wait_alu 0xfffe
	s_add_nc_u64 s[38:39], s[30:31], s[34:35]
	v_add_co_u32 v5, vcc_lo, v9, v3
	s_wait_alu 0xfffe
	s_xor_b64 s[38:39], s[38:39], s[34:35]
	s_wait_alu 0xfffd
	v_add_co_ci_u32_e64 v8, null, v10, v3, vcc_lo
	s_wait_alu 0xfffe
	s_cvt_f32_u32 s2, s38
	s_cvt_f32_u32 s18, s39
	s_sub_nc_u64 s[42:43], 0, s[38:39]
	v_xor_b32_e32 v5, v5, v3
	v_xor_b32_e32 v8, v8, v3
	s_wait_alu 0xfffe
	s_fmamk_f32 s2, s18, 0x4f800000, s2
	v_xor_b32_e32 v3, s34, v3
	s_wait_alu 0xfffe
	s_delay_alu instid0(SALU_CYCLE_1) | instskip(NEXT) | instid1(TRANS32_DEP_1)
	v_s_rcp_f32 s2, s2
	s_mul_f32 s2, s2, 0x5f7ffffc
	s_wait_alu 0xfffe
	s_delay_alu instid0(SALU_CYCLE_2) | instskip(SKIP_1) | instid1(SALU_CYCLE_2)
	s_mul_f32 s18, s2, 0x2f800000
	s_wait_alu 0xfffe
	s_trunc_f32 s18, s18
	s_wait_alu 0xfffe
	s_delay_alu instid0(SALU_CYCLE_2) | instskip(SKIP_2) | instid1(SALU_CYCLE_1)
	s_fmamk_f32 s2, s18, 0xcf800000, s2
	s_cvt_u32_f32 s41, s18
	s_wait_alu 0xfffe
	s_cvt_u32_f32 s40, s2
	s_wait_alu 0xfffe
	s_delay_alu instid0(SALU_CYCLE_2)
	s_mul_u64 s[44:45], s[42:43], s[40:41]
	s_wait_alu 0xfffe
	s_mul_hi_u32 s47, s40, s45
	s_mul_i32 s46, s40, s45
	s_mul_hi_u32 s18, s40, s44
	s_mul_i32 s29, s41, s44
	s_wait_alu 0xfffe
	s_add_nc_u64 s[46:47], s[18:19], s[46:47]
	s_mul_hi_u32 s2, s41, s44
	s_mul_hi_u32 s31, s41, s45
	s_wait_alu 0xfffe
	s_add_co_u32 s18, s46, s29
	s_add_co_ci_u32 s18, s47, s2
	s_mul_i32 s44, s41, s45
	s_add_co_ci_u32 s45, s31, 0
	s_wait_alu 0xfffe
	s_add_nc_u64 s[44:45], s[18:19], s[44:45]
	s_wait_alu 0xfffe
	s_add_co_u32 s40, s40, s44
	s_cselect_b32 s2, -1, 0
	s_wait_alu 0xfffe
	s_cmp_lg_u32 s2, 0
	s_add_co_ci_u32 s41, s41, s45
	s_wait_alu 0xfffe
	s_mul_u64 s[42:43], s[42:43], s[40:41]
	s_wait_alu 0xfffe
	s_mul_hi_u32 s45, s40, s43
	s_mul_i32 s44, s40, s43
	s_mul_hi_u32 s18, s40, s42
	s_mul_i32 s29, s41, s42
	s_wait_alu 0xfffe
	s_add_nc_u64 s[44:45], s[18:19], s[44:45]
	s_mul_hi_u32 s2, s41, s42
	s_mul_hi_u32 s31, s41, s43
	s_wait_alu 0xfffe
	s_add_co_u32 s18, s44, s29
	s_add_co_ci_u32 s18, s45, s2
	s_mul_i32 s42, s41, s43
	s_add_co_ci_u32 s43, s31, 0
	s_wait_alu 0xfffe
	s_add_nc_u64 s[42:43], s[18:19], s[42:43]
	s_wait_alu 0xfffe
	s_add_co_u32 s2, s40, s42
	s_cselect_b32 s18, -1, 0
	s_wait_alu 0xfffe
	v_mul_hi_u32 v16, v5, s2
	s_cmp_lg_u32 s18, 0
	v_mad_co_u64_u32 v[12:13], null, v8, s2, 0
	s_add_co_ci_u32 s18, s41, s43
	s_wait_alu 0xfffe
	v_mad_co_u64_u32 v[10:11], null, v5, s18, 0
	v_mad_co_u64_u32 v[14:15], null, v8, s18, 0
	s_delay_alu instid0(VALU_DEP_2) | instskip(SKIP_1) | instid1(VALU_DEP_3)
	v_add_co_u32 v10, vcc_lo, v16, v10
	s_wait_alu 0xfffd
	v_add_co_ci_u32_e64 v11, null, 0, v11, vcc_lo
	s_delay_alu instid0(VALU_DEP_2) | instskip(SKIP_1) | instid1(VALU_DEP_2)
	v_add_co_u32 v10, vcc_lo, v10, v12
	s_wait_alu 0xfffd
	v_add_co_ci_u32_e32 v10, vcc_lo, v11, v13, vcc_lo
	s_wait_alu 0xfffd
	v_add_co_ci_u32_e32 v11, vcc_lo, 0, v15, vcc_lo
	s_delay_alu instid0(VALU_DEP_2) | instskip(SKIP_1) | instid1(VALU_DEP_2)
	v_add_co_u32 v12, vcc_lo, v10, v14
	s_wait_alu 0xfffd
	v_add_co_ci_u32_e64 v13, null, 0, v11, vcc_lo
	s_delay_alu instid0(VALU_DEP_2) | instskip(SKIP_1) | instid1(VALU_DEP_3)
	v_mul_lo_u32 v14, s39, v12
	v_mad_co_u64_u32 v[10:11], null, s38, v12, 0
	v_mul_lo_u32 v15, s38, v13
	s_delay_alu instid0(VALU_DEP_2) | instskip(NEXT) | instid1(VALU_DEP_2)
	v_sub_co_u32 v5, vcc_lo, v5, v10
	v_add3_u32 v11, v11, v15, v14
	s_delay_alu instid0(VALU_DEP_1) | instskip(SKIP_2) | instid1(VALU_DEP_2)
	v_sub_nc_u32_e32 v14, v8, v11
	s_wait_alu 0xfffd
	v_sub_co_ci_u32_e64 v8, null, v8, v11, vcc_lo
	v_subrev_co_ci_u32_e64 v10, null, s39, v14, vcc_lo
	v_add_co_u32 v14, s2, v12, 2
	s_wait_alu 0xf1ff
	v_add_co_ci_u32_e64 v15, null, 0, v13, s2
	v_sub_co_u32 v16, s2, v5, s38
	s_wait_alu 0xf1ff
	v_subrev_co_ci_u32_e64 v10, null, 0, v10, s2
	s_delay_alu instid0(VALU_DEP_2) | instskip(SKIP_2) | instid1(VALU_DEP_3)
	v_cmp_le_u32_e32 vcc_lo, s38, v16
	s_wait_alu 0xfffd
	v_cndmask_b32_e64 v11, 0, -1, vcc_lo
	v_cmp_le_u32_e32 vcc_lo, s39, v10
	s_wait_alu 0xfffd
	v_cndmask_b32_e64 v16, 0, -1, vcc_lo
	;; [unrolled: 3-line block ×4, first 2 shown]
	v_cmp_eq_u32_e32 vcc_lo, s39, v10
	s_wait_alu 0xfffd
	v_cndmask_b32_e32 v10, v16, v11, vcc_lo
	v_add_co_u32 v11, vcc_lo, v12, 1
	s_wait_alu 0xfffd
	v_add_co_ci_u32_e64 v16, null, 0, v13, vcc_lo
	v_cmp_eq_u32_e32 vcc_lo, s39, v8
	s_wait_alu 0xfffd
	v_cndmask_b32_e32 v5, v17, v5, vcc_lo
	v_cmp_ne_u32_e32 vcc_lo, 0, v10
	s_delay_alu instid0(VALU_DEP_2) | instskip(SKIP_3) | instid1(VALU_DEP_1)
	v_cmp_ne_u32_e64 s2, 0, v5
	s_wait_alu 0xfffd
	v_dual_cndmask_b32 v8, v16, v15 :: v_dual_cndmask_b32 v5, v11, v14
	s_wait_alu 0xf1ff
	v_cndmask_b32_e64 v8, v13, v8, s2
	s_delay_alu instid0(VALU_DEP_2) | instskip(NEXT) | instid1(VALU_DEP_2)
	v_cndmask_b32_e64 v5, v12, v5, s2
	v_xor_b32_e32 v8, v8, v3
	s_delay_alu instid0(VALU_DEP_2) | instskip(NEXT) | instid1(VALU_DEP_1)
	v_xor_b32_e32 v5, v5, v3
	v_sub_co_u32 v11, vcc_lo, v5, v3
	s_wait_alu 0xfffd
	s_delay_alu instid0(VALU_DEP_3)
	v_sub_co_ci_u32_e64 v12, null, v8, v3, vcc_lo
.LBB44_28:                              ;   in Loop: Header=BB44_22 Depth=2
	s_wait_alu 0xfffe
	s_and_not1_saveexec_b32 s2, s27
	s_cbranch_execz .LBB44_30
; %bb.29:                               ;   in Loop: Header=BB44_22 Depth=2
	v_cvt_f32_u32_e32 v3, s30
	s_sub_co_i32 s18, 0, s30
	v_mov_b32_e32 v12, v2
	s_delay_alu instid0(VALU_DEP_2) | instskip(NEXT) | instid1(TRANS32_DEP_1)
	v_rcp_iflag_f32_e32 v3, v3
	v_mul_f32_e32 v3, 0x4f7ffffe, v3
	s_delay_alu instid0(VALU_DEP_1) | instskip(SKIP_1) | instid1(VALU_DEP_1)
	v_cvt_u32_f32_e32 v3, v3
	s_wait_alu 0xfffe
	v_mul_lo_u32 v5, s18, v3
	s_delay_alu instid0(VALU_DEP_1) | instskip(NEXT) | instid1(VALU_DEP_1)
	v_mul_hi_u32 v5, v3, v5
	v_add_nc_u32_e32 v3, v3, v5
	s_delay_alu instid0(VALU_DEP_1) | instskip(NEXT) | instid1(VALU_DEP_1)
	v_mul_hi_u32 v3, v9, v3
	v_mul_lo_u32 v5, v3, s30
	s_delay_alu instid0(VALU_DEP_1) | instskip(NEXT) | instid1(VALU_DEP_1)
	v_sub_nc_u32_e32 v5, v9, v5
	v_subrev_nc_u32_e32 v10, s30, v5
	v_cmp_le_u32_e32 vcc_lo, s30, v5
	s_wait_alu 0xfffd
	s_delay_alu instid0(VALU_DEP_2) | instskip(NEXT) | instid1(VALU_DEP_1)
	v_dual_cndmask_b32 v5, v5, v10 :: v_dual_add_nc_u32 v8, 1, v3
	v_cndmask_b32_e32 v3, v3, v8, vcc_lo
	s_delay_alu instid0(VALU_DEP_2) | instskip(NEXT) | instid1(VALU_DEP_2)
	v_cmp_le_u32_e32 vcc_lo, s30, v5
	v_add_nc_u32_e32 v8, 1, v3
	s_wait_alu 0xfffd
	s_delay_alu instid0(VALU_DEP_1)
	v_cndmask_b32_e32 v11, v3, v8, vcc_lo
.LBB44_30:                              ;   in Loop: Header=BB44_22 Depth=2
	s_wait_alu 0xfffe
	s_or_b32 exec_lo, exec_lo, s2
	s_add_co_i32 s18, s26, 5
	s_add_nc_u64 s[36:37], s[0:1], s[36:37]
	s_wait_alu 0xfffe
	s_lshl_b64 s[38:39], s[18:19], 2
                                        ; implicit-def: $vgpr13_vgpr14
	s_mov_b32 s2, exec_lo
	s_wait_alu 0xfffe
	s_add_nc_u64 s[34:35], s[10:11], s[38:39]
	s_clause 0x1
	s_load_b32 s29, s[36:37], 0x6c
	s_load_b32 s34, s[34:35], 0x8
	s_wait_kmcnt 0x0
	s_ashr_i32 s35, s34, 31
	s_wait_alu 0xfffe
	v_or_b32_e32 v3, s35, v12
	s_delay_alu instid0(VALU_DEP_1)
	v_cmpx_ne_u64_e32 0, v[2:3]
	s_xor_b32 s27, exec_lo, s2
	s_cbranch_execz .LBB44_32
; %bb.31:                               ;   in Loop: Header=BB44_22 Depth=2
	s_ashr_i32 s36, s35, 31
	v_ashrrev_i32_e32 v3, 31, v12
	s_wait_alu 0xfffe
	s_mov_b32 s37, s36
	s_wait_alu 0xfffe
	s_add_nc_u64 s[40:41], s[34:35], s[36:37]
	v_add_co_u32 v5, vcc_lo, v11, v3
	s_wait_alu 0xfffe
	s_xor_b64 s[40:41], s[40:41], s[36:37]
	s_wait_alu 0xfffd
	v_add_co_ci_u32_e64 v8, null, v12, v3, vcc_lo
	s_wait_alu 0xfffe
	s_cvt_f32_u32 s2, s40
	s_cvt_f32_u32 s18, s41
	s_sub_nc_u64 s[44:45], 0, s[40:41]
	v_xor_b32_e32 v5, v5, v3
	v_xor_b32_e32 v8, v8, v3
	s_wait_alu 0xfffe
	s_fmamk_f32 s2, s18, 0x4f800000, s2
	v_xor_b32_e32 v3, s36, v3
	s_wait_alu 0xfffe
	s_delay_alu instid0(SALU_CYCLE_1) | instskip(NEXT) | instid1(TRANS32_DEP_1)
	v_s_rcp_f32 s2, s2
	s_mul_f32 s2, s2, 0x5f7ffffc
	s_wait_alu 0xfffe
	s_delay_alu instid0(SALU_CYCLE_2) | instskip(SKIP_1) | instid1(SALU_CYCLE_2)
	s_mul_f32 s18, s2, 0x2f800000
	s_wait_alu 0xfffe
	s_trunc_f32 s18, s18
	s_wait_alu 0xfffe
	s_delay_alu instid0(SALU_CYCLE_2) | instskip(SKIP_2) | instid1(SALU_CYCLE_1)
	s_fmamk_f32 s2, s18, 0xcf800000, s2
	s_cvt_u32_f32 s43, s18
	s_wait_alu 0xfffe
	s_cvt_u32_f32 s42, s2
	s_wait_alu 0xfffe
	s_delay_alu instid0(SALU_CYCLE_2)
	s_mul_u64 s[46:47], s[44:45], s[42:43]
	s_wait_alu 0xfffe
	s_mul_hi_u32 s49, s42, s47
	s_mul_i32 s48, s42, s47
	s_mul_hi_u32 s18, s42, s46
	s_mul_i32 s31, s43, s46
	s_wait_alu 0xfffe
	s_add_nc_u64 s[48:49], s[18:19], s[48:49]
	s_mul_hi_u32 s2, s43, s46
	s_mul_hi_u32 s35, s43, s47
	s_wait_alu 0xfffe
	s_add_co_u32 s18, s48, s31
	s_add_co_ci_u32 s18, s49, s2
	s_mul_i32 s46, s43, s47
	s_add_co_ci_u32 s47, s35, 0
	s_wait_alu 0xfffe
	s_add_nc_u64 s[46:47], s[18:19], s[46:47]
	s_wait_alu 0xfffe
	s_add_co_u32 s42, s42, s46
	s_cselect_b32 s2, -1, 0
	s_wait_alu 0xfffe
	s_cmp_lg_u32 s2, 0
	s_add_co_ci_u32 s43, s43, s47
	s_wait_alu 0xfffe
	s_mul_u64 s[44:45], s[44:45], s[42:43]
	s_wait_alu 0xfffe
	s_mul_hi_u32 s47, s42, s45
	s_mul_i32 s46, s42, s45
	s_mul_hi_u32 s18, s42, s44
	s_mul_i32 s31, s43, s44
	s_wait_alu 0xfffe
	s_add_nc_u64 s[46:47], s[18:19], s[46:47]
	s_mul_hi_u32 s2, s43, s44
	s_mul_hi_u32 s35, s43, s45
	s_wait_alu 0xfffe
	s_add_co_u32 s18, s46, s31
	s_add_co_ci_u32 s18, s47, s2
	s_mul_i32 s44, s43, s45
	s_add_co_ci_u32 s45, s35, 0
	s_wait_alu 0xfffe
	s_add_nc_u64 s[44:45], s[18:19], s[44:45]
	s_wait_alu 0xfffe
	s_add_co_u32 s2, s42, s44
	s_cselect_b32 s18, -1, 0
	s_wait_alu 0xfffe
	v_mul_hi_u32 v10, v5, s2
	s_cmp_lg_u32 s18, 0
	v_mad_co_u64_u32 v[14:15], null, v8, s2, 0
	s_add_co_ci_u32 s18, s43, s45
	s_wait_alu 0xfffe
	v_mad_co_u64_u32 v[12:13], null, v5, s18, 0
	v_mad_co_u64_u32 v[16:17], null, v8, s18, 0
	s_delay_alu instid0(VALU_DEP_2) | instskip(SKIP_1) | instid1(VALU_DEP_3)
	v_add_co_u32 v10, vcc_lo, v10, v12
	s_wait_alu 0xfffd
	v_add_co_ci_u32_e64 v12, null, 0, v13, vcc_lo
	s_delay_alu instid0(VALU_DEP_2) | instskip(SKIP_1) | instid1(VALU_DEP_2)
	v_add_co_u32 v10, vcc_lo, v10, v14
	s_wait_alu 0xfffd
	v_add_co_ci_u32_e32 v10, vcc_lo, v12, v15, vcc_lo
	s_wait_alu 0xfffd
	v_add_co_ci_u32_e32 v12, vcc_lo, 0, v17, vcc_lo
	s_delay_alu instid0(VALU_DEP_2) | instskip(SKIP_1) | instid1(VALU_DEP_2)
	v_add_co_u32 v10, vcc_lo, v10, v16
	s_wait_alu 0xfffd
	v_add_co_ci_u32_e64 v14, null, 0, v12, vcc_lo
	s_delay_alu instid0(VALU_DEP_2) | instskip(SKIP_1) | instid1(VALU_DEP_3)
	v_mul_lo_u32 v15, s41, v10
	v_mad_co_u64_u32 v[12:13], null, s40, v10, 0
	v_mul_lo_u32 v16, s40, v14
	s_delay_alu instid0(VALU_DEP_2) | instskip(NEXT) | instid1(VALU_DEP_2)
	v_sub_co_u32 v5, vcc_lo, v5, v12
	v_add3_u32 v13, v13, v16, v15
	s_delay_alu instid0(VALU_DEP_1) | instskip(SKIP_2) | instid1(VALU_DEP_2)
	v_sub_nc_u32_e32 v15, v8, v13
	s_wait_alu 0xfffd
	v_sub_co_ci_u32_e64 v8, null, v8, v13, vcc_lo
	v_subrev_co_ci_u32_e64 v12, null, s41, v15, vcc_lo
	v_add_co_u32 v15, s2, v10, 2
	s_wait_alu 0xf1ff
	v_add_co_ci_u32_e64 v16, null, 0, v14, s2
	v_sub_co_u32 v17, s2, v5, s40
	s_wait_alu 0xf1ff
	v_subrev_co_ci_u32_e64 v12, null, 0, v12, s2
	s_delay_alu instid0(VALU_DEP_2) | instskip(SKIP_2) | instid1(VALU_DEP_3)
	v_cmp_le_u32_e32 vcc_lo, s40, v17
	s_wait_alu 0xfffd
	v_cndmask_b32_e64 v13, 0, -1, vcc_lo
	v_cmp_le_u32_e32 vcc_lo, s41, v12
	s_wait_alu 0xfffd
	v_cndmask_b32_e64 v17, 0, -1, vcc_lo
	;; [unrolled: 3-line block ×4, first 2 shown]
	v_cmp_eq_u32_e32 vcc_lo, s41, v12
	s_wait_alu 0xfffd
	v_cndmask_b32_e32 v12, v17, v13, vcc_lo
	v_add_co_u32 v13, vcc_lo, v10, 1
	s_wait_alu 0xfffd
	v_add_co_ci_u32_e64 v17, null, 0, v14, vcc_lo
	v_cmp_eq_u32_e32 vcc_lo, s41, v8
	s_wait_alu 0xfffd
	v_cndmask_b32_e32 v5, v18, v5, vcc_lo
	v_cmp_ne_u32_e32 vcc_lo, 0, v12
	s_wait_alu 0xfffd
	v_cndmask_b32_e32 v8, v17, v16, vcc_lo
	s_delay_alu instid0(VALU_DEP_3) | instskip(SKIP_2) | instid1(VALU_DEP_2)
	v_cmp_ne_u32_e64 s2, 0, v5
	v_cndmask_b32_e32 v5, v13, v15, vcc_lo
	s_wait_alu 0xf1ff
	v_cndmask_b32_e64 v8, v14, v8, s2
	s_delay_alu instid0(VALU_DEP_2) | instskip(NEXT) | instid1(VALU_DEP_2)
	v_cndmask_b32_e64 v5, v10, v5, s2
	v_xor_b32_e32 v8, v8, v3
	s_delay_alu instid0(VALU_DEP_2) | instskip(NEXT) | instid1(VALU_DEP_1)
	v_xor_b32_e32 v5, v5, v3
	v_sub_co_u32 v13, vcc_lo, v5, v3
	s_wait_alu 0xfffd
	s_delay_alu instid0(VALU_DEP_3)
	v_sub_co_ci_u32_e64 v14, null, v8, v3, vcc_lo
.LBB44_32:                              ;   in Loop: Header=BB44_22 Depth=2
	s_wait_alu 0xfffe
	s_and_not1_saveexec_b32 s2, s27
	s_cbranch_execz .LBB44_34
; %bb.33:                               ;   in Loop: Header=BB44_22 Depth=2
	v_cvt_f32_u32_e32 v3, s34
	s_sub_co_i32 s18, 0, s34
	v_mov_b32_e32 v14, v2
	s_delay_alu instid0(VALU_DEP_2) | instskip(NEXT) | instid1(TRANS32_DEP_1)
	v_rcp_iflag_f32_e32 v3, v3
	v_mul_f32_e32 v3, 0x4f7ffffe, v3
	s_delay_alu instid0(VALU_DEP_1) | instskip(SKIP_1) | instid1(VALU_DEP_1)
	v_cvt_u32_f32_e32 v3, v3
	s_wait_alu 0xfffe
	v_mul_lo_u32 v5, s18, v3
	s_delay_alu instid0(VALU_DEP_1) | instskip(NEXT) | instid1(VALU_DEP_1)
	v_mul_hi_u32 v5, v3, v5
	v_add_nc_u32_e32 v3, v3, v5
	s_delay_alu instid0(VALU_DEP_1) | instskip(NEXT) | instid1(VALU_DEP_1)
	v_mul_hi_u32 v3, v11, v3
	v_mul_lo_u32 v5, v3, s34
	s_delay_alu instid0(VALU_DEP_1) | instskip(NEXT) | instid1(VALU_DEP_1)
	v_sub_nc_u32_e32 v5, v11, v5
	v_subrev_nc_u32_e32 v10, s34, v5
	v_cmp_le_u32_e32 vcc_lo, s34, v5
	s_wait_alu 0xfffd
	s_delay_alu instid0(VALU_DEP_2) | instskip(NEXT) | instid1(VALU_DEP_1)
	v_dual_cndmask_b32 v5, v5, v10 :: v_dual_add_nc_u32 v8, 1, v3
	v_cndmask_b32_e32 v3, v3, v8, vcc_lo
	s_delay_alu instid0(VALU_DEP_2) | instskip(NEXT) | instid1(VALU_DEP_2)
	v_cmp_le_u32_e32 vcc_lo, s34, v5
	v_add_nc_u32_e32 v8, 1, v3
	s_wait_alu 0xfffd
	s_delay_alu instid0(VALU_DEP_1)
	v_cndmask_b32_e32 v13, v3, v8, vcc_lo
.LBB44_34:                              ;   in Loop: Header=BB44_22 Depth=2
	s_wait_alu 0xfffe
	s_or_b32 exec_lo, exec_lo, s2
	s_add_co_i32 s18, s26, 4
	s_add_nc_u64 s[38:39], s[0:1], s[38:39]
	s_wait_alu 0xfffe
	s_lshl_b64 s[40:41], s[18:19], 2
                                        ; implicit-def: $vgpr15_vgpr16
	s_mov_b32 s2, exec_lo
	s_wait_alu 0xfffe
	s_add_nc_u64 s[36:37], s[10:11], s[40:41]
	s_clause 0x1
	s_load_b32 s31, s[38:39], 0x6c
	s_load_b32 s36, s[36:37], 0x8
	s_wait_kmcnt 0x0
	s_ashr_i32 s37, s36, 31
	s_wait_alu 0xfffe
	v_or_b32_e32 v3, s37, v14
	s_delay_alu instid0(VALU_DEP_1)
	v_cmpx_ne_u64_e32 0, v[2:3]
	s_xor_b32 s27, exec_lo, s2
	s_cbranch_execz .LBB44_36
; %bb.35:                               ;   in Loop: Header=BB44_22 Depth=2
	s_ashr_i32 s38, s37, 31
	v_ashrrev_i32_e32 v3, 31, v14
	s_wait_alu 0xfffe
	s_mov_b32 s39, s38
	s_wait_alu 0xfffe
	s_add_nc_u64 s[42:43], s[36:37], s[38:39]
	v_add_co_u32 v5, vcc_lo, v13, v3
	s_wait_alu 0xfffe
	s_xor_b64 s[42:43], s[42:43], s[38:39]
	s_wait_alu 0xfffd
	v_add_co_ci_u32_e64 v8, null, v14, v3, vcc_lo
	s_wait_alu 0xfffe
	s_cvt_f32_u32 s2, s42
	s_cvt_f32_u32 s18, s43
	s_sub_nc_u64 s[46:47], 0, s[42:43]
	v_xor_b32_e32 v5, v5, v3
	v_xor_b32_e32 v8, v8, v3
	s_wait_alu 0xfffe
	s_fmamk_f32 s2, s18, 0x4f800000, s2
	v_xor_b32_e32 v3, s38, v3
	s_wait_alu 0xfffe
	s_delay_alu instid0(SALU_CYCLE_1) | instskip(NEXT) | instid1(TRANS32_DEP_1)
	v_s_rcp_f32 s2, s2
	s_mul_f32 s2, s2, 0x5f7ffffc
	s_wait_alu 0xfffe
	s_delay_alu instid0(SALU_CYCLE_2) | instskip(SKIP_1) | instid1(SALU_CYCLE_2)
	s_mul_f32 s18, s2, 0x2f800000
	s_wait_alu 0xfffe
	s_trunc_f32 s18, s18
	s_wait_alu 0xfffe
	s_delay_alu instid0(SALU_CYCLE_2) | instskip(SKIP_2) | instid1(SALU_CYCLE_1)
	s_fmamk_f32 s2, s18, 0xcf800000, s2
	s_cvt_u32_f32 s45, s18
	s_wait_alu 0xfffe
	s_cvt_u32_f32 s44, s2
	s_wait_alu 0xfffe
	s_delay_alu instid0(SALU_CYCLE_2)
	s_mul_u64 s[48:49], s[46:47], s[44:45]
	s_wait_alu 0xfffe
	s_mul_hi_u32 s51, s44, s49
	s_mul_i32 s50, s44, s49
	s_mul_hi_u32 s18, s44, s48
	s_mul_i32 s35, s45, s48
	s_wait_alu 0xfffe
	s_add_nc_u64 s[50:51], s[18:19], s[50:51]
	s_mul_hi_u32 s2, s45, s48
	s_mul_hi_u32 s37, s45, s49
	s_wait_alu 0xfffe
	s_add_co_u32 s18, s50, s35
	s_add_co_ci_u32 s18, s51, s2
	s_mul_i32 s48, s45, s49
	s_add_co_ci_u32 s49, s37, 0
	s_wait_alu 0xfffe
	s_add_nc_u64 s[48:49], s[18:19], s[48:49]
	s_wait_alu 0xfffe
	s_add_co_u32 s44, s44, s48
	s_cselect_b32 s2, -1, 0
	s_wait_alu 0xfffe
	s_cmp_lg_u32 s2, 0
	s_add_co_ci_u32 s45, s45, s49
	s_wait_alu 0xfffe
	s_mul_u64 s[46:47], s[46:47], s[44:45]
	s_wait_alu 0xfffe
	s_mul_hi_u32 s49, s44, s47
	s_mul_i32 s48, s44, s47
	s_mul_hi_u32 s18, s44, s46
	s_mul_i32 s35, s45, s46
	s_wait_alu 0xfffe
	s_add_nc_u64 s[48:49], s[18:19], s[48:49]
	s_mul_hi_u32 s2, s45, s46
	s_mul_hi_u32 s37, s45, s47
	s_wait_alu 0xfffe
	s_add_co_u32 s18, s48, s35
	s_add_co_ci_u32 s18, s49, s2
	s_mul_i32 s46, s45, s47
	s_add_co_ci_u32 s47, s37, 0
	s_wait_alu 0xfffe
	s_add_nc_u64 s[46:47], s[18:19], s[46:47]
	s_wait_alu 0xfffe
	s_add_co_u32 s2, s44, s46
	s_cselect_b32 s18, -1, 0
	s_wait_alu 0xfffe
	v_mul_hi_u32 v10, v5, s2
	s_cmp_lg_u32 s18, 0
	v_mad_co_u64_u32 v[16:17], null, v8, s2, 0
	s_add_co_ci_u32 s18, s45, s47
	s_wait_alu 0xfffe
	v_mad_co_u64_u32 v[14:15], null, v5, s18, 0
	v_mad_co_u64_u32 v[18:19], null, v8, s18, 0
	s_delay_alu instid0(VALU_DEP_2) | instskip(SKIP_1) | instid1(VALU_DEP_3)
	v_add_co_u32 v10, vcc_lo, v10, v14
	s_wait_alu 0xfffd
	v_add_co_ci_u32_e64 v12, null, 0, v15, vcc_lo
	s_delay_alu instid0(VALU_DEP_2) | instskip(SKIP_1) | instid1(VALU_DEP_2)
	v_add_co_u32 v10, vcc_lo, v10, v16
	s_wait_alu 0xfffd
	v_add_co_ci_u32_e32 v10, vcc_lo, v12, v17, vcc_lo
	s_wait_alu 0xfffd
	v_add_co_ci_u32_e32 v12, vcc_lo, 0, v19, vcc_lo
	s_delay_alu instid0(VALU_DEP_2) | instskip(SKIP_1) | instid1(VALU_DEP_2)
	v_add_co_u32 v10, vcc_lo, v10, v18
	s_wait_alu 0xfffd
	v_add_co_ci_u32_e64 v12, null, 0, v12, vcc_lo
	s_delay_alu instid0(VALU_DEP_2) | instskip(SKIP_1) | instid1(VALU_DEP_3)
	v_mul_lo_u32 v16, s43, v10
	v_mad_co_u64_u32 v[14:15], null, s42, v10, 0
	v_mul_lo_u32 v17, s42, v12
	s_delay_alu instid0(VALU_DEP_2) | instskip(NEXT) | instid1(VALU_DEP_2)
	v_sub_co_u32 v5, vcc_lo, v5, v14
	v_add3_u32 v15, v15, v17, v16
	s_delay_alu instid0(VALU_DEP_1) | instskip(SKIP_2) | instid1(VALU_DEP_2)
	v_sub_nc_u32_e32 v16, v8, v15
	s_wait_alu 0xfffd
	v_sub_co_ci_u32_e64 v8, null, v8, v15, vcc_lo
	v_subrev_co_ci_u32_e64 v14, null, s43, v16, vcc_lo
	v_add_co_u32 v16, s2, v10, 2
	s_wait_alu 0xf1ff
	v_add_co_ci_u32_e64 v17, null, 0, v12, s2
	v_sub_co_u32 v18, s2, v5, s42
	s_wait_alu 0xf1ff
	v_subrev_co_ci_u32_e64 v14, null, 0, v14, s2
	s_delay_alu instid0(VALU_DEP_2) | instskip(SKIP_2) | instid1(VALU_DEP_3)
	v_cmp_le_u32_e32 vcc_lo, s42, v18
	s_wait_alu 0xfffd
	v_cndmask_b32_e64 v15, 0, -1, vcc_lo
	v_cmp_le_u32_e32 vcc_lo, s43, v14
	s_wait_alu 0xfffd
	v_cndmask_b32_e64 v18, 0, -1, vcc_lo
	;; [unrolled: 3-line block ×4, first 2 shown]
	v_cmp_eq_u32_e32 vcc_lo, s43, v14
	s_wait_alu 0xfffd
	v_cndmask_b32_e32 v14, v18, v15, vcc_lo
	v_add_co_u32 v15, vcc_lo, v10, 1
	s_wait_alu 0xfffd
	v_add_co_ci_u32_e64 v18, null, 0, v12, vcc_lo
	v_cmp_eq_u32_e32 vcc_lo, s43, v8
	s_wait_alu 0xfffd
	v_cndmask_b32_e32 v5, v19, v5, vcc_lo
	v_cmp_ne_u32_e32 vcc_lo, 0, v14
	s_delay_alu instid0(VALU_DEP_2) | instskip(SKIP_3) | instid1(VALU_DEP_1)
	v_cmp_ne_u32_e64 s2, 0, v5
	s_wait_alu 0xfffd
	v_dual_cndmask_b32 v8, v18, v17 :: v_dual_cndmask_b32 v5, v15, v16
	s_wait_alu 0xf1ff
	v_cndmask_b32_e64 v8, v12, v8, s2
	s_delay_alu instid0(VALU_DEP_2) | instskip(NEXT) | instid1(VALU_DEP_2)
	v_cndmask_b32_e64 v5, v10, v5, s2
	v_xor_b32_e32 v8, v8, v3
	s_delay_alu instid0(VALU_DEP_2) | instskip(NEXT) | instid1(VALU_DEP_1)
	v_xor_b32_e32 v5, v5, v3
	v_sub_co_u32 v15, vcc_lo, v5, v3
	s_wait_alu 0xfffd
	s_delay_alu instid0(VALU_DEP_3)
	v_sub_co_ci_u32_e64 v16, null, v8, v3, vcc_lo
.LBB44_36:                              ;   in Loop: Header=BB44_22 Depth=2
	s_wait_alu 0xfffe
	s_and_not1_saveexec_b32 s2, s27
	s_cbranch_execz .LBB44_38
; %bb.37:                               ;   in Loop: Header=BB44_22 Depth=2
	v_cvt_f32_u32_e32 v3, s36
	s_sub_co_i32 s18, 0, s36
	v_mov_b32_e32 v16, v2
	s_delay_alu instid0(VALU_DEP_2) | instskip(NEXT) | instid1(TRANS32_DEP_1)
	v_rcp_iflag_f32_e32 v3, v3
	v_mul_f32_e32 v3, 0x4f7ffffe, v3
	s_delay_alu instid0(VALU_DEP_1) | instskip(SKIP_1) | instid1(VALU_DEP_1)
	v_cvt_u32_f32_e32 v3, v3
	s_wait_alu 0xfffe
	v_mul_lo_u32 v5, s18, v3
	s_delay_alu instid0(VALU_DEP_1) | instskip(NEXT) | instid1(VALU_DEP_1)
	v_mul_hi_u32 v5, v3, v5
	v_add_nc_u32_e32 v3, v3, v5
	s_delay_alu instid0(VALU_DEP_1) | instskip(NEXT) | instid1(VALU_DEP_1)
	v_mul_hi_u32 v3, v13, v3
	v_mul_lo_u32 v5, v3, s36
	s_delay_alu instid0(VALU_DEP_1) | instskip(NEXT) | instid1(VALU_DEP_1)
	v_sub_nc_u32_e32 v5, v13, v5
	v_subrev_nc_u32_e32 v10, s36, v5
	v_cmp_le_u32_e32 vcc_lo, s36, v5
	s_wait_alu 0xfffd
	s_delay_alu instid0(VALU_DEP_2) | instskip(NEXT) | instid1(VALU_DEP_1)
	v_dual_cndmask_b32 v5, v5, v10 :: v_dual_add_nc_u32 v8, 1, v3
	v_cndmask_b32_e32 v3, v3, v8, vcc_lo
	s_delay_alu instid0(VALU_DEP_2) | instskip(NEXT) | instid1(VALU_DEP_2)
	v_cmp_le_u32_e32 vcc_lo, s36, v5
	v_add_nc_u32_e32 v8, 1, v3
	s_wait_alu 0xfffd
	s_delay_alu instid0(VALU_DEP_1)
	v_cndmask_b32_e32 v15, v3, v8, vcc_lo
.LBB44_38:                              ;   in Loop: Header=BB44_22 Depth=2
	s_wait_alu 0xfffe
	s_or_b32 exec_lo, exec_lo, s2
	s_add_co_i32 s18, s26, 3
	s_add_nc_u64 s[40:41], s[0:1], s[40:41]
	s_wait_alu 0xfffe
	s_lshl_b64 s[42:43], s[18:19], 2
                                        ; implicit-def: $vgpr17_vgpr18
	s_mov_b32 s2, exec_lo
	s_wait_alu 0xfffe
	s_add_nc_u64 s[38:39], s[10:11], s[42:43]
	s_clause 0x1
	s_load_b32 s35, s[40:41], 0x6c
	s_load_b32 s38, s[38:39], 0x8
	s_wait_kmcnt 0x0
	s_ashr_i32 s39, s38, 31
	s_wait_alu 0xfffe
	v_or_b32_e32 v3, s39, v16
	s_delay_alu instid0(VALU_DEP_1)
	v_cmpx_ne_u64_e32 0, v[2:3]
	s_xor_b32 s27, exec_lo, s2
	s_cbranch_execz .LBB44_40
; %bb.39:                               ;   in Loop: Header=BB44_22 Depth=2
	s_ashr_i32 s40, s39, 31
	v_ashrrev_i32_e32 v3, 31, v16
	s_wait_alu 0xfffe
	s_mov_b32 s41, s40
	s_wait_alu 0xfffe
	s_add_nc_u64 s[44:45], s[38:39], s[40:41]
	v_add_co_u32 v5, vcc_lo, v15, v3
	s_wait_alu 0xfffe
	s_xor_b64 s[44:45], s[44:45], s[40:41]
	s_wait_alu 0xfffd
	v_add_co_ci_u32_e64 v8, null, v16, v3, vcc_lo
	s_wait_alu 0xfffe
	s_cvt_f32_u32 s2, s44
	s_cvt_f32_u32 s18, s45
	s_sub_nc_u64 s[48:49], 0, s[44:45]
	v_xor_b32_e32 v5, v5, v3
	v_xor_b32_e32 v8, v8, v3
	s_wait_alu 0xfffe
	s_fmamk_f32 s2, s18, 0x4f800000, s2
	v_xor_b32_e32 v3, s40, v3
	s_wait_alu 0xfffe
	s_delay_alu instid0(SALU_CYCLE_1) | instskip(NEXT) | instid1(TRANS32_DEP_1)
	v_s_rcp_f32 s2, s2
	s_mul_f32 s2, s2, 0x5f7ffffc
	s_wait_alu 0xfffe
	s_delay_alu instid0(SALU_CYCLE_2) | instskip(SKIP_1) | instid1(SALU_CYCLE_2)
	s_mul_f32 s18, s2, 0x2f800000
	s_wait_alu 0xfffe
	s_trunc_f32 s18, s18
	s_wait_alu 0xfffe
	s_delay_alu instid0(SALU_CYCLE_2) | instskip(SKIP_2) | instid1(SALU_CYCLE_1)
	s_fmamk_f32 s2, s18, 0xcf800000, s2
	s_cvt_u32_f32 s47, s18
	s_wait_alu 0xfffe
	s_cvt_u32_f32 s46, s2
	s_wait_alu 0xfffe
	s_delay_alu instid0(SALU_CYCLE_2)
	s_mul_u64 s[50:51], s[48:49], s[46:47]
	s_wait_alu 0xfffe
	s_mul_hi_u32 s59, s46, s51
	s_mul_i32 s58, s46, s51
	s_mul_hi_u32 s18, s46, s50
	s_mul_i32 s37, s47, s50
	s_wait_alu 0xfffe
	s_add_nc_u64 s[58:59], s[18:19], s[58:59]
	s_mul_hi_u32 s2, s47, s50
	s_mul_hi_u32 s39, s47, s51
	s_add_co_u32 s18, s58, s37
	s_wait_alu 0xfffe
	s_add_co_ci_u32 s18, s59, s2
	s_mul_i32 s50, s47, s51
	s_add_co_ci_u32 s51, s39, 0
	s_wait_alu 0xfffe
	s_add_nc_u64 s[50:51], s[18:19], s[50:51]
	s_wait_alu 0xfffe
	s_add_co_u32 s46, s46, s50
	s_cselect_b32 s2, -1, 0
	s_wait_alu 0xfffe
	s_cmp_lg_u32 s2, 0
	s_add_co_ci_u32 s47, s47, s51
	s_wait_alu 0xfffe
	s_mul_u64 s[48:49], s[48:49], s[46:47]
	s_wait_alu 0xfffe
	s_mul_hi_u32 s51, s46, s49
	s_mul_i32 s50, s46, s49
	s_mul_hi_u32 s18, s46, s48
	s_mul_i32 s37, s47, s48
	s_wait_alu 0xfffe
	s_add_nc_u64 s[50:51], s[18:19], s[50:51]
	s_mul_hi_u32 s2, s47, s48
	s_mul_hi_u32 s39, s47, s49
	s_wait_alu 0xfffe
	s_add_co_u32 s18, s50, s37
	s_add_co_ci_u32 s18, s51, s2
	s_mul_i32 s48, s47, s49
	s_add_co_ci_u32 s49, s39, 0
	s_wait_alu 0xfffe
	s_add_nc_u64 s[48:49], s[18:19], s[48:49]
	s_wait_alu 0xfffe
	s_add_co_u32 s2, s46, s48
	s_cselect_b32 s18, -1, 0
	s_wait_alu 0xfffe
	v_mul_hi_u32 v10, v5, s2
	s_cmp_lg_u32 s18, 0
	v_mad_co_u64_u32 v[18:19], null, v8, s2, 0
	s_add_co_ci_u32 s18, s47, s49
	s_wait_alu 0xfffe
	v_mad_co_u64_u32 v[16:17], null, v5, s18, 0
	v_mad_co_u64_u32 v[20:21], null, v8, s18, 0
	s_delay_alu instid0(VALU_DEP_2) | instskip(SKIP_1) | instid1(VALU_DEP_3)
	v_add_co_u32 v10, vcc_lo, v10, v16
	s_wait_alu 0xfffd
	v_add_co_ci_u32_e64 v12, null, 0, v17, vcc_lo
	s_delay_alu instid0(VALU_DEP_2) | instskip(SKIP_1) | instid1(VALU_DEP_2)
	v_add_co_u32 v10, vcc_lo, v10, v18
	s_wait_alu 0xfffd
	v_add_co_ci_u32_e32 v10, vcc_lo, v12, v19, vcc_lo
	s_wait_alu 0xfffd
	v_add_co_ci_u32_e32 v12, vcc_lo, 0, v21, vcc_lo
	s_delay_alu instid0(VALU_DEP_2) | instskip(SKIP_1) | instid1(VALU_DEP_2)
	v_add_co_u32 v10, vcc_lo, v10, v20
	s_wait_alu 0xfffd
	v_add_co_ci_u32_e64 v12, null, 0, v12, vcc_lo
	s_delay_alu instid0(VALU_DEP_2) | instskip(SKIP_1) | instid1(VALU_DEP_3)
	v_mul_lo_u32 v14, s45, v10
	v_mad_co_u64_u32 v[16:17], null, s44, v10, 0
	v_mul_lo_u32 v18, s44, v12
	s_delay_alu instid0(VALU_DEP_2) | instskip(NEXT) | instid1(VALU_DEP_2)
	v_sub_co_u32 v5, vcc_lo, v5, v16
	v_add3_u32 v14, v17, v18, v14
	s_delay_alu instid0(VALU_DEP_1) | instskip(SKIP_2) | instid1(VALU_DEP_2)
	v_sub_nc_u32_e32 v17, v8, v14
	s_wait_alu 0xfffd
	v_sub_co_ci_u32_e64 v8, null, v8, v14, vcc_lo
	v_subrev_co_ci_u32_e64 v16, null, s45, v17, vcc_lo
	v_add_co_u32 v17, s2, v10, 2
	s_wait_alu 0xf1ff
	v_add_co_ci_u32_e64 v18, null, 0, v12, s2
	v_sub_co_u32 v19, s2, v5, s44
	s_wait_alu 0xf1ff
	v_subrev_co_ci_u32_e64 v16, null, 0, v16, s2
	s_delay_alu instid0(VALU_DEP_2) | instskip(SKIP_2) | instid1(VALU_DEP_3)
	v_cmp_le_u32_e32 vcc_lo, s44, v19
	s_wait_alu 0xfffd
	v_cndmask_b32_e64 v14, 0, -1, vcc_lo
	v_cmp_le_u32_e32 vcc_lo, s45, v16
	s_wait_alu 0xfffd
	v_cndmask_b32_e64 v19, 0, -1, vcc_lo
	;; [unrolled: 3-line block ×4, first 2 shown]
	v_cmp_eq_u32_e32 vcc_lo, s45, v16
	s_wait_alu 0xfffd
	v_cndmask_b32_e32 v14, v19, v14, vcc_lo
	v_add_co_u32 v16, vcc_lo, v10, 1
	s_wait_alu 0xfffd
	v_add_co_ci_u32_e64 v19, null, 0, v12, vcc_lo
	v_cmp_eq_u32_e32 vcc_lo, s45, v8
	s_wait_alu 0xfffd
	v_cndmask_b32_e32 v5, v20, v5, vcc_lo
	v_cmp_ne_u32_e32 vcc_lo, 0, v14
	s_delay_alu instid0(VALU_DEP_2) | instskip(SKIP_3) | instid1(VALU_DEP_1)
	v_cmp_ne_u32_e64 s2, 0, v5
	s_wait_alu 0xfffd
	v_dual_cndmask_b32 v8, v19, v18 :: v_dual_cndmask_b32 v5, v16, v17
	s_wait_alu 0xf1ff
	v_cndmask_b32_e64 v8, v12, v8, s2
	s_delay_alu instid0(VALU_DEP_2) | instskip(NEXT) | instid1(VALU_DEP_2)
	v_cndmask_b32_e64 v5, v10, v5, s2
	v_xor_b32_e32 v8, v8, v3
	s_delay_alu instid0(VALU_DEP_2) | instskip(NEXT) | instid1(VALU_DEP_1)
	v_xor_b32_e32 v5, v5, v3
	v_sub_co_u32 v17, vcc_lo, v5, v3
	s_wait_alu 0xfffd
	s_delay_alu instid0(VALU_DEP_3)
	v_sub_co_ci_u32_e64 v18, null, v8, v3, vcc_lo
.LBB44_40:                              ;   in Loop: Header=BB44_22 Depth=2
	s_wait_alu 0xfffe
	s_and_not1_saveexec_b32 s2, s27
	s_cbranch_execz .LBB44_42
; %bb.41:                               ;   in Loop: Header=BB44_22 Depth=2
	v_cvt_f32_u32_e32 v3, s38
	s_sub_co_i32 s18, 0, s38
	v_mov_b32_e32 v18, v2
	s_delay_alu instid0(VALU_DEP_2) | instskip(NEXT) | instid1(TRANS32_DEP_1)
	v_rcp_iflag_f32_e32 v3, v3
	v_mul_f32_e32 v3, 0x4f7ffffe, v3
	s_delay_alu instid0(VALU_DEP_1) | instskip(SKIP_1) | instid1(VALU_DEP_1)
	v_cvt_u32_f32_e32 v3, v3
	s_wait_alu 0xfffe
	v_mul_lo_u32 v5, s18, v3
	s_delay_alu instid0(VALU_DEP_1) | instskip(NEXT) | instid1(VALU_DEP_1)
	v_mul_hi_u32 v5, v3, v5
	v_add_nc_u32_e32 v3, v3, v5
	s_delay_alu instid0(VALU_DEP_1) | instskip(NEXT) | instid1(VALU_DEP_1)
	v_mul_hi_u32 v3, v15, v3
	v_mul_lo_u32 v5, v3, s38
	s_delay_alu instid0(VALU_DEP_1) | instskip(NEXT) | instid1(VALU_DEP_1)
	v_sub_nc_u32_e32 v5, v15, v5
	v_subrev_nc_u32_e32 v10, s38, v5
	v_cmp_le_u32_e32 vcc_lo, s38, v5
	s_wait_alu 0xfffd
	s_delay_alu instid0(VALU_DEP_2) | instskip(NEXT) | instid1(VALU_DEP_1)
	v_dual_cndmask_b32 v5, v5, v10 :: v_dual_add_nc_u32 v8, 1, v3
	v_cndmask_b32_e32 v3, v3, v8, vcc_lo
	s_delay_alu instid0(VALU_DEP_2) | instskip(NEXT) | instid1(VALU_DEP_2)
	v_cmp_le_u32_e32 vcc_lo, s38, v5
	v_add_nc_u32_e32 v8, 1, v3
	s_wait_alu 0xfffd
	s_delay_alu instid0(VALU_DEP_1)
	v_cndmask_b32_e32 v17, v3, v8, vcc_lo
.LBB44_42:                              ;   in Loop: Header=BB44_22 Depth=2
	s_wait_alu 0xfffe
	s_or_b32 exec_lo, exec_lo, s2
	s_add_co_i32 s18, s26, 2
	s_add_nc_u64 s[42:43], s[0:1], s[42:43]
	s_wait_alu 0xfffe
	s_lshl_b64 s[44:45], s[18:19], 2
                                        ; implicit-def: $vgpr19_vgpr20
	s_mov_b32 s2, exec_lo
	s_wait_alu 0xfffe
	s_add_nc_u64 s[40:41], s[10:11], s[44:45]
	s_clause 0x1
	s_load_b32 s37, s[42:43], 0x6c
	s_load_b32 s40, s[40:41], 0x8
	s_wait_kmcnt 0x0
	s_ashr_i32 s41, s40, 31
	s_wait_alu 0xfffe
	v_or_b32_e32 v3, s41, v18
	s_delay_alu instid0(VALU_DEP_1)
	v_cmpx_ne_u64_e32 0, v[2:3]
	s_xor_b32 s27, exec_lo, s2
	s_cbranch_execz .LBB44_44
; %bb.43:                               ;   in Loop: Header=BB44_22 Depth=2
	s_ashr_i32 s42, s41, 31
	v_ashrrev_i32_e32 v3, 31, v18
	s_wait_alu 0xfffe
	s_mov_b32 s43, s42
	s_wait_alu 0xfffe
	s_add_nc_u64 s[46:47], s[40:41], s[42:43]
	v_add_co_u32 v5, vcc_lo, v17, v3
	s_wait_alu 0xfffe
	s_xor_b64 s[46:47], s[46:47], s[42:43]
	s_wait_alu 0xfffd
	v_add_co_ci_u32_e64 v8, null, v18, v3, vcc_lo
	s_wait_alu 0xfffe
	s_cvt_f32_u32 s2, s46
	s_cvt_f32_u32 s18, s47
	s_sub_nc_u64 s[50:51], 0, s[46:47]
	v_xor_b32_e32 v5, v5, v3
	v_xor_b32_e32 v8, v8, v3
	s_wait_alu 0xfffe
	s_fmamk_f32 s2, s18, 0x4f800000, s2
	v_xor_b32_e32 v3, s42, v3
	s_wait_alu 0xfffe
	s_delay_alu instid0(SALU_CYCLE_1) | instskip(NEXT) | instid1(TRANS32_DEP_1)
	v_s_rcp_f32 s2, s2
	s_mul_f32 s2, s2, 0x5f7ffffc
	s_wait_alu 0xfffe
	s_delay_alu instid0(SALU_CYCLE_2) | instskip(SKIP_1) | instid1(SALU_CYCLE_2)
	s_mul_f32 s18, s2, 0x2f800000
	s_wait_alu 0xfffe
	s_trunc_f32 s18, s18
	s_wait_alu 0xfffe
	s_delay_alu instid0(SALU_CYCLE_2) | instskip(SKIP_2) | instid1(SALU_CYCLE_1)
	s_fmamk_f32 s2, s18, 0xcf800000, s2
	s_cvt_u32_f32 s49, s18
	s_wait_alu 0xfffe
	s_cvt_u32_f32 s48, s2
	s_wait_alu 0xfffe
	s_delay_alu instid0(SALU_CYCLE_2) | instskip(NEXT) | instid1(SALU_CYCLE_1)
	s_mul_u64 s[58:59], s[50:51], s[48:49]
	s_mul_hi_u32 s61, s48, s59
	s_mul_i32 s60, s48, s59
	s_mul_hi_u32 s18, s48, s58
	s_mul_i32 s39, s49, s58
	s_wait_alu 0xfffe
	s_add_nc_u64 s[60:61], s[18:19], s[60:61]
	s_mul_hi_u32 s2, s49, s58
	s_mul_hi_u32 s41, s49, s59
	s_add_co_u32 s18, s60, s39
	s_wait_alu 0xfffe
	s_add_co_ci_u32 s18, s61, s2
	s_mul_i32 s58, s49, s59
	s_add_co_ci_u32 s59, s41, 0
	s_wait_alu 0xfffe
	s_add_nc_u64 s[58:59], s[18:19], s[58:59]
	s_delay_alu instid0(SALU_CYCLE_1)
	s_add_co_u32 s48, s48, s58
	s_cselect_b32 s2, -1, 0
	s_wait_alu 0xfffe
	s_cmp_lg_u32 s2, 0
	s_add_co_ci_u32 s49, s49, s59
	s_wait_alu 0xfffe
	s_mul_u64 s[50:51], s[50:51], s[48:49]
	s_wait_alu 0xfffe
	s_mul_hi_u32 s59, s48, s51
	s_mul_i32 s58, s48, s51
	s_mul_hi_u32 s18, s48, s50
	s_mul_i32 s39, s49, s50
	s_wait_alu 0xfffe
	s_add_nc_u64 s[58:59], s[18:19], s[58:59]
	s_mul_hi_u32 s2, s49, s50
	s_mul_hi_u32 s41, s49, s51
	s_add_co_u32 s18, s58, s39
	s_wait_alu 0xfffe
	s_add_co_ci_u32 s18, s59, s2
	s_mul_i32 s50, s49, s51
	s_add_co_ci_u32 s51, s41, 0
	s_wait_alu 0xfffe
	s_add_nc_u64 s[50:51], s[18:19], s[50:51]
	s_wait_alu 0xfffe
	s_add_co_u32 s2, s48, s50
	s_cselect_b32 s18, -1, 0
	s_wait_alu 0xfffe
	v_mul_hi_u32 v10, v5, s2
	s_cmp_lg_u32 s18, 0
	v_mad_co_u64_u32 v[20:21], null, v8, s2, 0
	s_add_co_ci_u32 s18, s49, s51
	s_wait_alu 0xfffe
	v_mad_co_u64_u32 v[18:19], null, v5, s18, 0
	v_mad_co_u64_u32 v[22:23], null, v8, s18, 0
	s_delay_alu instid0(VALU_DEP_2) | instskip(SKIP_1) | instid1(VALU_DEP_3)
	v_add_co_u32 v10, vcc_lo, v10, v18
	s_wait_alu 0xfffd
	v_add_co_ci_u32_e64 v12, null, 0, v19, vcc_lo
	s_delay_alu instid0(VALU_DEP_2) | instskip(SKIP_1) | instid1(VALU_DEP_2)
	v_add_co_u32 v10, vcc_lo, v10, v20
	s_wait_alu 0xfffd
	v_add_co_ci_u32_e32 v10, vcc_lo, v12, v21, vcc_lo
	s_wait_alu 0xfffd
	v_add_co_ci_u32_e32 v12, vcc_lo, 0, v23, vcc_lo
	s_delay_alu instid0(VALU_DEP_2) | instskip(SKIP_1) | instid1(VALU_DEP_2)
	v_add_co_u32 v10, vcc_lo, v10, v22
	s_wait_alu 0xfffd
	v_add_co_ci_u32_e64 v12, null, 0, v12, vcc_lo
	s_delay_alu instid0(VALU_DEP_2) | instskip(SKIP_1) | instid1(VALU_DEP_3)
	v_mul_lo_u32 v14, s47, v10
	v_mad_co_u64_u32 v[18:19], null, s46, v10, 0
	v_mul_lo_u32 v16, s46, v12
	s_delay_alu instid0(VALU_DEP_2) | instskip(NEXT) | instid1(VALU_DEP_2)
	v_sub_co_u32 v5, vcc_lo, v5, v18
	v_add3_u32 v14, v19, v16, v14
	v_add_co_u32 v18, s2, v10, 2
	s_wait_alu 0xf1ff
	v_add_co_ci_u32_e64 v19, null, 0, v12, s2
	s_delay_alu instid0(VALU_DEP_3) | instskip(SKIP_3) | instid1(VALU_DEP_3)
	v_sub_nc_u32_e32 v16, v8, v14
	v_sub_co_u32 v20, s2, v5, s46
	s_wait_alu 0xfffd
	v_sub_co_ci_u32_e64 v8, null, v8, v14, vcc_lo
	v_subrev_co_ci_u32_e64 v16, null, s47, v16, vcc_lo
	s_delay_alu instid0(VALU_DEP_3) | instskip(SKIP_1) | instid1(VALU_DEP_2)
	v_cmp_le_u32_e32 vcc_lo, s46, v20
	s_wait_alu 0xf1ff
	v_subrev_co_ci_u32_e64 v16, null, 0, v16, s2
	s_wait_alu 0xfffd
	v_cndmask_b32_e64 v14, 0, -1, vcc_lo
	s_delay_alu instid0(VALU_DEP_2)
	v_cmp_le_u32_e32 vcc_lo, s47, v16
	s_wait_alu 0xfffd
	v_cndmask_b32_e64 v20, 0, -1, vcc_lo
	v_cmp_le_u32_e32 vcc_lo, s46, v5
	s_wait_alu 0xfffd
	v_cndmask_b32_e64 v5, 0, -1, vcc_lo
	;; [unrolled: 3-line block ×3, first 2 shown]
	v_cmp_eq_u32_e32 vcc_lo, s47, v16
	s_wait_alu 0xfffd
	v_cndmask_b32_e32 v14, v20, v14, vcc_lo
	v_add_co_u32 v16, vcc_lo, v10, 1
	s_wait_alu 0xfffd
	v_add_co_ci_u32_e64 v20, null, 0, v12, vcc_lo
	v_cmp_eq_u32_e32 vcc_lo, s47, v8
	s_wait_alu 0xfffd
	v_cndmask_b32_e32 v5, v21, v5, vcc_lo
	v_cmp_ne_u32_e32 vcc_lo, 0, v14
	s_delay_alu instid0(VALU_DEP_2) | instskip(SKIP_4) | instid1(VALU_DEP_2)
	v_cmp_ne_u32_e64 s2, 0, v5
	s_wait_alu 0xfffd
	v_cndmask_b32_e32 v5, v16, v18, vcc_lo
	v_cndmask_b32_e32 v8, v20, v19, vcc_lo
	s_wait_alu 0xf1ff
	v_cndmask_b32_e64 v5, v10, v5, s2
	s_delay_alu instid0(VALU_DEP_2) | instskip(NEXT) | instid1(VALU_DEP_2)
	v_cndmask_b32_e64 v8, v12, v8, s2
	v_xor_b32_e32 v5, v5, v3
	s_delay_alu instid0(VALU_DEP_2) | instskip(NEXT) | instid1(VALU_DEP_2)
	v_xor_b32_e32 v8, v8, v3
	v_sub_co_u32 v19, vcc_lo, v5, v3
	s_wait_alu 0xfffd
	s_delay_alu instid0(VALU_DEP_2)
	v_sub_co_ci_u32_e64 v20, null, v8, v3, vcc_lo
.LBB44_44:                              ;   in Loop: Header=BB44_22 Depth=2
	s_wait_alu 0xfffe
	s_and_not1_saveexec_b32 s2, s27
	s_cbranch_execz .LBB44_46
; %bb.45:                               ;   in Loop: Header=BB44_22 Depth=2
	v_cvt_f32_u32_e32 v3, s40
	s_sub_co_i32 s18, 0, s40
	v_mov_b32_e32 v20, v2
	s_delay_alu instid0(VALU_DEP_2) | instskip(NEXT) | instid1(TRANS32_DEP_1)
	v_rcp_iflag_f32_e32 v3, v3
	v_mul_f32_e32 v3, 0x4f7ffffe, v3
	s_delay_alu instid0(VALU_DEP_1) | instskip(SKIP_1) | instid1(VALU_DEP_1)
	v_cvt_u32_f32_e32 v3, v3
	s_wait_alu 0xfffe
	v_mul_lo_u32 v5, s18, v3
	s_delay_alu instid0(VALU_DEP_1) | instskip(NEXT) | instid1(VALU_DEP_1)
	v_mul_hi_u32 v5, v3, v5
	v_add_nc_u32_e32 v3, v3, v5
	s_delay_alu instid0(VALU_DEP_1) | instskip(NEXT) | instid1(VALU_DEP_1)
	v_mul_hi_u32 v3, v17, v3
	v_mul_lo_u32 v5, v3, s40
	s_delay_alu instid0(VALU_DEP_1) | instskip(NEXT) | instid1(VALU_DEP_1)
	v_sub_nc_u32_e32 v5, v17, v5
	v_subrev_nc_u32_e32 v10, s40, v5
	v_cmp_le_u32_e32 vcc_lo, s40, v5
	s_wait_alu 0xfffd
	s_delay_alu instid0(VALU_DEP_2) | instskip(NEXT) | instid1(VALU_DEP_1)
	v_dual_cndmask_b32 v5, v5, v10 :: v_dual_add_nc_u32 v8, 1, v3
	v_cndmask_b32_e32 v3, v3, v8, vcc_lo
	s_delay_alu instid0(VALU_DEP_2) | instskip(NEXT) | instid1(VALU_DEP_2)
	v_cmp_le_u32_e32 vcc_lo, s40, v5
	v_add_nc_u32_e32 v8, 1, v3
	s_wait_alu 0xfffd
	s_delay_alu instid0(VALU_DEP_1)
	v_cndmask_b32_e32 v19, v3, v8, vcc_lo
.LBB44_46:                              ;   in Loop: Header=BB44_22 Depth=2
	s_wait_alu 0xfffe
	s_or_b32 exec_lo, exec_lo, s2
	s_add_co_i32 s18, s26, 1
	s_add_nc_u64 s[44:45], s[0:1], s[44:45]
	s_wait_alu 0xfffe
	s_lshl_b64 s[48:49], s[18:19], 2
                                        ; implicit-def: $vgpr21_vgpr22
	s_mov_b32 s2, exec_lo
	s_wait_alu 0xfffe
	s_add_nc_u64 s[42:43], s[10:11], s[48:49]
	s_clause 0x1
	s_load_b32 s39, s[44:45], 0x6c
	s_load_b32 s42, s[42:43], 0x8
	s_wait_kmcnt 0x0
	s_ashr_i32 s43, s42, 31
	s_wait_alu 0xfffe
	v_or_b32_e32 v3, s43, v20
	s_delay_alu instid0(VALU_DEP_1)
	v_cmpx_ne_u64_e32 0, v[2:3]
	s_xor_b32 s27, exec_lo, s2
	s_cbranch_execz .LBB44_48
; %bb.47:                               ;   in Loop: Header=BB44_22 Depth=2
	s_ashr_i32 s44, s43, 31
	v_ashrrev_i32_e32 v3, 31, v20
	s_wait_alu 0xfffe
	s_mov_b32 s45, s44
	s_wait_alu 0xfffe
	s_add_nc_u64 s[46:47], s[42:43], s[44:45]
	v_add_co_u32 v5, vcc_lo, v19, v3
	s_wait_alu 0xfffe
	s_xor_b64 s[46:47], s[46:47], s[44:45]
	s_wait_alu 0xfffd
	v_add_co_ci_u32_e64 v8, null, v20, v3, vcc_lo
	s_wait_alu 0xfffe
	s_cvt_f32_u32 s2, s46
	s_cvt_f32_u32 s18, s47
	s_sub_nc_u64 s[58:59], 0, s[46:47]
	v_xor_b32_e32 v5, v5, v3
	v_xor_b32_e32 v8, v8, v3
	s_wait_alu 0xfffe
	s_fmamk_f32 s2, s18, 0x4f800000, s2
	v_xor_b32_e32 v3, s44, v3
	s_wait_alu 0xfffe
	s_delay_alu instid0(SALU_CYCLE_1) | instskip(NEXT) | instid1(TRANS32_DEP_1)
	v_s_rcp_f32 s2, s2
	s_mul_f32 s2, s2, 0x5f7ffffc
	s_wait_alu 0xfffe
	s_delay_alu instid0(SALU_CYCLE_2) | instskip(SKIP_1) | instid1(SALU_CYCLE_2)
	s_mul_f32 s18, s2, 0x2f800000
	s_wait_alu 0xfffe
	s_trunc_f32 s18, s18
	s_wait_alu 0xfffe
	s_delay_alu instid0(SALU_CYCLE_2) | instskip(SKIP_2) | instid1(SALU_CYCLE_1)
	s_fmamk_f32 s2, s18, 0xcf800000, s2
	s_cvt_u32_f32 s51, s18
	s_wait_alu 0xfffe
	s_cvt_u32_f32 s50, s2
	s_wait_alu 0xfffe
	s_delay_alu instid0(SALU_CYCLE_2) | instskip(NEXT) | instid1(SALU_CYCLE_1)
	s_mul_u64 s[60:61], s[58:59], s[50:51]
	s_mul_hi_u32 s63, s50, s61
	s_mul_i32 s62, s50, s61
	s_mul_hi_u32 s18, s50, s60
	s_mul_i32 s41, s51, s60
	s_wait_alu 0xfffe
	s_add_nc_u64 s[62:63], s[18:19], s[62:63]
	s_mul_hi_u32 s2, s51, s60
	s_mul_hi_u32 s43, s51, s61
	s_add_co_u32 s18, s62, s41
	s_wait_alu 0xfffe
	s_add_co_ci_u32 s18, s63, s2
	s_mul_i32 s60, s51, s61
	s_add_co_ci_u32 s61, s43, 0
	s_wait_alu 0xfffe
	s_add_nc_u64 s[60:61], s[18:19], s[60:61]
	s_delay_alu instid0(SALU_CYCLE_1)
	s_add_co_u32 s50, s50, s60
	s_cselect_b32 s2, -1, 0
	s_wait_alu 0xfffe
	s_cmp_lg_u32 s2, 0
	s_add_co_ci_u32 s51, s51, s61
	s_wait_alu 0xfffe
	s_mul_u64 s[58:59], s[58:59], s[50:51]
	s_delay_alu instid0(SALU_CYCLE_1)
	s_mul_hi_u32 s61, s50, s59
	s_mul_i32 s60, s50, s59
	s_mul_hi_u32 s18, s50, s58
	s_mul_i32 s41, s51, s58
	s_wait_alu 0xfffe
	s_add_nc_u64 s[60:61], s[18:19], s[60:61]
	s_mul_hi_u32 s2, s51, s58
	s_mul_hi_u32 s43, s51, s59
	s_add_co_u32 s18, s60, s41
	s_wait_alu 0xfffe
	s_add_co_ci_u32 s18, s61, s2
	s_mul_i32 s58, s51, s59
	s_add_co_ci_u32 s59, s43, 0
	s_wait_alu 0xfffe
	s_add_nc_u64 s[58:59], s[18:19], s[58:59]
	s_delay_alu instid0(SALU_CYCLE_1)
	s_add_co_u32 s2, s50, s58
	s_cselect_b32 s18, -1, 0
	s_wait_alu 0xfffe
	v_mul_hi_u32 v10, v5, s2
	s_cmp_lg_u32 s18, 0
	v_mad_co_u64_u32 v[22:23], null, v8, s2, 0
	s_add_co_ci_u32 s18, s51, s59
	s_wait_alu 0xfffe
	v_mad_co_u64_u32 v[20:21], null, v5, s18, 0
	v_mad_co_u64_u32 v[29:30], null, v8, s18, 0
	s_delay_alu instid0(VALU_DEP_2) | instskip(SKIP_1) | instid1(VALU_DEP_3)
	v_add_co_u32 v10, vcc_lo, v10, v20
	s_wait_alu 0xfffd
	v_add_co_ci_u32_e64 v12, null, 0, v21, vcc_lo
	s_delay_alu instid0(VALU_DEP_2) | instskip(SKIP_1) | instid1(VALU_DEP_2)
	v_add_co_u32 v10, vcc_lo, v10, v22
	s_wait_alu 0xfffd
	v_add_co_ci_u32_e32 v10, vcc_lo, v12, v23, vcc_lo
	s_wait_alu 0xfffd
	v_add_co_ci_u32_e32 v12, vcc_lo, 0, v30, vcc_lo
	s_delay_alu instid0(VALU_DEP_2) | instskip(SKIP_1) | instid1(VALU_DEP_2)
	v_add_co_u32 v10, vcc_lo, v10, v29
	s_wait_alu 0xfffd
	v_add_co_ci_u32_e64 v12, null, 0, v12, vcc_lo
	s_delay_alu instid0(VALU_DEP_2) | instskip(SKIP_1) | instid1(VALU_DEP_3)
	v_mul_lo_u32 v14, s47, v10
	v_mad_co_u64_u32 v[20:21], null, s46, v10, 0
	v_mul_lo_u32 v16, s46, v12
	v_add_co_u32 v18, s2, v10, 2
	s_delay_alu instid0(VALU_DEP_3) | instskip(NEXT) | instid1(VALU_DEP_3)
	v_sub_co_u32 v5, vcc_lo, v5, v20
	v_add3_u32 v14, v21, v16, v14
	s_wait_alu 0xf1ff
	v_add_co_ci_u32_e64 v20, null, 0, v12, s2
	s_delay_alu instid0(VALU_DEP_3) | instskip(NEXT) | instid1(VALU_DEP_3)
	v_sub_co_u32 v21, s2, v5, s46
	v_sub_nc_u32_e32 v16, v8, v14
	s_wait_alu 0xfffd
	v_sub_co_ci_u32_e64 v8, null, v8, v14, vcc_lo
	s_delay_alu instid0(VALU_DEP_2) | instskip(SKIP_2) | instid1(VALU_DEP_2)
	v_subrev_co_ci_u32_e64 v16, null, s47, v16, vcc_lo
	v_cmp_le_u32_e32 vcc_lo, s46, v21
	s_wait_alu 0xf1ff
	v_subrev_co_ci_u32_e64 v16, null, 0, v16, s2
	s_wait_alu 0xfffd
	v_cndmask_b32_e64 v14, 0, -1, vcc_lo
	s_delay_alu instid0(VALU_DEP_2)
	v_cmp_le_u32_e32 vcc_lo, s47, v16
	s_wait_alu 0xfffd
	v_cndmask_b32_e64 v21, 0, -1, vcc_lo
	v_cmp_le_u32_e32 vcc_lo, s46, v5
	s_wait_alu 0xfffd
	v_cndmask_b32_e64 v5, 0, -1, vcc_lo
	;; [unrolled: 3-line block ×3, first 2 shown]
	v_cmp_eq_u32_e32 vcc_lo, s47, v16
	s_wait_alu 0xfffd
	v_cndmask_b32_e32 v14, v21, v14, vcc_lo
	v_add_co_u32 v16, vcc_lo, v10, 1
	s_wait_alu 0xfffd
	v_add_co_ci_u32_e64 v21, null, 0, v12, vcc_lo
	v_cmp_eq_u32_e32 vcc_lo, s47, v8
	s_wait_alu 0xfffd
	v_cndmask_b32_e32 v5, v22, v5, vcc_lo
	v_cmp_ne_u32_e32 vcc_lo, 0, v14
	s_delay_alu instid0(VALU_DEP_2) | instskip(SKIP_3) | instid1(VALU_DEP_1)
	v_cmp_ne_u32_e64 s2, 0, v5
	s_wait_alu 0xfffd
	v_dual_cndmask_b32 v8, v21, v20 :: v_dual_cndmask_b32 v5, v16, v18
	s_wait_alu 0xf1ff
	v_cndmask_b32_e64 v8, v12, v8, s2
	s_delay_alu instid0(VALU_DEP_2) | instskip(NEXT) | instid1(VALU_DEP_2)
	v_cndmask_b32_e64 v5, v10, v5, s2
	v_xor_b32_e32 v8, v8, v3
	s_delay_alu instid0(VALU_DEP_2) | instskip(NEXT) | instid1(VALU_DEP_1)
	v_xor_b32_e32 v5, v5, v3
	v_sub_co_u32 v21, vcc_lo, v5, v3
	s_wait_alu 0xfffd
	s_delay_alu instid0(VALU_DEP_3)
	v_sub_co_ci_u32_e64 v22, null, v8, v3, vcc_lo
.LBB44_48:                              ;   in Loop: Header=BB44_22 Depth=2
	s_wait_alu 0xfffe
	s_and_not1_saveexec_b32 s2, s27
	s_cbranch_execz .LBB44_50
; %bb.49:                               ;   in Loop: Header=BB44_22 Depth=2
	v_cvt_f32_u32_e32 v3, s42
	s_sub_co_i32 s18, 0, s42
	v_mov_b32_e32 v22, v2
	s_delay_alu instid0(VALU_DEP_2) | instskip(NEXT) | instid1(TRANS32_DEP_1)
	v_rcp_iflag_f32_e32 v3, v3
	v_mul_f32_e32 v3, 0x4f7ffffe, v3
	s_delay_alu instid0(VALU_DEP_1) | instskip(SKIP_1) | instid1(VALU_DEP_1)
	v_cvt_u32_f32_e32 v3, v3
	s_wait_alu 0xfffe
	v_mul_lo_u32 v5, s18, v3
	s_delay_alu instid0(VALU_DEP_1) | instskip(NEXT) | instid1(VALU_DEP_1)
	v_mul_hi_u32 v5, v3, v5
	v_add_nc_u32_e32 v3, v3, v5
	s_delay_alu instid0(VALU_DEP_1) | instskip(NEXT) | instid1(VALU_DEP_1)
	v_mul_hi_u32 v3, v19, v3
	v_mul_lo_u32 v5, v3, s42
	s_delay_alu instid0(VALU_DEP_1) | instskip(NEXT) | instid1(VALU_DEP_1)
	v_sub_nc_u32_e32 v5, v19, v5
	v_subrev_nc_u32_e32 v10, s42, v5
	v_cmp_le_u32_e32 vcc_lo, s42, v5
	s_wait_alu 0xfffd
	s_delay_alu instid0(VALU_DEP_2) | instskip(NEXT) | instid1(VALU_DEP_1)
	v_dual_cndmask_b32 v5, v5, v10 :: v_dual_add_nc_u32 v8, 1, v3
	v_cndmask_b32_e32 v3, v3, v8, vcc_lo
	s_delay_alu instid0(VALU_DEP_2) | instskip(NEXT) | instid1(VALU_DEP_2)
	v_cmp_le_u32_e32 vcc_lo, s42, v5
	v_add_nc_u32_e32 v8, 1, v3
	s_wait_alu 0xfffd
	s_delay_alu instid0(VALU_DEP_1)
	v_cndmask_b32_e32 v21, v3, v8, vcc_lo
.LBB44_50:                              ;   in Loop: Header=BB44_22 Depth=2
	s_wait_alu 0xfffe
	s_or_b32 exec_lo, exec_lo, s2
	s_mov_b32 s27, s19
	s_add_nc_u64 s[48:49], s[0:1], s[48:49]
	s_wait_alu 0xfffe
	s_lshl_b64 s[46:47], s[26:27], 2
                                        ; implicit-def: $vgpr23_vgpr24
	s_mov_b32 s2, exec_lo
	s_wait_alu 0xfffe
	s_add_nc_u64 s[44:45], s[10:11], s[46:47]
	s_clause 0x1
	s_load_b32 s27, s[48:49], 0x6c
	s_load_b32 s44, s[44:45], 0x8
	s_wait_kmcnt 0x0
	s_ashr_i32 s45, s44, 31
	s_wait_alu 0xfffe
	v_or_b32_e32 v3, s45, v22
	s_delay_alu instid0(VALU_DEP_1)
	v_cmpx_ne_u64_e32 0, v[2:3]
	s_xor_b32 s41, exec_lo, s2
	s_cbranch_execz .LBB44_52
; %bb.51:                               ;   in Loop: Header=BB44_22 Depth=2
	s_ashr_i32 s48, s45, 31
	v_ashrrev_i32_e32 v3, 31, v22
	s_wait_alu 0xfffe
	s_mov_b32 s49, s48
	s_wait_alu 0xfffe
	s_add_nc_u64 s[50:51], s[44:45], s[48:49]
	v_add_co_u32 v5, vcc_lo, v21, v3
	s_wait_alu 0xfffe
	s_xor_b64 s[50:51], s[50:51], s[48:49]
	s_wait_alu 0xfffd
	v_add_co_ci_u32_e64 v8, null, v22, v3, vcc_lo
	s_wait_alu 0xfffe
	s_cvt_f32_u32 s2, s50
	s_cvt_f32_u32 s18, s51
	s_sub_nc_u64 s[60:61], 0, s[50:51]
	v_xor_b32_e32 v5, v5, v3
	v_xor_b32_e32 v8, v8, v3
	s_wait_alu 0xfffe
	s_fmamk_f32 s2, s18, 0x4f800000, s2
	v_xor_b32_e32 v3, s48, v3
	s_wait_alu 0xfffe
	s_delay_alu instid0(SALU_CYCLE_1) | instskip(NEXT) | instid1(TRANS32_DEP_1)
	v_s_rcp_f32 s2, s2
	s_mul_f32 s2, s2, 0x5f7ffffc
	s_wait_alu 0xfffe
	s_delay_alu instid0(SALU_CYCLE_2) | instskip(SKIP_1) | instid1(SALU_CYCLE_2)
	s_mul_f32 s18, s2, 0x2f800000
	s_wait_alu 0xfffe
	s_trunc_f32 s18, s18
	s_wait_alu 0xfffe
	s_delay_alu instid0(SALU_CYCLE_2) | instskip(SKIP_2) | instid1(SALU_CYCLE_1)
	s_fmamk_f32 s2, s18, 0xcf800000, s2
	s_cvt_u32_f32 s59, s18
	s_wait_alu 0xfffe
	s_cvt_u32_f32 s58, s2
	s_delay_alu instid0(SALU_CYCLE_3) | instskip(NEXT) | instid1(SALU_CYCLE_1)
	s_mul_u64 s[62:63], s[60:61], s[58:59]
	s_mul_hi_u32 s65, s58, s63
	s_mul_i32 s64, s58, s63
	s_mul_hi_u32 s18, s58, s62
	s_mul_i32 s43, s59, s62
	s_wait_alu 0xfffe
	s_add_nc_u64 s[64:65], s[18:19], s[64:65]
	s_mul_hi_u32 s2, s59, s62
	s_mul_hi_u32 s45, s59, s63
	s_add_co_u32 s18, s64, s43
	s_wait_alu 0xfffe
	s_add_co_ci_u32 s18, s65, s2
	s_mul_i32 s62, s59, s63
	s_add_co_ci_u32 s63, s45, 0
	s_wait_alu 0xfffe
	s_add_nc_u64 s[62:63], s[18:19], s[62:63]
	s_delay_alu instid0(SALU_CYCLE_1) | instskip(SKIP_4) | instid1(SALU_CYCLE_1)
	s_add_co_u32 s58, s58, s62
	s_cselect_b32 s2, -1, 0
	s_wait_alu 0xfffe
	s_cmp_lg_u32 s2, 0
	s_add_co_ci_u32 s59, s59, s63
	s_mul_u64 s[60:61], s[60:61], s[58:59]
	s_delay_alu instid0(SALU_CYCLE_1)
	s_mul_hi_u32 s63, s58, s61
	s_mul_i32 s62, s58, s61
	s_mul_hi_u32 s18, s58, s60
	s_mul_i32 s43, s59, s60
	s_wait_alu 0xfffe
	s_add_nc_u64 s[62:63], s[18:19], s[62:63]
	s_mul_hi_u32 s2, s59, s60
	s_mul_hi_u32 s45, s59, s61
	s_add_co_u32 s18, s62, s43
	s_wait_alu 0xfffe
	s_add_co_ci_u32 s18, s63, s2
	s_mul_i32 s60, s59, s61
	s_add_co_ci_u32 s61, s45, 0
	s_wait_alu 0xfffe
	s_add_nc_u64 s[60:61], s[18:19], s[60:61]
	s_delay_alu instid0(SALU_CYCLE_1)
	s_add_co_u32 s2, s58, s60
	s_cselect_b32 s18, -1, 0
	s_wait_alu 0xfffe
	v_mul_hi_u32 v10, v5, s2
	s_cmp_lg_u32 s18, 0
	v_mad_co_u64_u32 v[29:30], null, v8, s2, 0
	s_add_co_ci_u32 s18, s59, s61
	s_wait_alu 0xfffe
	v_mad_co_u64_u32 v[22:23], null, v5, s18, 0
	v_mad_co_u64_u32 v[31:32], null, v8, s18, 0
	s_delay_alu instid0(VALU_DEP_2) | instskip(SKIP_1) | instid1(VALU_DEP_3)
	v_add_co_u32 v10, vcc_lo, v10, v22
	s_wait_alu 0xfffd
	v_add_co_ci_u32_e64 v12, null, 0, v23, vcc_lo
	s_delay_alu instid0(VALU_DEP_2) | instskip(SKIP_1) | instid1(VALU_DEP_2)
	v_add_co_u32 v10, vcc_lo, v10, v29
	s_wait_alu 0xfffd
	v_add_co_ci_u32_e32 v10, vcc_lo, v12, v30, vcc_lo
	s_wait_alu 0xfffd
	v_add_co_ci_u32_e32 v12, vcc_lo, 0, v32, vcc_lo
	s_delay_alu instid0(VALU_DEP_2) | instskip(SKIP_1) | instid1(VALU_DEP_2)
	v_add_co_u32 v10, vcc_lo, v10, v31
	s_wait_alu 0xfffd
	v_add_co_ci_u32_e64 v12, null, 0, v12, vcc_lo
	s_delay_alu instid0(VALU_DEP_2) | instskip(SKIP_1) | instid1(VALU_DEP_3)
	v_mul_lo_u32 v14, s51, v10
	v_mad_co_u64_u32 v[22:23], null, s50, v10, 0
	v_mul_lo_u32 v16, s50, v12
	v_add_co_u32 v18, s2, v10, 2
	s_wait_alu 0xf1ff
	v_add_co_ci_u32_e64 v20, null, 0, v12, s2
	s_delay_alu instid0(VALU_DEP_4) | instskip(NEXT) | instid1(VALU_DEP_4)
	v_sub_co_u32 v5, vcc_lo, v5, v22
	v_add3_u32 v14, v23, v16, v14
	s_delay_alu instid0(VALU_DEP_2) | instskip(NEXT) | instid1(VALU_DEP_2)
	v_sub_co_u32 v22, s2, v5, s50
	v_sub_nc_u32_e32 v16, v8, v14
	s_wait_alu 0xfffd
	v_sub_co_ci_u32_e64 v8, null, v8, v14, vcc_lo
	s_delay_alu instid0(VALU_DEP_2) | instskip(SKIP_2) | instid1(VALU_DEP_2)
	v_subrev_co_ci_u32_e64 v16, null, s51, v16, vcc_lo
	v_cmp_le_u32_e32 vcc_lo, s50, v22
	s_wait_alu 0xf1ff
	v_subrev_co_ci_u32_e64 v16, null, 0, v16, s2
	s_wait_alu 0xfffd
	v_cndmask_b32_e64 v14, 0, -1, vcc_lo
	s_delay_alu instid0(VALU_DEP_2)
	v_cmp_le_u32_e32 vcc_lo, s51, v16
	s_wait_alu 0xfffd
	v_cndmask_b32_e64 v22, 0, -1, vcc_lo
	v_cmp_le_u32_e32 vcc_lo, s50, v5
	s_wait_alu 0xfffd
	v_cndmask_b32_e64 v5, 0, -1, vcc_lo
	;; [unrolled: 3-line block ×3, first 2 shown]
	v_cmp_eq_u32_e32 vcc_lo, s51, v16
	s_wait_alu 0xfffd
	v_cndmask_b32_e32 v14, v22, v14, vcc_lo
	v_add_co_u32 v16, vcc_lo, v10, 1
	s_wait_alu 0xfffd
	v_add_co_ci_u32_e64 v22, null, 0, v12, vcc_lo
	v_cmp_eq_u32_e32 vcc_lo, s51, v8
	s_wait_alu 0xfffd
	v_cndmask_b32_e32 v5, v23, v5, vcc_lo
	v_cmp_ne_u32_e32 vcc_lo, 0, v14
	s_delay_alu instid0(VALU_DEP_2) | instskip(SKIP_3) | instid1(VALU_DEP_1)
	v_cmp_ne_u32_e64 s2, 0, v5
	s_wait_alu 0xfffd
	v_dual_cndmask_b32 v8, v22, v20 :: v_dual_cndmask_b32 v5, v16, v18
	s_wait_alu 0xf1ff
	v_cndmask_b32_e64 v8, v12, v8, s2
	s_delay_alu instid0(VALU_DEP_2) | instskip(NEXT) | instid1(VALU_DEP_2)
	v_cndmask_b32_e64 v5, v10, v5, s2
	v_xor_b32_e32 v8, v8, v3
	s_delay_alu instid0(VALU_DEP_2) | instskip(NEXT) | instid1(VALU_DEP_1)
	v_xor_b32_e32 v5, v5, v3
	v_sub_co_u32 v23, vcc_lo, v5, v3
	s_wait_alu 0xfffd
	s_delay_alu instid0(VALU_DEP_3)
	v_sub_co_ci_u32_e64 v24, null, v8, v3, vcc_lo
.LBB44_52:                              ;   in Loop: Header=BB44_22 Depth=2
	s_wait_alu 0xfffe
	s_and_not1_saveexec_b32 s2, s41
	s_cbranch_execz .LBB44_54
; %bb.53:                               ;   in Loop: Header=BB44_22 Depth=2
	v_cvt_f32_u32_e32 v3, s44
	s_sub_co_i32 s18, 0, s44
	v_mov_b32_e32 v24, v2
	s_delay_alu instid0(VALU_DEP_2) | instskip(NEXT) | instid1(TRANS32_DEP_1)
	v_rcp_iflag_f32_e32 v3, v3
	v_mul_f32_e32 v3, 0x4f7ffffe, v3
	s_delay_alu instid0(VALU_DEP_1) | instskip(SKIP_1) | instid1(VALU_DEP_1)
	v_cvt_u32_f32_e32 v3, v3
	s_wait_alu 0xfffe
	v_mul_lo_u32 v5, s18, v3
	s_delay_alu instid0(VALU_DEP_1) | instskip(NEXT) | instid1(VALU_DEP_1)
	v_mul_hi_u32 v5, v3, v5
	v_add_nc_u32_e32 v3, v3, v5
	s_delay_alu instid0(VALU_DEP_1) | instskip(NEXT) | instid1(VALU_DEP_1)
	v_mul_hi_u32 v3, v21, v3
	v_mul_lo_u32 v5, v3, s44
	s_delay_alu instid0(VALU_DEP_1) | instskip(NEXT) | instid1(VALU_DEP_1)
	v_sub_nc_u32_e32 v5, v21, v5
	v_subrev_nc_u32_e32 v10, s44, v5
	v_cmp_le_u32_e32 vcc_lo, s44, v5
	s_wait_alu 0xfffd
	s_delay_alu instid0(VALU_DEP_2) | instskip(NEXT) | instid1(VALU_DEP_1)
	v_dual_cndmask_b32 v5, v5, v10 :: v_dual_add_nc_u32 v8, 1, v3
	v_cndmask_b32_e32 v3, v3, v8, vcc_lo
	s_delay_alu instid0(VALU_DEP_2) | instskip(NEXT) | instid1(VALU_DEP_2)
	v_cmp_le_u32_e32 vcc_lo, s44, v5
	v_add_nc_u32_e32 v8, 1, v3
	s_wait_alu 0xfffd
	s_delay_alu instid0(VALU_DEP_1)
	v_cndmask_b32_e32 v23, v3, v8, vcc_lo
.LBB44_54:                              ;   in Loop: Header=BB44_22 Depth=2
	s_wait_alu 0xfffe
	s_or_b32 exec_lo, exec_lo, s2
	v_mul_lo_u32 v3, v9, s28
	v_mul_lo_u32 v5, v11, s30
	;; [unrolled: 1-line block ×5, first 2 shown]
	s_add_nc_u64 s[40:41], s[0:1], s[46:47]
	v_mul_lo_u32 v12, v17, s38
	s_load_b32 s2, s[40:41], 0x6c
	v_sub_nc_u32_e32 v3, v7, v3
	v_sub_nc_u32_e32 v5, v9, v5
	;; [unrolled: 1-line block ×4, first 2 shown]
	v_mul_lo_u32 v9, v21, s42
	v_mul_lo_u32 v3, s25, v3
	;; [unrolled: 1-line block ×4, first 2 shown]
	v_sub_nc_u32_e32 v11, v15, v12
	v_sub_nc_u32_e32 v12, v17, v14
	v_mul_lo_u32 v7, s31, v7
	v_mul_lo_u32 v8, s35, v8
	s_add_co_i32 s26, s26, -8
	v_mul_lo_u32 v11, s37, v11
	v_add3_u32 v3, v3, v4, v5
	v_sub_nc_u32_e32 v4, v19, v9
	v_sub_nc_u32_e32 v5, v21, v10
	v_mul_lo_u32 v9, s39, v12
	s_wait_alu 0xfffe
	s_cmp_eq_u32 s26, -8
	v_add3_u32 v3, v7, v3, v8
	v_mul_lo_u32 v4, s27, v4
	s_wait_kmcnt 0x0
	v_mul_lo_u32 v5, s2, v5
	s_delay_alu instid0(VALU_DEP_3) | instskip(NEXT) | instid1(VALU_DEP_1)
	v_add3_u32 v3, v11, v3, v9
	v_add3_u32 v4, v4, v3, v5
	s_cbranch_scc1 .LBB44_56
; %bb.55:                               ;   in Loop: Header=BB44_22 Depth=2
	v_dual_mov_b32 v7, v23 :: v_dual_mov_b32 v8, v24
	s_branch .LBB44_22
.LBB44_56:                              ;   in Loop: Header=BB44_3 Depth=1
	s_load_b32 s2, s[12:13], 0x4
	s_wait_kmcnt 0x0
	v_cmp_gt_i32_e32 vcc_lo, s2, v28
	s_and_b32 exec_lo, exec_lo, vcc_lo
	s_cbranch_execz .LBB44_2
; %bb.57:                               ;   in Loop: Header=BB44_3 Depth=1
	v_ashrrev_i32_e32 v7, 31, v6
	s_mov_b32 s18, exec_lo
	s_delay_alu instid0(VALU_DEP_1)
	v_cmpx_lt_i64_e64 s[4:5], v[6:7]
	s_cbranch_execz .LBB44_59
; %bb.58:                               ;   in Loop: Header=BB44_3 Depth=1
	v_ashrrev_i32_e32 v5, 31, v4
	s_delay_alu instid0(VALU_DEP_1) | instskip(NEXT) | instid1(VALU_DEP_1)
	v_lshlrev_b64_e32 v[5:6], 1, v[4:5]
	v_add_co_u32 v5, vcc_lo, s16, v5
	s_wait_alu 0xfffd
	s_delay_alu instid0(VALU_DEP_2)
	v_add_co_ci_u32_e64 v6, null, s17, v6, vcc_lo
	global_store_b16 v[5:6], v2, off
.LBB44_59:                              ;   in Loop: Header=BB44_3 Depth=1
	s_wait_alu 0xfffe
	s_or_b32 exec_lo, exec_lo, s18
	v_add_nc_u32_e32 v3, 1, v28
	s_delay_alu instid0(VALU_DEP_1)
	v_cmp_gt_i32_e32 vcc_lo, s2, v3
	s_and_b32 exec_lo, exec_lo, vcc_lo
	s_cbranch_execz .LBB44_2
; %bb.60:                               ;   in Loop: Header=BB44_3 Depth=1
	v_sub_nc_u32_e32 v5, v3, v27
	s_mov_b32 s18, exec_lo
	s_delay_alu instid0(VALU_DEP_1) | instskip(NEXT) | instid1(VALU_DEP_1)
	v_ashrrev_i32_e32 v6, 31, v5
	v_cmpx_lt_i64_e64 s[4:5], v[5:6]
	s_cbranch_execz .LBB44_62
; %bb.61:                               ;   in Loop: Header=BB44_3 Depth=1
	v_add_nc_u32_e32 v5, s3, v4
	s_delay_alu instid0(VALU_DEP_1) | instskip(NEXT) | instid1(VALU_DEP_1)
	v_ashrrev_i32_e32 v6, 31, v5
	v_lshlrev_b64_e32 v[5:6], 1, v[5:6]
	s_delay_alu instid0(VALU_DEP_1) | instskip(SKIP_1) | instid1(VALU_DEP_2)
	v_add_co_u32 v5, vcc_lo, s16, v5
	s_wait_alu 0xfffd
	v_add_co_ci_u32_e64 v6, null, s17, v6, vcc_lo
	global_store_b16 v[5:6], v2, off
.LBB44_62:                              ;   in Loop: Header=BB44_3 Depth=1
	s_wait_alu 0xfffe
	s_or_b32 exec_lo, exec_lo, s18
	v_add_nc_u32_e32 v3, 2, v28
	s_delay_alu instid0(VALU_DEP_1)
	v_cmp_gt_i32_e32 vcc_lo, s2, v3
	s_and_b32 exec_lo, exec_lo, vcc_lo
	s_cbranch_execz .LBB44_2
; %bb.63:                               ;   in Loop: Header=BB44_3 Depth=1
	v_sub_nc_u32_e32 v5, v3, v27
	s_mov_b32 s18, exec_lo
	s_delay_alu instid0(VALU_DEP_1) | instskip(NEXT) | instid1(VALU_DEP_1)
	v_ashrrev_i32_e32 v6, 31, v5
	v_cmpx_lt_i64_e64 s[4:5], v[5:6]
	s_cbranch_execz .LBB44_65
; %bb.64:                               ;   in Loop: Header=BB44_3 Depth=1
	v_lshl_add_u32 v5, s3, 1, v4
	s_delay_alu instid0(VALU_DEP_1) | instskip(NEXT) | instid1(VALU_DEP_1)
	v_ashrrev_i32_e32 v6, 31, v5
	v_lshlrev_b64_e32 v[5:6], 1, v[5:6]
	s_delay_alu instid0(VALU_DEP_1) | instskip(SKIP_1) | instid1(VALU_DEP_2)
	v_add_co_u32 v5, vcc_lo, s16, v5
	s_wait_alu 0xfffd
	v_add_co_ci_u32_e64 v6, null, s17, v6, vcc_lo
	global_store_b16 v[5:6], v2, off
.LBB44_65:                              ;   in Loop: Header=BB44_3 Depth=1
	s_wait_alu 0xfffe
	s_or_b32 exec_lo, exec_lo, s18
	v_add_nc_u32_e32 v3, 3, v28
	s_delay_alu instid0(VALU_DEP_1)
	v_cmp_gt_i32_e32 vcc_lo, s2, v3
	s_and_b32 exec_lo, exec_lo, vcc_lo
	s_cbranch_execz .LBB44_2
; %bb.66:                               ;   in Loop: Header=BB44_3 Depth=1
	v_sub_nc_u32_e32 v5, v3, v27
	s_delay_alu instid0(VALU_DEP_1) | instskip(NEXT) | instid1(VALU_DEP_1)
	v_ashrrev_i32_e32 v6, 31, v5
	v_cmp_lt_i64_e32 vcc_lo, s[4:5], v[5:6]
	s_and_b32 exec_lo, exec_lo, vcc_lo
	s_cbranch_execz .LBB44_2
; %bb.67:                               ;   in Loop: Header=BB44_3 Depth=1
	v_mad_co_u64_u32 v[3:4], null, s3, 3, v[4:5]
	s_delay_alu instid0(VALU_DEP_1) | instskip(NEXT) | instid1(VALU_DEP_1)
	v_ashrrev_i32_e32 v4, 31, v3
	v_lshlrev_b64_e32 v[3:4], 1, v[3:4]
	s_delay_alu instid0(VALU_DEP_1) | instskip(SKIP_1) | instid1(VALU_DEP_2)
	v_add_co_u32 v3, vcc_lo, s16, v3
	s_wait_alu 0xfffd
	v_add_co_ci_u32_e64 v4, null, s17, v4, vcc_lo
	global_store_b16 v[3:4], v2, off
	s_branch .LBB44_2
.LBB44_68:
	s_endpgm
	.section	.rodata,"a",@progbits
	.p2align	6, 0x0
	.amdhsa_kernel _ZN2at6native16triu_tril_kernelIN3c108BFloat16EiLb0ELi4ELb1EEEvNS_4cuda6detail10TensorInfoIT_T0_EENS6_IKS7_S8_EEllS8_
		.amdhsa_group_segment_fixed_size 0
		.amdhsa_private_segment_fixed_size 0
		.amdhsa_kernarg_size 712
		.amdhsa_user_sgpr_count 2
		.amdhsa_user_sgpr_dispatch_ptr 0
		.amdhsa_user_sgpr_queue_ptr 0
		.amdhsa_user_sgpr_kernarg_segment_ptr 1
		.amdhsa_user_sgpr_dispatch_id 0
		.amdhsa_user_sgpr_private_segment_size 0
		.amdhsa_wavefront_size32 1
		.amdhsa_uses_dynamic_stack 0
		.amdhsa_enable_private_segment 0
		.amdhsa_system_sgpr_workgroup_id_x 1
		.amdhsa_system_sgpr_workgroup_id_y 0
		.amdhsa_system_sgpr_workgroup_id_z 0
		.amdhsa_system_sgpr_workgroup_info 0
		.amdhsa_system_vgpr_workitem_id 0
		.amdhsa_next_free_vgpr 33
		.amdhsa_next_free_sgpr 66
		.amdhsa_reserve_vcc 1
		.amdhsa_float_round_mode_32 0
		.amdhsa_float_round_mode_16_64 0
		.amdhsa_float_denorm_mode_32 3
		.amdhsa_float_denorm_mode_16_64 3
		.amdhsa_fp16_overflow 0
		.amdhsa_workgroup_processor_mode 1
		.amdhsa_memory_ordered 1
		.amdhsa_forward_progress 1
		.amdhsa_inst_pref_size 98
		.amdhsa_round_robin_scheduling 0
		.amdhsa_exception_fp_ieee_invalid_op 0
		.amdhsa_exception_fp_denorm_src 0
		.amdhsa_exception_fp_ieee_div_zero 0
		.amdhsa_exception_fp_ieee_overflow 0
		.amdhsa_exception_fp_ieee_underflow 0
		.amdhsa_exception_fp_ieee_inexact 0
		.amdhsa_exception_int_div_zero 0
	.end_amdhsa_kernel
	.section	.text._ZN2at6native16triu_tril_kernelIN3c108BFloat16EiLb0ELi4ELb1EEEvNS_4cuda6detail10TensorInfoIT_T0_EENS6_IKS7_S8_EEllS8_,"axG",@progbits,_ZN2at6native16triu_tril_kernelIN3c108BFloat16EiLb0ELi4ELb1EEEvNS_4cuda6detail10TensorInfoIT_T0_EENS6_IKS7_S8_EEllS8_,comdat
.Lfunc_end44:
	.size	_ZN2at6native16triu_tril_kernelIN3c108BFloat16EiLb0ELi4ELb1EEEvNS_4cuda6detail10TensorInfoIT_T0_EENS6_IKS7_S8_EEllS8_, .Lfunc_end44-_ZN2at6native16triu_tril_kernelIN3c108BFloat16EiLb0ELi4ELb1EEEvNS_4cuda6detail10TensorInfoIT_T0_EENS6_IKS7_S8_EEllS8_
                                        ; -- End function
	.set _ZN2at6native16triu_tril_kernelIN3c108BFloat16EiLb0ELi4ELb1EEEvNS_4cuda6detail10TensorInfoIT_T0_EENS6_IKS7_S8_EEllS8_.num_vgpr, 33
	.set _ZN2at6native16triu_tril_kernelIN3c108BFloat16EiLb0ELi4ELb1EEEvNS_4cuda6detail10TensorInfoIT_T0_EENS6_IKS7_S8_EEllS8_.num_agpr, 0
	.set _ZN2at6native16triu_tril_kernelIN3c108BFloat16EiLb0ELi4ELb1EEEvNS_4cuda6detail10TensorInfoIT_T0_EENS6_IKS7_S8_EEllS8_.numbered_sgpr, 66
	.set _ZN2at6native16triu_tril_kernelIN3c108BFloat16EiLb0ELi4ELb1EEEvNS_4cuda6detail10TensorInfoIT_T0_EENS6_IKS7_S8_EEllS8_.num_named_barrier, 0
	.set _ZN2at6native16triu_tril_kernelIN3c108BFloat16EiLb0ELi4ELb1EEEvNS_4cuda6detail10TensorInfoIT_T0_EENS6_IKS7_S8_EEllS8_.private_seg_size, 0
	.set _ZN2at6native16triu_tril_kernelIN3c108BFloat16EiLb0ELi4ELb1EEEvNS_4cuda6detail10TensorInfoIT_T0_EENS6_IKS7_S8_EEllS8_.uses_vcc, 1
	.set _ZN2at6native16triu_tril_kernelIN3c108BFloat16EiLb0ELi4ELb1EEEvNS_4cuda6detail10TensorInfoIT_T0_EENS6_IKS7_S8_EEllS8_.uses_flat_scratch, 0
	.set _ZN2at6native16triu_tril_kernelIN3c108BFloat16EiLb0ELi4ELb1EEEvNS_4cuda6detail10TensorInfoIT_T0_EENS6_IKS7_S8_EEllS8_.has_dyn_sized_stack, 0
	.set _ZN2at6native16triu_tril_kernelIN3c108BFloat16EiLb0ELi4ELb1EEEvNS_4cuda6detail10TensorInfoIT_T0_EENS6_IKS7_S8_EEllS8_.has_recursion, 0
	.set _ZN2at6native16triu_tril_kernelIN3c108BFloat16EiLb0ELi4ELb1EEEvNS_4cuda6detail10TensorInfoIT_T0_EENS6_IKS7_S8_EEllS8_.has_indirect_call, 0
	.section	.AMDGPU.csdata,"",@progbits
; Kernel info:
; codeLenInByte = 12452
; TotalNumSgprs: 68
; NumVgprs: 33
; ScratchSize: 0
; MemoryBound: 0
; FloatMode: 240
; IeeeMode: 1
; LDSByteSize: 0 bytes/workgroup (compile time only)
; SGPRBlocks: 0
; VGPRBlocks: 4
; NumSGPRsForWavesPerEU: 68
; NumVGPRsForWavesPerEU: 33
; Occupancy: 16
; WaveLimiterHint : 0
; COMPUTE_PGM_RSRC2:SCRATCH_EN: 0
; COMPUTE_PGM_RSRC2:USER_SGPR: 2
; COMPUTE_PGM_RSRC2:TRAP_HANDLER: 0
; COMPUTE_PGM_RSRC2:TGID_X_EN: 1
; COMPUTE_PGM_RSRC2:TGID_Y_EN: 0
; COMPUTE_PGM_RSRC2:TGID_Z_EN: 0
; COMPUTE_PGM_RSRC2:TIDIG_COMP_CNT: 0
	.section	.text._ZN2at6native16triu_tril_kernelIN3c108BFloat16EiLb0ELi4ELb0EEEvNS_4cuda6detail10TensorInfoIT_T0_EENS6_IKS7_S8_EEllS8_,"axG",@progbits,_ZN2at6native16triu_tril_kernelIN3c108BFloat16EiLb0ELi4ELb0EEEvNS_4cuda6detail10TensorInfoIT_T0_EENS6_IKS7_S8_EEllS8_,comdat
	.protected	_ZN2at6native16triu_tril_kernelIN3c108BFloat16EiLb0ELi4ELb0EEEvNS_4cuda6detail10TensorInfoIT_T0_EENS6_IKS7_S8_EEllS8_ ; -- Begin function _ZN2at6native16triu_tril_kernelIN3c108BFloat16EiLb0ELi4ELb0EEEvNS_4cuda6detail10TensorInfoIT_T0_EENS6_IKS7_S8_EEllS8_
	.globl	_ZN2at6native16triu_tril_kernelIN3c108BFloat16EiLb0ELi4ELb0EEEvNS_4cuda6detail10TensorInfoIT_T0_EENS6_IKS7_S8_EEllS8_
	.p2align	8
	.type	_ZN2at6native16triu_tril_kernelIN3c108BFloat16EiLb0ELi4ELb0EEEvNS_4cuda6detail10TensorInfoIT_T0_EENS6_IKS7_S8_EEllS8_,@function
_ZN2at6native16triu_tril_kernelIN3c108BFloat16EiLb0ELi4ELb0EEEvNS_4cuda6detail10TensorInfoIT_T0_EENS6_IKS7_S8_EEllS8_: ; @_ZN2at6native16triu_tril_kernelIN3c108BFloat16EiLb0ELi4ELb0EEEvNS_4cuda6detail10TensorInfoIT_T0_EENS6_IKS7_S8_EEllS8_
; %bb.0:
	s_clause 0x1
	s_load_b32 s2, s[0:1], 0x1d4
	s_load_b128 s[4:7], s[0:1], 0x1b0
	v_mov_b32_e32 v2, 0
	s_delay_alu instid0(VALU_DEP_1) | instskip(SKIP_3) | instid1(VALU_DEP_1)
	v_mov_b32_e32 v1, v2
	s_wait_kmcnt 0x0
	s_and_b32 s20, s2, 0xffff
	s_mov_b32 s2, exec_lo
	v_mad_co_u64_u32 v[0:1], null, s20, ttmp9, v[0:1]
	s_delay_alu instid0(VALU_DEP_1) | instskip(NEXT) | instid1(VALU_DEP_1)
	v_lshlrev_b64_e32 v[0:1], 2, v[0:1]
	v_cmpx_gt_i64_e64 s[6:7], v[0:1]
	s_cbranch_execz .LBB45_53
; %bb.1:
	s_clause 0x2
	s_load_b32 s24, s[0:1], 0x1a8
	s_load_b32 s8, s[0:1], 0x1c0
	s_load_b64 s[10:11], s[0:1], 0xd8
	s_add_nc_u64 s[12:13], s[0:1], 0xd8
	s_add_nc_u64 s[18:19], s[0:1], 0x1c8
	s_mov_b32 s21, 0
	s_load_b32 s23, s[18:19], 0x0
	s_mov_b32 s53, 0
	s_wait_kmcnt 0x0
	s_ashr_i32 s25, s24, 31
	v_cvt_f32_u32_e32 v3, s8
	s_lshl_b64 s[14:15], s[24:25], 2
	s_and_b32 s48, s24, 3
	s_add_nc_u64 s[16:17], s[12:13], s[14:15]
	s_add_nc_u64 s[18:19], s[0:1], s[14:15]
	s_load_b64 s[2:3], s[16:17], 0x0
	v_rcp_iflag_f32_e32 v3, v3
	s_clause 0x2
	s_load_b64 s[14:15], s[16:17], 0x64
	s_load_b64 s[16:17], s[18:19], 0x64
	;; [unrolled: 1-line block ×3, first 2 shown]
	s_mul_i32 s23, s23, s20
	s_ashr_i32 s9, s8, 31
	s_add_co_i32 s33, s24, -3
	s_lshl_b32 s50, s23, 2
	v_cmp_gt_i64_e64 s49, s[24:25], 2
	v_mul_f32_e32 v3, 0x4f7ffffe, v3
	s_delay_alu instid0(VALU_DEP_1)
	v_cvt_u32_f32_e32 v18, v3
	s_wait_kmcnt 0x0
	s_mov_b32 s22, s2
	s_ashr_i32 s23, s2, 31
	v_cvt_f32_u32_e32 v4, s22
	s_cmp_lg_u32 s48, 2
	s_mov_b32 s24, s15
	s_cselect_b32 s51, -1, 0
	s_cmp_gt_u32 s33, 2
	v_rcp_iflag_f32_e32 v4, v4
	s_mov_b32 s26, s17
	s_cselect_b32 s52, -1, 0
	s_ashr_i32 s25, s15, 31
	s_add_co_i32 s15, s15, s15
	s_ashr_i32 s27, s17, 31
	s_add_co_i32 s17, s17, s17
	s_wait_alu 0xfffe
	s_ashr_i32 s28, s9, 31
	s_delay_alu instid0(TRANS32_DEP_1) | instskip(NEXT) | instid1(VALU_DEP_1)
	v_mul_f32_e32 v3, 0x4f7ffffe, v4
	v_cvt_u32_f32_e32 v19, v3
	s_branch .LBB45_3
.LBB45_2:                               ;   in Loop: Header=BB45_3 Depth=1
	s_wait_alu 0xfffe
	s_or_b32 exec_lo, exec_lo, s2
	v_add_co_u32 v0, vcc_lo, v0, s50
	s_wait_alu 0xfffd
	v_add_co_ci_u32_e64 v1, null, 0, v1, vcc_lo
	s_delay_alu instid0(VALU_DEP_1) | instskip(SKIP_1) | instid1(SALU_CYCLE_1)
	v_cmp_le_i64_e32 vcc_lo, s[6:7], v[0:1]
	s_or_b32 s53, vcc_lo, s53
	s_and_not1_b32 exec_lo, exec_lo, s53
	s_cbranch_execz .LBB45_53
.LBB45_3:                               ; =>This Loop Header: Depth=1
                                        ;     Child Loop BB45_15 Depth 2
                                        ;     Child Loop BB45_20 Depth 2
	v_or_b32_e32 v3, s9, v1
                                        ; implicit-def: $vgpr4_vgpr5
	s_mov_b32 s2, exec_lo
	s_delay_alu instid0(VALU_DEP_1)
	v_cmpx_ne_u64_e32 0, v[2:3]
	s_wait_alu 0xfffe
	s_xor_b32 s34, exec_lo, s2
	s_cbranch_execz .LBB45_5
; %bb.4:                                ;   in Loop: Header=BB45_3 Depth=1
	s_mov_b32 s29, s28
	v_ashrrev_i32_e32 v9, 31, v1
	s_wait_alu 0xfffe
	s_add_nc_u64 s[30:31], s[8:9], s[28:29]
	s_wait_alu 0xfffe
	s_xor_b64 s[30:31], s[30:31], s[28:29]
	v_add_co_u32 v3, vcc_lo, v0, v9
	s_wait_alu 0xfffe
	s_cvt_f32_u32 s2, s30
	s_cvt_f32_u32 s20, s31
	s_sub_nc_u64 s[38:39], 0, s[30:31]
	s_wait_alu 0xfffd
	v_add_co_ci_u32_e64 v4, null, v1, v9, vcc_lo
	s_wait_alu 0xfffe
	s_fmamk_f32 s2, s20, 0x4f800000, s2
	v_xor_b32_e32 v10, v3, v9
	s_delay_alu instid0(VALU_DEP_2) | instskip(SKIP_2) | instid1(TRANS32_DEP_1)
	v_xor_b32_e32 v11, v4, v9
	s_wait_alu 0xfffe
	v_s_rcp_f32 s2, s2
	s_mul_f32 s2, s2, 0x5f7ffffc
	s_wait_alu 0xfffe
	s_delay_alu instid0(SALU_CYCLE_2) | instskip(SKIP_1) | instid1(SALU_CYCLE_2)
	s_mul_f32 s20, s2, 0x2f800000
	s_wait_alu 0xfffe
	s_trunc_f32 s20, s20
	s_wait_alu 0xfffe
	s_delay_alu instid0(SALU_CYCLE_2) | instskip(SKIP_2) | instid1(SALU_CYCLE_1)
	s_fmamk_f32 s2, s20, 0xcf800000, s2
	s_cvt_u32_f32 s37, s20
	s_wait_alu 0xfffe
	s_cvt_u32_f32 s36, s2
	s_wait_alu 0xfffe
	s_delay_alu instid0(SALU_CYCLE_2)
	s_mul_u64 s[40:41], s[38:39], s[36:37]
	s_wait_alu 0xfffe
	s_mul_hi_u32 s43, s36, s41
	s_mul_i32 s42, s36, s41
	s_mul_hi_u32 s20, s36, s40
	s_mul_i32 s29, s37, s40
	s_wait_alu 0xfffe
	s_add_nc_u64 s[42:43], s[20:21], s[42:43]
	s_mul_hi_u32 s2, s37, s40
	s_mul_hi_u32 s35, s37, s41
	s_wait_alu 0xfffe
	s_add_co_u32 s20, s42, s29
	s_add_co_ci_u32 s20, s43, s2
	s_mul_i32 s40, s37, s41
	s_add_co_ci_u32 s41, s35, 0
	s_wait_alu 0xfffe
	s_add_nc_u64 s[40:41], s[20:21], s[40:41]
	s_wait_alu 0xfffe
	s_add_co_u32 s36, s36, s40
	s_cselect_b32 s2, -1, 0
	s_wait_alu 0xfffe
	s_cmp_lg_u32 s2, 0
	s_add_co_ci_u32 s37, s37, s41
	s_wait_alu 0xfffe
	s_mul_u64 s[38:39], s[38:39], s[36:37]
	s_wait_alu 0xfffe
	s_mul_hi_u32 s41, s36, s39
	s_mul_i32 s40, s36, s39
	s_mul_hi_u32 s20, s36, s38
	s_mul_i32 s29, s37, s38
	s_wait_alu 0xfffe
	s_add_nc_u64 s[40:41], s[20:21], s[40:41]
	s_mul_hi_u32 s2, s37, s38
	s_mul_hi_u32 s35, s37, s39
	s_wait_alu 0xfffe
	s_add_co_u32 s20, s40, s29
	s_add_co_ci_u32 s20, s41, s2
	s_mul_i32 s38, s37, s39
	s_add_co_ci_u32 s39, s35, 0
	s_wait_alu 0xfffe
	s_add_nc_u64 s[38:39], s[20:21], s[38:39]
	s_wait_alu 0xfffe
	s_add_co_u32 s2, s36, s38
	s_cselect_b32 s20, -1, 0
	s_wait_alu 0xfffe
	v_mul_hi_u32 v12, v10, s2
	s_cmp_lg_u32 s20, 0
	v_mad_co_u64_u32 v[5:6], null, v11, s2, 0
	s_add_co_ci_u32 s20, s37, s39
	s_wait_alu 0xfffe
	v_mad_co_u64_u32 v[3:4], null, v10, s20, 0
	v_mad_co_u64_u32 v[7:8], null, v11, s20, 0
	s_delay_alu instid0(VALU_DEP_2) | instskip(SKIP_1) | instid1(VALU_DEP_3)
	v_add_co_u32 v3, vcc_lo, v12, v3
	s_wait_alu 0xfffd
	v_add_co_ci_u32_e64 v4, null, 0, v4, vcc_lo
	s_delay_alu instid0(VALU_DEP_2) | instskip(SKIP_1) | instid1(VALU_DEP_2)
	v_add_co_u32 v3, vcc_lo, v3, v5
	s_wait_alu 0xfffd
	v_add_co_ci_u32_e32 v3, vcc_lo, v4, v6, vcc_lo
	s_wait_alu 0xfffd
	v_add_co_ci_u32_e32 v4, vcc_lo, 0, v8, vcc_lo
	s_delay_alu instid0(VALU_DEP_2) | instskip(SKIP_1) | instid1(VALU_DEP_2)
	v_add_co_u32 v5, vcc_lo, v3, v7
	s_wait_alu 0xfffd
	v_add_co_ci_u32_e64 v6, null, 0, v4, vcc_lo
	s_delay_alu instid0(VALU_DEP_2) | instskip(SKIP_1) | instid1(VALU_DEP_3)
	v_mul_lo_u32 v7, s31, v5
	v_mad_co_u64_u32 v[3:4], null, s30, v5, 0
	v_mul_lo_u32 v8, s30, v6
	s_delay_alu instid0(VALU_DEP_2) | instskip(NEXT) | instid1(VALU_DEP_2)
	v_sub_co_u32 v3, vcc_lo, v10, v3
	v_add3_u32 v4, v4, v8, v7
	v_add_co_u32 v8, s2, v5, 2
	s_wait_alu 0xf1ff
	v_add_co_ci_u32_e64 v10, null, 0, v6, s2
	s_delay_alu instid0(VALU_DEP_3) | instskip(SKIP_3) | instid1(VALU_DEP_3)
	v_sub_nc_u32_e32 v7, v11, v4
	v_sub_co_u32 v12, s2, v3, s30
	s_wait_alu 0xfffd
	v_sub_co_ci_u32_e64 v4, null, v11, v4, vcc_lo
	v_subrev_co_ci_u32_e64 v7, null, s31, v7, vcc_lo
	s_delay_alu instid0(VALU_DEP_3) | instskip(SKIP_1) | instid1(VALU_DEP_2)
	v_cmp_le_u32_e32 vcc_lo, s30, v12
	s_wait_alu 0xf1ff
	v_subrev_co_ci_u32_e64 v7, null, 0, v7, s2
	s_wait_alu 0xfffd
	v_cndmask_b32_e64 v11, 0, -1, vcc_lo
	s_delay_alu instid0(VALU_DEP_2)
	v_cmp_le_u32_e32 vcc_lo, s31, v7
	s_wait_alu 0xfffd
	v_cndmask_b32_e64 v12, 0, -1, vcc_lo
	v_cmp_le_u32_e32 vcc_lo, s30, v3
	s_wait_alu 0xfffd
	v_cndmask_b32_e64 v3, 0, -1, vcc_lo
	;; [unrolled: 3-line block ×3, first 2 shown]
	v_cmp_eq_u32_e32 vcc_lo, s31, v7
	s_wait_alu 0xfffd
	v_cndmask_b32_e32 v7, v12, v11, vcc_lo
	v_add_co_u32 v11, vcc_lo, v5, 1
	s_wait_alu 0xfffd
	v_add_co_ci_u32_e64 v12, null, 0, v6, vcc_lo
	v_cmp_eq_u32_e32 vcc_lo, s31, v4
	s_wait_alu 0xfffd
	v_cndmask_b32_e32 v3, v13, v3, vcc_lo
	v_cmp_ne_u32_e32 vcc_lo, 0, v7
	v_xor_b32_e32 v7, s28, v9
	s_wait_alu 0xfffd
	v_cndmask_b32_e32 v4, v12, v10, vcc_lo
	v_cmp_ne_u32_e64 s2, 0, v3
	v_cndmask_b32_e32 v3, v11, v8, vcc_lo
	s_wait_alu 0xf1ff
	s_delay_alu instid0(VALU_DEP_2) | instskip(NEXT) | instid1(VALU_DEP_2)
	v_cndmask_b32_e64 v4, v6, v4, s2
	v_cndmask_b32_e64 v3, v5, v3, s2
	s_delay_alu instid0(VALU_DEP_2) | instskip(NEXT) | instid1(VALU_DEP_2)
	v_xor_b32_e32 v5, v4, v7
	v_xor_b32_e32 v3, v3, v7
	s_delay_alu instid0(VALU_DEP_1) | instskip(SKIP_1) | instid1(VALU_DEP_3)
	v_sub_co_u32 v4, vcc_lo, v3, v7
	s_wait_alu 0xfffd
	v_sub_co_ci_u32_e64 v5, null, v5, v7, vcc_lo
.LBB45_5:                               ;   in Loop: Header=BB45_3 Depth=1
	s_wait_alu 0xfffe
	s_and_not1_saveexec_b32 s2, s34
	s_cbranch_execz .LBB45_7
; %bb.6:                                ;   in Loop: Header=BB45_3 Depth=1
	s_sub_co_i32 s20, 0, s8
	s_wait_alu 0xfffe
	v_mul_lo_u32 v3, s20, v18
	s_delay_alu instid0(VALU_DEP_1) | instskip(NEXT) | instid1(VALU_DEP_1)
	v_mul_hi_u32 v3, v18, v3
	v_add_nc_u32_e32 v3, v18, v3
	s_delay_alu instid0(VALU_DEP_1) | instskip(NEXT) | instid1(VALU_DEP_1)
	v_mul_hi_u32 v3, v0, v3
	v_mul_lo_u32 v4, v3, s8
	v_add_nc_u32_e32 v5, 1, v3
	s_delay_alu instid0(VALU_DEP_2) | instskip(NEXT) | instid1(VALU_DEP_1)
	v_sub_nc_u32_e32 v4, v0, v4
	v_subrev_nc_u32_e32 v6, s8, v4
	v_cmp_le_u32_e32 vcc_lo, s8, v4
	s_wait_alu 0xfffd
	s_delay_alu instid0(VALU_DEP_2) | instskip(NEXT) | instid1(VALU_DEP_1)
	v_dual_cndmask_b32 v4, v4, v6 :: v_dual_cndmask_b32 v3, v3, v5
	v_cmp_le_u32_e32 vcc_lo, s8, v4
	s_delay_alu instid0(VALU_DEP_2) | instskip(SKIP_1) | instid1(VALU_DEP_1)
	v_add_nc_u32_e32 v5, 1, v3
	s_wait_alu 0xfffd
	v_dual_cndmask_b32 v4, v3, v5 :: v_dual_mov_b32 v5, v2
.LBB45_7:                               ;   in Loop: Header=BB45_3 Depth=1
	s_wait_alu 0xfffe
	s_or_b32 exec_lo, exec_lo, s2
	s_delay_alu instid0(VALU_DEP_1) | instskip(SKIP_1) | instid1(VALU_DEP_1)
	v_or_b32_e32 v3, s23, v5
                                        ; implicit-def: $vgpr8_vgpr9
	s_mov_b32 s2, exec_lo
	v_cmpx_ne_u64_e32 0, v[2:3]
	s_wait_alu 0xfffe
	s_xor_b32 s29, exec_lo, s2
	s_cbranch_execz .LBB45_9
; %bb.8:                                ;   in Loop: Header=BB45_3 Depth=1
	s_ashr_i32 s30, s23, 31
	v_ashrrev_i32_e32 v3, 31, v5
	s_wait_alu 0xfffe
	s_mov_b32 s31, s30
	s_wait_alu 0xfffe
	s_add_nc_u64 s[34:35], s[22:23], s[30:31]
	v_add_co_u32 v6, vcc_lo, v4, v3
	s_wait_alu 0xfffe
	s_xor_b64 s[34:35], s[34:35], s[30:31]
	s_wait_alu 0xfffd
	v_add_co_ci_u32_e64 v5, null, v5, v3, vcc_lo
	s_wait_alu 0xfffe
	s_cvt_f32_u32 s2, s34
	s_cvt_f32_u32 s20, s35
	s_sub_nc_u64 s[38:39], 0, s[34:35]
	v_xor_b32_e32 v11, v6, v3
	v_xor_b32_e32 v12, v5, v3
	s_wait_alu 0xfffe
	s_fmamk_f32 s2, s20, 0x4f800000, s2
	v_xor_b32_e32 v3, s30, v3
	s_wait_alu 0xfffe
	s_delay_alu instid0(SALU_CYCLE_1) | instskip(NEXT) | instid1(TRANS32_DEP_1)
	v_s_rcp_f32 s2, s2
	s_mul_f32 s2, s2, 0x5f7ffffc
	s_wait_alu 0xfffe
	s_delay_alu instid0(SALU_CYCLE_2) | instskip(SKIP_1) | instid1(SALU_CYCLE_2)
	s_mul_f32 s20, s2, 0x2f800000
	s_wait_alu 0xfffe
	s_trunc_f32 s20, s20
	s_wait_alu 0xfffe
	s_delay_alu instid0(SALU_CYCLE_2) | instskip(SKIP_2) | instid1(SALU_CYCLE_1)
	s_fmamk_f32 s2, s20, 0xcf800000, s2
	s_cvt_u32_f32 s37, s20
	s_wait_alu 0xfffe
	s_cvt_u32_f32 s36, s2
	s_wait_alu 0xfffe
	s_delay_alu instid0(SALU_CYCLE_2)
	s_mul_u64 s[40:41], s[38:39], s[36:37]
	s_wait_alu 0xfffe
	s_mul_hi_u32 s43, s36, s41
	s_mul_i32 s42, s36, s41
	s_mul_hi_u32 s20, s36, s40
	s_mul_i32 s31, s37, s40
	s_wait_alu 0xfffe
	s_add_nc_u64 s[42:43], s[20:21], s[42:43]
	s_mul_hi_u32 s2, s37, s40
	s_mul_hi_u32 s44, s37, s41
	s_wait_alu 0xfffe
	s_add_co_u32 s20, s42, s31
	s_add_co_ci_u32 s20, s43, s2
	s_mul_i32 s40, s37, s41
	s_add_co_ci_u32 s41, s44, 0
	s_wait_alu 0xfffe
	s_add_nc_u64 s[40:41], s[20:21], s[40:41]
	s_wait_alu 0xfffe
	s_add_co_u32 s36, s36, s40
	s_cselect_b32 s2, -1, 0
	s_wait_alu 0xfffe
	s_cmp_lg_u32 s2, 0
	s_add_co_ci_u32 s37, s37, s41
	s_wait_alu 0xfffe
	s_mul_u64 s[38:39], s[38:39], s[36:37]
	s_wait_alu 0xfffe
	s_mul_hi_u32 s41, s36, s39
	s_mul_i32 s40, s36, s39
	s_mul_hi_u32 s20, s36, s38
	s_mul_i32 s31, s37, s38
	s_wait_alu 0xfffe
	s_add_nc_u64 s[40:41], s[20:21], s[40:41]
	s_mul_hi_u32 s2, s37, s38
	s_mul_hi_u32 s42, s37, s39
	s_wait_alu 0xfffe
	s_add_co_u32 s20, s40, s31
	s_add_co_ci_u32 s20, s41, s2
	s_mul_i32 s38, s37, s39
	s_add_co_ci_u32 s39, s42, 0
	s_wait_alu 0xfffe
	s_add_nc_u64 s[38:39], s[20:21], s[38:39]
	s_wait_alu 0xfffe
	s_add_co_u32 s2, s36, s38
	s_cselect_b32 s20, -1, 0
	s_wait_alu 0xfffe
	v_mul_hi_u32 v13, v11, s2
	s_cmp_lg_u32 s20, 0
	v_mad_co_u64_u32 v[7:8], null, v12, s2, 0
	s_add_co_ci_u32 s20, s37, s39
	s_wait_alu 0xfffe
	v_mad_co_u64_u32 v[5:6], null, v11, s20, 0
	v_mad_co_u64_u32 v[9:10], null, v12, s20, 0
	s_delay_alu instid0(VALU_DEP_2) | instskip(SKIP_1) | instid1(VALU_DEP_3)
	v_add_co_u32 v5, vcc_lo, v13, v5
	s_wait_alu 0xfffd
	v_add_co_ci_u32_e64 v6, null, 0, v6, vcc_lo
	s_delay_alu instid0(VALU_DEP_2) | instskip(SKIP_1) | instid1(VALU_DEP_2)
	v_add_co_u32 v5, vcc_lo, v5, v7
	s_wait_alu 0xfffd
	v_add_co_ci_u32_e32 v5, vcc_lo, v6, v8, vcc_lo
	s_wait_alu 0xfffd
	v_add_co_ci_u32_e32 v6, vcc_lo, 0, v10, vcc_lo
	s_delay_alu instid0(VALU_DEP_2) | instskip(SKIP_1) | instid1(VALU_DEP_2)
	v_add_co_u32 v7, vcc_lo, v5, v9
	s_wait_alu 0xfffd
	v_add_co_ci_u32_e64 v8, null, 0, v6, vcc_lo
	s_delay_alu instid0(VALU_DEP_2) | instskip(SKIP_1) | instid1(VALU_DEP_3)
	v_mul_lo_u32 v9, s35, v7
	v_mad_co_u64_u32 v[5:6], null, s34, v7, 0
	v_mul_lo_u32 v10, s34, v8
	s_delay_alu instid0(VALU_DEP_2) | instskip(NEXT) | instid1(VALU_DEP_2)
	v_sub_co_u32 v5, vcc_lo, v11, v5
	v_add3_u32 v6, v6, v10, v9
	v_add_co_u32 v10, s2, v7, 2
	s_wait_alu 0xf1ff
	v_add_co_ci_u32_e64 v11, null, 0, v8, s2
	s_delay_alu instid0(VALU_DEP_3) | instskip(SKIP_3) | instid1(VALU_DEP_3)
	v_sub_nc_u32_e32 v9, v12, v6
	v_sub_co_u32 v13, s2, v5, s34
	s_wait_alu 0xfffd
	v_sub_co_ci_u32_e64 v6, null, v12, v6, vcc_lo
	v_subrev_co_ci_u32_e64 v9, null, s35, v9, vcc_lo
	s_delay_alu instid0(VALU_DEP_3) | instskip(SKIP_1) | instid1(VALU_DEP_2)
	v_cmp_le_u32_e32 vcc_lo, s34, v13
	s_wait_alu 0xf1ff
	v_subrev_co_ci_u32_e64 v9, null, 0, v9, s2
	s_wait_alu 0xfffd
	v_cndmask_b32_e64 v12, 0, -1, vcc_lo
	s_delay_alu instid0(VALU_DEP_2)
	v_cmp_le_u32_e32 vcc_lo, s35, v9
	s_wait_alu 0xfffd
	v_cndmask_b32_e64 v13, 0, -1, vcc_lo
	v_cmp_le_u32_e32 vcc_lo, s34, v5
	s_wait_alu 0xfffd
	v_cndmask_b32_e64 v5, 0, -1, vcc_lo
	;; [unrolled: 3-line block ×3, first 2 shown]
	v_cmp_eq_u32_e32 vcc_lo, s35, v9
	s_wait_alu 0xfffd
	v_cndmask_b32_e32 v9, v13, v12, vcc_lo
	v_add_co_u32 v12, vcc_lo, v7, 1
	s_wait_alu 0xfffd
	v_add_co_ci_u32_e64 v13, null, 0, v8, vcc_lo
	v_cmp_eq_u32_e32 vcc_lo, s35, v6
	s_wait_alu 0xfffd
	v_cndmask_b32_e32 v5, v14, v5, vcc_lo
	v_cmp_ne_u32_e32 vcc_lo, 0, v9
	s_wait_alu 0xfffd
	v_cndmask_b32_e32 v6, v13, v11, vcc_lo
	s_delay_alu instid0(VALU_DEP_3) | instskip(SKIP_2) | instid1(VALU_DEP_2)
	v_cmp_ne_u32_e64 s2, 0, v5
	v_cndmask_b32_e32 v5, v12, v10, vcc_lo
	s_wait_alu 0xf1ff
	v_cndmask_b32_e64 v6, v8, v6, s2
	s_delay_alu instid0(VALU_DEP_2) | instskip(NEXT) | instid1(VALU_DEP_2)
	v_cndmask_b32_e64 v5, v7, v5, s2
	v_xor_b32_e32 v6, v6, v3
	s_delay_alu instid0(VALU_DEP_2) | instskip(NEXT) | instid1(VALU_DEP_1)
	v_xor_b32_e32 v5, v5, v3
	v_sub_co_u32 v8, vcc_lo, v5, v3
	s_wait_alu 0xfffd
	s_delay_alu instid0(VALU_DEP_3)
	v_sub_co_ci_u32_e64 v9, null, v6, v3, vcc_lo
.LBB45_9:                               ;   in Loop: Header=BB45_3 Depth=1
	s_wait_alu 0xfffe
	s_and_not1_saveexec_b32 s2, s29
	s_cbranch_execz .LBB45_11
; %bb.10:                               ;   in Loop: Header=BB45_3 Depth=1
	s_sub_co_i32 s20, 0, s22
	v_mov_b32_e32 v9, v2
	s_wait_alu 0xfffe
	v_mul_lo_u32 v3, s20, v19
	s_delay_alu instid0(VALU_DEP_1) | instskip(NEXT) | instid1(VALU_DEP_1)
	v_mul_hi_u32 v3, v19, v3
	v_add_nc_u32_e32 v3, v19, v3
	s_delay_alu instid0(VALU_DEP_1) | instskip(NEXT) | instid1(VALU_DEP_1)
	v_mul_hi_u32 v3, v4, v3
	v_mul_lo_u32 v5, v3, s22
	v_add_nc_u32_e32 v6, 1, v3
	s_delay_alu instid0(VALU_DEP_2) | instskip(NEXT) | instid1(VALU_DEP_1)
	v_sub_nc_u32_e32 v5, v4, v5
	v_cmp_le_u32_e32 vcc_lo, s22, v5
	v_subrev_nc_u32_e32 v7, s22, v5
	s_wait_alu 0xfffd
	v_cndmask_b32_e32 v3, v3, v6, vcc_lo
	s_delay_alu instid0(VALU_DEP_1) | instskip(NEXT) | instid1(VALU_DEP_3)
	v_add_nc_u32_e32 v6, 1, v3
	v_cndmask_b32_e32 v5, v5, v7, vcc_lo
	s_delay_alu instid0(VALU_DEP_1) | instskip(SKIP_1) | instid1(VALU_DEP_3)
	v_cmp_le_u32_e32 vcc_lo, s22, v5
	s_wait_alu 0xfffd
	v_cndmask_b32_e32 v8, v3, v6, vcc_lo
.LBB45_11:                              ;   in Loop: Header=BB45_3 Depth=1
	s_wait_alu 0xfffe
	s_or_b32 exec_lo, exec_lo, s2
	v_mad_co_u64_u32 v[5:6], null, v4, s8, 0
	s_delay_alu instid0(VALU_DEP_2) | instskip(SKIP_3) | instid1(VALU_DEP_2)
	v_mad_co_u64_u32 v[6:7], null, v8, s22, 0
	s_and_not1_b32 vcc_lo, exec_lo, s49
	v_sub_co_u32 v20, null, v0, v5
	v_sub_co_u32 v21, null, v4, v6
	v_mul_lo_u32 v3, s24, v20
	v_mul_lo_u32 v5, s26, v20
	s_delay_alu instid0(VALU_DEP_2) | instskip(NEXT) | instid1(VALU_DEP_1)
	v_mad_co_u64_u32 v[6:7], null, s14, v21, v[3:4]
	v_mad_co_u64_u32 v[4:5], null, s16, v21, v[5:6]
	s_wait_alu 0xfffe
	s_cbranch_vccnz .LBB45_38
; %bb.12:                               ;   in Loop: Header=BB45_3 Depth=1
	s_mov_b32 s29, 1
	s_and_not1_b32 vcc_lo, exec_lo, s51
	s_mov_b32 s20, s33
	s_mov_b32 s2, s33
	s_wait_alu 0xfffe
	s_cbranch_vccz .LBB45_15
; %bb.13:                               ;   in Loop: Header=BB45_3 Depth=1
	s_and_b32 vcc_lo, exec_lo, s52
	s_mov_b32 s20, s2
	s_wait_alu 0xfffe
	s_cbranch_vccnz .LBB45_20
	s_branch .LBB45_38
.LBB45_14:                              ;   in Loop: Header=BB45_15 Depth=2
	s_wait_alu 0xfffe
	s_or_b32 exec_lo, exec_lo, s2
	s_add_nc_u64 s[36:37], s[0:1], s[36:37]
	s_clause 0x1
	s_load_b32 s2, s[34:35], 0x6c
	s_load_b32 s31, s[36:37], 0x6c
	v_mul_lo_u32 v3, v10, s30
	s_add_co_i32 s20, s20, -1
	s_delay_alu instid0(VALU_DEP_1) | instskip(SKIP_2) | instid1(VALU_DEP_2)
	v_sub_nc_u32_e32 v3, v8, v3
	v_dual_mov_b32 v8, v10 :: v_dual_mov_b32 v9, v11
	s_wait_kmcnt 0x0
	v_mad_co_u64_u32 v[6:7], null, s2, v3, v[6:7]
	v_mad_co_u64_u32 v[4:5], null, s31, v3, v[4:5]
	s_xor_b32 s2, s48, s29
	s_add_co_i32 s29, s29, 1
	s_wait_alu 0xfffe
	s_cmp_lg_u32 s2, 2
	s_cbranch_scc0 .LBB45_19
.LBB45_15:                              ;   Parent Loop BB45_3 Depth=1
                                        ; =>  This Inner Loop Header: Depth=2
	s_lshl_b64 s[36:37], s[20:21], 2
                                        ; implicit-def: $vgpr10_vgpr11
	s_mov_b32 s2, exec_lo
	s_wait_alu 0xfffe
	s_add_nc_u64 s[34:35], s[12:13], s[36:37]
	s_load_b32 s30, s[34:35], 0x8
	s_wait_kmcnt 0x0
	s_ashr_i32 s31, s30, 31
	s_wait_alu 0xfffe
	v_or_b32_e32 v3, s31, v9
	s_delay_alu instid0(VALU_DEP_1)
	v_cmpx_ne_u64_e32 0, v[2:3]
	s_xor_b32 s42, exec_lo, s2
	s_cbranch_execz .LBB45_17
; %bb.16:                               ;   in Loop: Header=BB45_15 Depth=2
	s_ashr_i32 s38, s31, 31
	s_mov_b32 s55, s21
	s_wait_alu 0xfffe
	s_mov_b32 s39, s38
	s_mov_b32 s59, s21
	s_wait_alu 0xfffe
	s_add_nc_u64 s[40:41], s[30:31], s[38:39]
	v_ashrrev_i32_e32 v3, 31, v9
	s_wait_alu 0xfffe
	s_xor_b64 s[40:41], s[40:41], s[38:39]
	s_wait_alu 0xfffe
	s_cvt_f32_u32 s2, s40
	s_cvt_f32_u32 s31, s41
	s_sub_nc_u64 s[46:47], 0, s[40:41]
	v_add_co_u32 v5, vcc_lo, v8, v3
	s_wait_alu 0xfffe
	s_fmamk_f32 s2, s31, 0x4f800000, s2
	s_wait_alu 0xfffd
	v_add_co_ci_u32_e64 v7, null, v9, v3, vcc_lo
	v_xor_b32_e32 v5, v5, v3
	s_wait_alu 0xfffe
	v_s_rcp_f32 s2, s2
	s_delay_alu instid0(VALU_DEP_2) | instskip(SKIP_1) | instid1(TRANS32_DEP_1)
	v_xor_b32_e32 v7, v7, v3
	v_xor_b32_e32 v3, s38, v3
	s_mul_f32 s2, s2, 0x5f7ffffc
	s_wait_alu 0xfffe
	s_delay_alu instid0(SALU_CYCLE_2) | instskip(SKIP_1) | instid1(SALU_CYCLE_2)
	s_mul_f32 s31, s2, 0x2f800000
	s_wait_alu 0xfffe
	s_trunc_f32 s31, s31
	s_wait_alu 0xfffe
	s_delay_alu instid0(SALU_CYCLE_2) | instskip(SKIP_2) | instid1(SALU_CYCLE_1)
	s_fmamk_f32 s2, s31, 0xcf800000, s2
	s_cvt_u32_f32 s45, s31
	s_wait_alu 0xfffe
	s_cvt_u32_f32 s44, s2
	s_wait_alu 0xfffe
	s_delay_alu instid0(SALU_CYCLE_2) | instskip(NEXT) | instid1(SALU_CYCLE_1)
	s_mul_u64 s[56:57], s[46:47], s[44:45]
	s_mul_hi_u32 s61, s44, s57
	s_mul_i32 s60, s44, s57
	s_mul_hi_u32 s54, s44, s56
	s_mul_i32 s31, s45, s56
	s_wait_alu 0xfffe
	s_add_nc_u64 s[54:55], s[54:55], s[60:61]
	s_mul_hi_u32 s2, s45, s56
	s_mul_hi_u32 s39, s45, s57
	s_wait_alu 0xfffe
	s_add_co_u32 s31, s54, s31
	s_add_co_ci_u32 s58, s55, s2
	s_mul_i32 s56, s45, s57
	s_add_co_ci_u32 s57, s39, 0
	s_delay_alu instid0(SALU_CYCLE_1)
	s_add_nc_u64 s[54:55], s[58:59], s[56:57]
	s_mov_b32 s57, s21
	s_wait_alu 0xfffe
	s_add_co_u32 s44, s44, s54
	s_cselect_b32 s2, -1, 0
	s_wait_alu 0xfffe
	s_cmp_lg_u32 s2, 0
	s_add_co_ci_u32 s45, s45, s55
	s_mov_b32 s55, s21
	s_wait_alu 0xfffe
	s_mul_u64 s[46:47], s[46:47], s[44:45]
	s_wait_alu 0xfffe
	s_mul_hi_u32 s59, s44, s47
	s_mul_i32 s58, s44, s47
	s_mul_hi_u32 s56, s44, s46
	s_mul_i32 s31, s45, s46
	s_add_nc_u64 s[56:57], s[56:57], s[58:59]
	s_mul_hi_u32 s2, s45, s46
	s_mul_hi_u32 s39, s45, s47
	s_wait_alu 0xfffe
	s_add_co_u32 s31, s56, s31
	s_add_co_ci_u32 s54, s57, s2
	s_mul_i32 s46, s45, s47
	s_add_co_ci_u32 s47, s39, 0
	s_wait_alu 0xfffe
	s_add_nc_u64 s[46:47], s[54:55], s[46:47]
	s_wait_alu 0xfffe
	s_add_co_u32 s2, s44, s46
	s_cselect_b32 s31, -1, 0
	s_wait_alu 0xfffe
	v_mul_hi_u32 v15, v5, s2
	s_cmp_lg_u32 s31, 0
	v_mad_co_u64_u32 v[11:12], null, v7, s2, 0
	s_add_co_ci_u32 s31, s45, s47
	s_wait_alu 0xfffe
	v_mad_co_u64_u32 v[9:10], null, v5, s31, 0
	v_mad_co_u64_u32 v[13:14], null, v7, s31, 0
	s_delay_alu instid0(VALU_DEP_2) | instskip(SKIP_1) | instid1(VALU_DEP_3)
	v_add_co_u32 v9, vcc_lo, v15, v9
	s_wait_alu 0xfffd
	v_add_co_ci_u32_e64 v10, null, 0, v10, vcc_lo
	s_delay_alu instid0(VALU_DEP_2) | instskip(SKIP_1) | instid1(VALU_DEP_2)
	v_add_co_u32 v9, vcc_lo, v9, v11
	s_wait_alu 0xfffd
	v_add_co_ci_u32_e32 v9, vcc_lo, v10, v12, vcc_lo
	s_wait_alu 0xfffd
	v_add_co_ci_u32_e32 v10, vcc_lo, 0, v14, vcc_lo
	s_delay_alu instid0(VALU_DEP_2) | instskip(SKIP_1) | instid1(VALU_DEP_2)
	v_add_co_u32 v11, vcc_lo, v9, v13
	s_wait_alu 0xfffd
	v_add_co_ci_u32_e64 v12, null, 0, v10, vcc_lo
	s_delay_alu instid0(VALU_DEP_2) | instskip(SKIP_1) | instid1(VALU_DEP_3)
	v_mul_lo_u32 v13, s41, v11
	v_mad_co_u64_u32 v[9:10], null, s40, v11, 0
	v_mul_lo_u32 v14, s40, v12
	s_delay_alu instid0(VALU_DEP_2) | instskip(NEXT) | instid1(VALU_DEP_2)
	v_sub_co_u32 v5, vcc_lo, v5, v9
	v_add3_u32 v10, v10, v14, v13
	s_delay_alu instid0(VALU_DEP_1) | instskip(SKIP_2) | instid1(VALU_DEP_2)
	v_sub_nc_u32_e32 v13, v7, v10
	s_wait_alu 0xfffd
	v_sub_co_ci_u32_e64 v7, null, v7, v10, vcc_lo
	v_subrev_co_ci_u32_e64 v9, null, s41, v13, vcc_lo
	v_add_co_u32 v13, s2, v11, 2
	s_wait_alu 0xf1ff
	v_add_co_ci_u32_e64 v14, null, 0, v12, s2
	v_sub_co_u32 v15, s2, v5, s40
	s_wait_alu 0xf1ff
	v_subrev_co_ci_u32_e64 v9, null, 0, v9, s2
	s_delay_alu instid0(VALU_DEP_2) | instskip(SKIP_2) | instid1(VALU_DEP_3)
	v_cmp_le_u32_e32 vcc_lo, s40, v15
	s_wait_alu 0xfffd
	v_cndmask_b32_e64 v10, 0, -1, vcc_lo
	v_cmp_le_u32_e32 vcc_lo, s41, v9
	s_wait_alu 0xfffd
	v_cndmask_b32_e64 v15, 0, -1, vcc_lo
	;; [unrolled: 3-line block ×4, first 2 shown]
	v_cmp_eq_u32_e32 vcc_lo, s41, v9
	s_wait_alu 0xfffd
	v_cndmask_b32_e32 v9, v15, v10, vcc_lo
	v_add_co_u32 v10, vcc_lo, v11, 1
	s_wait_alu 0xfffd
	v_add_co_ci_u32_e64 v15, null, 0, v12, vcc_lo
	v_cmp_eq_u32_e32 vcc_lo, s41, v7
	s_wait_alu 0xfffd
	v_cndmask_b32_e32 v5, v16, v5, vcc_lo
	v_cmp_ne_u32_e32 vcc_lo, 0, v9
	s_delay_alu instid0(VALU_DEP_2) | instskip(SKIP_4) | instid1(VALU_DEP_2)
	v_cmp_ne_u32_e64 s2, 0, v5
	s_wait_alu 0xfffd
	v_cndmask_b32_e32 v5, v10, v13, vcc_lo
	v_cndmask_b32_e32 v7, v15, v14, vcc_lo
	s_wait_alu 0xf1ff
	v_cndmask_b32_e64 v5, v11, v5, s2
	s_delay_alu instid0(VALU_DEP_2) | instskip(NEXT) | instid1(VALU_DEP_2)
	v_cndmask_b32_e64 v7, v12, v7, s2
	v_xor_b32_e32 v5, v5, v3
	s_delay_alu instid0(VALU_DEP_2) | instskip(NEXT) | instid1(VALU_DEP_2)
	v_xor_b32_e32 v7, v7, v3
	v_sub_co_u32 v10, vcc_lo, v5, v3
	s_wait_alu 0xfffd
	s_delay_alu instid0(VALU_DEP_2)
	v_sub_co_ci_u32_e64 v11, null, v7, v3, vcc_lo
.LBB45_17:                              ;   in Loop: Header=BB45_15 Depth=2
	s_wait_alu 0xfffe
	s_and_not1_saveexec_b32 s2, s42
	s_cbranch_execz .LBB45_14
; %bb.18:                               ;   in Loop: Header=BB45_15 Depth=2
	v_cvt_f32_u32_e32 v3, s30
	s_sub_co_i32 s31, 0, s30
	v_mov_b32_e32 v11, v2
	s_delay_alu instid0(VALU_DEP_2) | instskip(NEXT) | instid1(TRANS32_DEP_1)
	v_rcp_iflag_f32_e32 v3, v3
	v_mul_f32_e32 v3, 0x4f7ffffe, v3
	s_delay_alu instid0(VALU_DEP_1) | instskip(SKIP_1) | instid1(VALU_DEP_1)
	v_cvt_u32_f32_e32 v3, v3
	s_wait_alu 0xfffe
	v_mul_lo_u32 v5, s31, v3
	s_delay_alu instid0(VALU_DEP_1) | instskip(NEXT) | instid1(VALU_DEP_1)
	v_mul_hi_u32 v5, v3, v5
	v_add_nc_u32_e32 v3, v3, v5
	s_delay_alu instid0(VALU_DEP_1) | instskip(NEXT) | instid1(VALU_DEP_1)
	v_mul_hi_u32 v3, v8, v3
	v_mul_lo_u32 v5, v3, s30
	v_add_nc_u32_e32 v7, 1, v3
	s_delay_alu instid0(VALU_DEP_2) | instskip(NEXT) | instid1(VALU_DEP_1)
	v_sub_nc_u32_e32 v5, v8, v5
	v_cmp_le_u32_e32 vcc_lo, s30, v5
	v_subrev_nc_u32_e32 v9, s30, v5
	s_wait_alu 0xfffd
	v_cndmask_b32_e32 v3, v3, v7, vcc_lo
	s_delay_alu instid0(VALU_DEP_1) | instskip(NEXT) | instid1(VALU_DEP_3)
	v_add_nc_u32_e32 v7, 1, v3
	v_cndmask_b32_e32 v5, v5, v9, vcc_lo
	s_delay_alu instid0(VALU_DEP_1) | instskip(SKIP_1) | instid1(VALU_DEP_3)
	v_cmp_le_u32_e32 vcc_lo, s30, v5
	s_wait_alu 0xfffd
	v_cndmask_b32_e32 v10, v3, v7, vcc_lo
	s_branch .LBB45_14
.LBB45_19:                              ;   in Loop: Header=BB45_3 Depth=1
	s_mov_b32 s2, s20
	s_and_b32 vcc_lo, exec_lo, s52
	s_wait_alu 0xfffe
	s_mov_b32 s20, s2
	s_cbranch_vccz .LBB45_38
.LBB45_20:                              ;   Parent Loop BB45_3 Depth=1
                                        ; =>  This Inner Loop Header: Depth=2
	s_wait_alu 0xfffe
	s_lshl_b64 s[42:43], s[20:21], 2
                                        ; implicit-def: $vgpr10_vgpr11
	s_mov_b32 s2, exec_lo
	s_wait_alu 0xfffe
	s_add_nc_u64 s[36:37], s[12:13], s[42:43]
	s_load_b32 s30, s[36:37], 0x8
	s_wait_kmcnt 0x0
	s_ashr_i32 s31, s30, 31
	s_wait_alu 0xfffe
	v_or_b32_e32 v3, s31, v9
	s_delay_alu instid0(VALU_DEP_1)
	v_cmpx_ne_u64_e32 0, v[2:3]
	s_xor_b32 s29, exec_lo, s2
	s_cbranch_execz .LBB45_22
; %bb.21:                               ;   in Loop: Header=BB45_20 Depth=2
	s_ashr_i32 s34, s31, 31
	s_mov_b32 s47, s21
	s_wait_alu 0xfffe
	s_mov_b32 s35, s34
	s_mov_b32 s57, s21
	s_wait_alu 0xfffe
	s_add_nc_u64 s[38:39], s[30:31], s[34:35]
	v_ashrrev_i32_e32 v3, 31, v9
	s_wait_alu 0xfffe
	s_xor_b64 s[38:39], s[38:39], s[34:35]
	s_wait_alu 0xfffe
	s_cvt_f32_u32 s2, s38
	s_cvt_f32_u32 s31, s39
	s_sub_nc_u64 s[44:45], 0, s[38:39]
	v_add_co_u32 v5, vcc_lo, v8, v3
	s_wait_alu 0xfffe
	s_fmamk_f32 s2, s31, 0x4f800000, s2
	s_wait_alu 0xfffd
	v_add_co_ci_u32_e64 v7, null, v9, v3, vcc_lo
	v_xor_b32_e32 v5, v5, v3
	s_wait_alu 0xfffe
	v_s_rcp_f32 s2, s2
	s_delay_alu instid0(VALU_DEP_2) | instskip(SKIP_1) | instid1(TRANS32_DEP_1)
	v_xor_b32_e32 v7, v7, v3
	v_xor_b32_e32 v3, s34, v3
	s_mul_f32 s2, s2, 0x5f7ffffc
	s_wait_alu 0xfffe
	s_delay_alu instid0(SALU_CYCLE_2) | instskip(SKIP_1) | instid1(SALU_CYCLE_2)
	s_mul_f32 s31, s2, 0x2f800000
	s_wait_alu 0xfffe
	s_trunc_f32 s31, s31
	s_wait_alu 0xfffe
	s_delay_alu instid0(SALU_CYCLE_2) | instskip(SKIP_2) | instid1(SALU_CYCLE_1)
	s_fmamk_f32 s2, s31, 0xcf800000, s2
	s_cvt_u32_f32 s41, s31
	s_wait_alu 0xfffe
	s_cvt_u32_f32 s40, s2
	s_wait_alu 0xfffe
	s_delay_alu instid0(SALU_CYCLE_2)
	s_mul_u64 s[54:55], s[44:45], s[40:41]
	s_wait_alu 0xfffe
	s_mul_hi_u32 s59, s40, s55
	s_mul_i32 s58, s40, s55
	s_mul_hi_u32 s46, s40, s54
	s_mul_i32 s31, s41, s54
	s_wait_alu 0xfffe
	s_add_nc_u64 s[46:47], s[46:47], s[58:59]
	s_mul_hi_u32 s2, s41, s54
	s_mul_hi_u32 s35, s41, s55
	s_wait_alu 0xfffe
	s_add_co_u32 s31, s46, s31
	s_add_co_ci_u32 s56, s47, s2
	s_mul_i32 s54, s41, s55
	s_add_co_ci_u32 s55, s35, 0
	s_wait_alu 0xfffe
	s_add_nc_u64 s[46:47], s[56:57], s[54:55]
	s_mov_b32 s55, s21
	s_wait_alu 0xfffe
	s_add_co_u32 s40, s40, s46
	s_cselect_b32 s2, -1, 0
	s_wait_alu 0xfffe
	s_cmp_lg_u32 s2, 0
	s_add_co_ci_u32 s41, s41, s47
	s_mov_b32 s47, s21
	s_wait_alu 0xfffe
	s_mul_u64 s[44:45], s[44:45], s[40:41]
	s_wait_alu 0xfffe
	s_mul_hi_u32 s57, s40, s45
	s_mul_i32 s56, s40, s45
	s_mul_hi_u32 s54, s40, s44
	s_mul_i32 s31, s41, s44
	s_wait_alu 0xfffe
	s_add_nc_u64 s[54:55], s[54:55], s[56:57]
	s_mul_hi_u32 s2, s41, s44
	s_mul_hi_u32 s35, s41, s45
	s_wait_alu 0xfffe
	s_add_co_u32 s31, s54, s31
	s_add_co_ci_u32 s46, s55, s2
	s_mul_i32 s44, s41, s45
	s_add_co_ci_u32 s45, s35, 0
	s_wait_alu 0xfffe
	s_add_nc_u64 s[44:45], s[46:47], s[44:45]
	s_wait_alu 0xfffe
	s_add_co_u32 s2, s40, s44
	s_cselect_b32 s31, -1, 0
	s_wait_alu 0xfffe
	v_mul_hi_u32 v15, v5, s2
	s_cmp_lg_u32 s31, 0
	v_mad_co_u64_u32 v[11:12], null, v7, s2, 0
	s_add_co_ci_u32 s31, s41, s45
	s_wait_alu 0xfffe
	v_mad_co_u64_u32 v[9:10], null, v5, s31, 0
	v_mad_co_u64_u32 v[13:14], null, v7, s31, 0
	s_delay_alu instid0(VALU_DEP_2) | instskip(SKIP_1) | instid1(VALU_DEP_3)
	v_add_co_u32 v9, vcc_lo, v15, v9
	s_wait_alu 0xfffd
	v_add_co_ci_u32_e64 v10, null, 0, v10, vcc_lo
	s_delay_alu instid0(VALU_DEP_2) | instskip(SKIP_1) | instid1(VALU_DEP_2)
	v_add_co_u32 v9, vcc_lo, v9, v11
	s_wait_alu 0xfffd
	v_add_co_ci_u32_e32 v9, vcc_lo, v10, v12, vcc_lo
	s_wait_alu 0xfffd
	v_add_co_ci_u32_e32 v10, vcc_lo, 0, v14, vcc_lo
	s_delay_alu instid0(VALU_DEP_2) | instskip(SKIP_1) | instid1(VALU_DEP_2)
	v_add_co_u32 v11, vcc_lo, v9, v13
	s_wait_alu 0xfffd
	v_add_co_ci_u32_e64 v12, null, 0, v10, vcc_lo
	s_delay_alu instid0(VALU_DEP_2) | instskip(SKIP_1) | instid1(VALU_DEP_3)
	v_mul_lo_u32 v13, s39, v11
	v_mad_co_u64_u32 v[9:10], null, s38, v11, 0
	v_mul_lo_u32 v14, s38, v12
	s_delay_alu instid0(VALU_DEP_2) | instskip(NEXT) | instid1(VALU_DEP_2)
	v_sub_co_u32 v5, vcc_lo, v5, v9
	v_add3_u32 v10, v10, v14, v13
	s_delay_alu instid0(VALU_DEP_1) | instskip(SKIP_2) | instid1(VALU_DEP_2)
	v_sub_nc_u32_e32 v13, v7, v10
	s_wait_alu 0xfffd
	v_sub_co_ci_u32_e64 v7, null, v7, v10, vcc_lo
	v_subrev_co_ci_u32_e64 v9, null, s39, v13, vcc_lo
	v_add_co_u32 v13, s2, v11, 2
	s_wait_alu 0xf1ff
	v_add_co_ci_u32_e64 v14, null, 0, v12, s2
	v_sub_co_u32 v15, s2, v5, s38
	s_wait_alu 0xf1ff
	v_subrev_co_ci_u32_e64 v9, null, 0, v9, s2
	s_delay_alu instid0(VALU_DEP_2) | instskip(SKIP_2) | instid1(VALU_DEP_3)
	v_cmp_le_u32_e32 vcc_lo, s38, v15
	s_wait_alu 0xfffd
	v_cndmask_b32_e64 v10, 0, -1, vcc_lo
	v_cmp_le_u32_e32 vcc_lo, s39, v9
	s_wait_alu 0xfffd
	v_cndmask_b32_e64 v15, 0, -1, vcc_lo
	;; [unrolled: 3-line block ×4, first 2 shown]
	v_cmp_eq_u32_e32 vcc_lo, s39, v9
	s_wait_alu 0xfffd
	v_cndmask_b32_e32 v9, v15, v10, vcc_lo
	v_add_co_u32 v10, vcc_lo, v11, 1
	s_wait_alu 0xfffd
	v_add_co_ci_u32_e64 v15, null, 0, v12, vcc_lo
	v_cmp_eq_u32_e32 vcc_lo, s39, v7
	s_wait_alu 0xfffd
	v_cndmask_b32_e32 v5, v16, v5, vcc_lo
	v_cmp_ne_u32_e32 vcc_lo, 0, v9
	s_delay_alu instid0(VALU_DEP_2) | instskip(SKIP_4) | instid1(VALU_DEP_2)
	v_cmp_ne_u32_e64 s2, 0, v5
	s_wait_alu 0xfffd
	v_cndmask_b32_e32 v5, v10, v13, vcc_lo
	v_cndmask_b32_e32 v7, v15, v14, vcc_lo
	s_wait_alu 0xf1ff
	v_cndmask_b32_e64 v5, v11, v5, s2
	s_delay_alu instid0(VALU_DEP_2) | instskip(NEXT) | instid1(VALU_DEP_2)
	v_cndmask_b32_e64 v7, v12, v7, s2
	v_xor_b32_e32 v5, v5, v3
	s_delay_alu instid0(VALU_DEP_2) | instskip(NEXT) | instid1(VALU_DEP_2)
	v_xor_b32_e32 v7, v7, v3
	v_sub_co_u32 v10, vcc_lo, v5, v3
	s_wait_alu 0xfffd
	s_delay_alu instid0(VALU_DEP_2)
	v_sub_co_ci_u32_e64 v11, null, v7, v3, vcc_lo
.LBB45_22:                              ;   in Loop: Header=BB45_20 Depth=2
	s_wait_alu 0xfffe
	s_and_not1_saveexec_b32 s2, s29
	s_cbranch_execz .LBB45_24
; %bb.23:                               ;   in Loop: Header=BB45_20 Depth=2
	v_cvt_f32_u32_e32 v3, s30
	s_sub_co_i32 s29, 0, s30
	v_mov_b32_e32 v11, v2
	s_delay_alu instid0(VALU_DEP_2) | instskip(NEXT) | instid1(TRANS32_DEP_1)
	v_rcp_iflag_f32_e32 v3, v3
	v_mul_f32_e32 v3, 0x4f7ffffe, v3
	s_delay_alu instid0(VALU_DEP_1) | instskip(SKIP_1) | instid1(VALU_DEP_1)
	v_cvt_u32_f32_e32 v3, v3
	s_wait_alu 0xfffe
	v_mul_lo_u32 v5, s29, v3
	s_delay_alu instid0(VALU_DEP_1) | instskip(NEXT) | instid1(VALU_DEP_1)
	v_mul_hi_u32 v5, v3, v5
	v_add_nc_u32_e32 v3, v3, v5
	s_delay_alu instid0(VALU_DEP_1) | instskip(NEXT) | instid1(VALU_DEP_1)
	v_mul_hi_u32 v3, v8, v3
	v_mul_lo_u32 v5, v3, s30
	v_add_nc_u32_e32 v7, 1, v3
	s_delay_alu instid0(VALU_DEP_2) | instskip(NEXT) | instid1(VALU_DEP_1)
	v_sub_nc_u32_e32 v5, v8, v5
	v_cmp_le_u32_e32 vcc_lo, s30, v5
	v_subrev_nc_u32_e32 v9, s30, v5
	s_wait_alu 0xfffd
	v_cndmask_b32_e32 v3, v3, v7, vcc_lo
	s_delay_alu instid0(VALU_DEP_1) | instskip(NEXT) | instid1(VALU_DEP_3)
	v_add_nc_u32_e32 v7, 1, v3
	v_cndmask_b32_e32 v5, v5, v9, vcc_lo
	s_delay_alu instid0(VALU_DEP_1) | instskip(SKIP_1) | instid1(VALU_DEP_3)
	v_cmp_le_u32_e32 vcc_lo, s30, v5
	s_wait_alu 0xfffd
	v_cndmask_b32_e32 v10, v3, v7, vcc_lo
.LBB45_24:                              ;   in Loop: Header=BB45_20 Depth=2
	s_wait_alu 0xfffe
	s_or_b32 exec_lo, exec_lo, s2
	s_add_co_i32 s34, s20, -1
	s_mov_b32 s35, s21
	s_add_nc_u64 s[42:43], s[0:1], s[42:43]
	s_wait_alu 0xfffe
	s_lshl_b64 s[40:41], s[34:35], 2
                                        ; implicit-def: $vgpr12_vgpr13
	s_mov_b32 s2, exec_lo
	s_wait_alu 0xfffe
	s_add_nc_u64 s[38:39], s[12:13], s[40:41]
	s_clause 0x2
	s_load_b32 s34, s[38:39], 0x8
	s_load_b32 s29, s[36:37], 0x6c
	;; [unrolled: 1-line block ×3, first 2 shown]
	s_wait_kmcnt 0x0
	s_ashr_i32 s35, s34, 31
	s_wait_alu 0xfffe
	v_or_b32_e32 v3, s35, v11
	s_delay_alu instid0(VALU_DEP_1)
	v_cmpx_ne_u64_e32 0, v[2:3]
	s_xor_b32 s44, exec_lo, s2
	s_cbranch_execz .LBB45_26
; %bb.25:                               ;   in Loop: Header=BB45_20 Depth=2
	s_ashr_i32 s36, s35, 31
	s_mov_b32 s57, s21
	s_wait_alu 0xfffe
	s_mov_b32 s37, s36
	s_mov_b32 s61, s21
	s_wait_alu 0xfffe
	s_add_nc_u64 s[42:43], s[34:35], s[36:37]
	v_ashrrev_i32_e32 v3, 31, v11
	s_wait_alu 0xfffe
	s_xor_b64 s[42:43], s[42:43], s[36:37]
	s_wait_alu 0xfffe
	s_cvt_f32_u32 s2, s42
	s_cvt_f32_u32 s35, s43
	s_sub_nc_u64 s[54:55], 0, s[42:43]
	v_add_co_u32 v5, vcc_lo, v10, v3
	s_wait_alu 0xfffe
	s_fmamk_f32 s2, s35, 0x4f800000, s2
	s_wait_alu 0xfffd
	v_add_co_ci_u32_e64 v7, null, v11, v3, vcc_lo
	v_xor_b32_e32 v5, v5, v3
	s_wait_alu 0xfffe
	v_s_rcp_f32 s2, s2
	s_delay_alu instid0(VALU_DEP_2) | instskip(SKIP_1) | instid1(TRANS32_DEP_1)
	v_xor_b32_e32 v7, v7, v3
	v_xor_b32_e32 v3, s36, v3
	s_mul_f32 s2, s2, 0x5f7ffffc
	s_wait_alu 0xfffe
	s_delay_alu instid0(SALU_CYCLE_2) | instskip(SKIP_1) | instid1(SALU_CYCLE_2)
	s_mul_f32 s35, s2, 0x2f800000
	s_wait_alu 0xfffe
	s_trunc_f32 s35, s35
	s_wait_alu 0xfffe
	s_delay_alu instid0(SALU_CYCLE_2) | instskip(SKIP_2) | instid1(SALU_CYCLE_1)
	s_fmamk_f32 s2, s35, 0xcf800000, s2
	s_cvt_u32_f32 s47, s35
	s_wait_alu 0xfffe
	s_cvt_u32_f32 s46, s2
	s_wait_alu 0xfffe
	s_delay_alu instid0(SALU_CYCLE_2) | instskip(NEXT) | instid1(SALU_CYCLE_1)
	s_mul_u64 s[58:59], s[54:55], s[46:47]
	s_mul_hi_u32 s63, s46, s59
	s_mul_i32 s62, s46, s59
	s_mul_hi_u32 s56, s46, s58
	s_mul_i32 s35, s47, s58
	s_add_nc_u64 s[56:57], s[56:57], s[62:63]
	s_mul_hi_u32 s2, s47, s58
	s_mul_hi_u32 s37, s47, s59
	s_wait_alu 0xfffe
	s_add_co_u32 s35, s56, s35
	s_add_co_ci_u32 s60, s57, s2
	s_mul_i32 s58, s47, s59
	s_add_co_ci_u32 s59, s37, 0
	s_delay_alu instid0(SALU_CYCLE_1)
	s_add_nc_u64 s[56:57], s[60:61], s[58:59]
	s_mov_b32 s59, s21
	s_add_co_u32 s46, s46, s56
	s_cselect_b32 s2, -1, 0
	s_wait_alu 0xfffe
	s_cmp_lg_u32 s2, 0
	s_add_co_ci_u32 s47, s47, s57
	s_mov_b32 s57, s21
	s_wait_alu 0xfffe
	s_mul_u64 s[54:55], s[54:55], s[46:47]
	s_wait_alu 0xfffe
	s_mul_hi_u32 s61, s46, s55
	s_mul_i32 s60, s46, s55
	s_mul_hi_u32 s58, s46, s54
	s_mul_i32 s35, s47, s54
	s_add_nc_u64 s[58:59], s[58:59], s[60:61]
	s_mul_hi_u32 s2, s47, s54
	s_mul_hi_u32 s37, s47, s55
	s_wait_alu 0xfffe
	s_add_co_u32 s35, s58, s35
	s_add_co_ci_u32 s56, s59, s2
	s_mul_i32 s54, s47, s55
	s_add_co_ci_u32 s55, s37, 0
	s_wait_alu 0xfffe
	s_add_nc_u64 s[54:55], s[56:57], s[54:55]
	s_wait_alu 0xfffe
	s_add_co_u32 s2, s46, s54
	s_cselect_b32 s35, -1, 0
	s_wait_alu 0xfffe
	v_mul_hi_u32 v9, v5, s2
	s_cmp_lg_u32 s35, 0
	v_mad_co_u64_u32 v[13:14], null, v7, s2, 0
	s_add_co_ci_u32 s35, s47, s55
	s_wait_alu 0xfffe
	v_mad_co_u64_u32 v[11:12], null, v5, s35, 0
	v_mad_co_u64_u32 v[15:16], null, v7, s35, 0
	s_delay_alu instid0(VALU_DEP_2) | instskip(SKIP_1) | instid1(VALU_DEP_3)
	v_add_co_u32 v9, vcc_lo, v9, v11
	s_wait_alu 0xfffd
	v_add_co_ci_u32_e64 v11, null, 0, v12, vcc_lo
	s_delay_alu instid0(VALU_DEP_2) | instskip(SKIP_1) | instid1(VALU_DEP_2)
	v_add_co_u32 v9, vcc_lo, v9, v13
	s_wait_alu 0xfffd
	v_add_co_ci_u32_e32 v9, vcc_lo, v11, v14, vcc_lo
	s_wait_alu 0xfffd
	v_add_co_ci_u32_e32 v11, vcc_lo, 0, v16, vcc_lo
	s_delay_alu instid0(VALU_DEP_2) | instskip(SKIP_1) | instid1(VALU_DEP_2)
	v_add_co_u32 v9, vcc_lo, v9, v15
	s_wait_alu 0xfffd
	v_add_co_ci_u32_e64 v13, null, 0, v11, vcc_lo
	s_delay_alu instid0(VALU_DEP_2) | instskip(SKIP_1) | instid1(VALU_DEP_3)
	v_mul_lo_u32 v14, s43, v9
	v_mad_co_u64_u32 v[11:12], null, s42, v9, 0
	v_mul_lo_u32 v15, s42, v13
	s_delay_alu instid0(VALU_DEP_2) | instskip(NEXT) | instid1(VALU_DEP_2)
	v_sub_co_u32 v5, vcc_lo, v5, v11
	v_add3_u32 v12, v12, v15, v14
	s_delay_alu instid0(VALU_DEP_1) | instskip(SKIP_2) | instid1(VALU_DEP_2)
	v_sub_nc_u32_e32 v14, v7, v12
	s_wait_alu 0xfffd
	v_sub_co_ci_u32_e64 v7, null, v7, v12, vcc_lo
	v_subrev_co_ci_u32_e64 v11, null, s43, v14, vcc_lo
	v_add_co_u32 v14, s2, v9, 2
	s_wait_alu 0xf1ff
	v_add_co_ci_u32_e64 v15, null, 0, v13, s2
	v_sub_co_u32 v16, s2, v5, s42
	s_wait_alu 0xf1ff
	v_subrev_co_ci_u32_e64 v11, null, 0, v11, s2
	s_delay_alu instid0(VALU_DEP_2) | instskip(SKIP_2) | instid1(VALU_DEP_3)
	v_cmp_le_u32_e32 vcc_lo, s42, v16
	s_wait_alu 0xfffd
	v_cndmask_b32_e64 v12, 0, -1, vcc_lo
	v_cmp_le_u32_e32 vcc_lo, s43, v11
	s_wait_alu 0xfffd
	v_cndmask_b32_e64 v16, 0, -1, vcc_lo
	;; [unrolled: 3-line block ×4, first 2 shown]
	v_cmp_eq_u32_e32 vcc_lo, s43, v11
	s_wait_alu 0xfffd
	v_cndmask_b32_e32 v11, v16, v12, vcc_lo
	v_add_co_u32 v12, vcc_lo, v9, 1
	s_wait_alu 0xfffd
	v_add_co_ci_u32_e64 v16, null, 0, v13, vcc_lo
	v_cmp_eq_u32_e32 vcc_lo, s43, v7
	s_wait_alu 0xfffd
	v_cndmask_b32_e32 v5, v17, v5, vcc_lo
	v_cmp_ne_u32_e32 vcc_lo, 0, v11
	s_delay_alu instid0(VALU_DEP_2) | instskip(SKIP_4) | instid1(VALU_DEP_2)
	v_cmp_ne_u32_e64 s2, 0, v5
	s_wait_alu 0xfffd
	v_cndmask_b32_e32 v5, v12, v14, vcc_lo
	v_cndmask_b32_e32 v7, v16, v15, vcc_lo
	s_wait_alu 0xf1ff
	v_cndmask_b32_e64 v5, v9, v5, s2
	s_delay_alu instid0(VALU_DEP_2) | instskip(NEXT) | instid1(VALU_DEP_2)
	v_cndmask_b32_e64 v7, v13, v7, s2
	v_xor_b32_e32 v5, v5, v3
	s_delay_alu instid0(VALU_DEP_2) | instskip(NEXT) | instid1(VALU_DEP_2)
	v_xor_b32_e32 v7, v7, v3
	v_sub_co_u32 v12, vcc_lo, v5, v3
	s_wait_alu 0xfffd
	s_delay_alu instid0(VALU_DEP_2)
	v_sub_co_ci_u32_e64 v13, null, v7, v3, vcc_lo
.LBB45_26:                              ;   in Loop: Header=BB45_20 Depth=2
	s_wait_alu 0xfffe
	s_and_not1_saveexec_b32 s2, s44
	s_cbranch_execz .LBB45_28
; %bb.27:                               ;   in Loop: Header=BB45_20 Depth=2
	v_cvt_f32_u32_e32 v3, s34
	s_sub_co_i32 s35, 0, s34
	v_mov_b32_e32 v13, v2
	s_delay_alu instid0(VALU_DEP_2) | instskip(NEXT) | instid1(TRANS32_DEP_1)
	v_rcp_iflag_f32_e32 v3, v3
	v_mul_f32_e32 v3, 0x4f7ffffe, v3
	s_delay_alu instid0(VALU_DEP_1) | instskip(SKIP_1) | instid1(VALU_DEP_1)
	v_cvt_u32_f32_e32 v3, v3
	s_wait_alu 0xfffe
	v_mul_lo_u32 v5, s35, v3
	s_delay_alu instid0(VALU_DEP_1) | instskip(NEXT) | instid1(VALU_DEP_1)
	v_mul_hi_u32 v5, v3, v5
	v_add_nc_u32_e32 v3, v3, v5
	s_delay_alu instid0(VALU_DEP_1) | instskip(NEXT) | instid1(VALU_DEP_1)
	v_mul_hi_u32 v3, v10, v3
	v_mul_lo_u32 v5, v3, s34
	v_add_nc_u32_e32 v7, 1, v3
	s_delay_alu instid0(VALU_DEP_2) | instskip(NEXT) | instid1(VALU_DEP_1)
	v_sub_nc_u32_e32 v5, v10, v5
	v_cmp_le_u32_e32 vcc_lo, s34, v5
	v_subrev_nc_u32_e32 v9, s34, v5
	s_wait_alu 0xfffd
	v_cndmask_b32_e32 v3, v3, v7, vcc_lo
	s_delay_alu instid0(VALU_DEP_1) | instskip(NEXT) | instid1(VALU_DEP_3)
	v_add_nc_u32_e32 v7, 1, v3
	v_cndmask_b32_e32 v5, v5, v9, vcc_lo
	s_delay_alu instid0(VALU_DEP_1) | instskip(SKIP_1) | instid1(VALU_DEP_3)
	v_cmp_le_u32_e32 vcc_lo, s34, v5
	s_wait_alu 0xfffd
	v_cndmask_b32_e32 v12, v3, v7, vcc_lo
.LBB45_28:                              ;   in Loop: Header=BB45_20 Depth=2
	s_wait_alu 0xfffe
	s_or_b32 exec_lo, exec_lo, s2
	s_add_co_i32 s36, s20, -2
	s_mov_b32 s37, s21
	s_add_nc_u64 s[40:41], s[0:1], s[40:41]
	s_wait_alu 0xfffe
	s_lshl_b64 s[46:47], s[36:37], 2
                                        ; implicit-def: $vgpr14_vgpr15
	s_mov_b32 s2, exec_lo
	s_wait_alu 0xfffe
	s_add_nc_u64 s[44:45], s[12:13], s[46:47]
	s_clause 0x2
	s_load_b32 s36, s[44:45], 0x8
	s_load_b32 s35, s[38:39], 0x6c
	;; [unrolled: 1-line block ×3, first 2 shown]
	s_wait_kmcnt 0x0
	s_ashr_i32 s37, s36, 31
	s_wait_alu 0xfffe
	v_or_b32_e32 v3, s37, v13
	s_delay_alu instid0(VALU_DEP_1)
	v_cmpx_ne_u64_e32 0, v[2:3]
	s_xor_b32 s42, exec_lo, s2
	s_cbranch_execz .LBB45_30
; %bb.29:                               ;   in Loop: Header=BB45_20 Depth=2
	s_ashr_i32 s38, s37, 31
	s_mov_b32 s61, s21
	s_wait_alu 0xfffe
	s_mov_b32 s39, s38
	s_mov_b32 s65, s21
	s_wait_alu 0xfffe
	s_add_nc_u64 s[40:41], s[36:37], s[38:39]
	v_ashrrev_i32_e32 v3, 31, v13
	s_wait_alu 0xfffe
	s_xor_b64 s[40:41], s[40:41], s[38:39]
	s_wait_alu 0xfffe
	s_cvt_f32_u32 s2, s40
	s_cvt_f32_u32 s37, s41
	s_sub_nc_u64 s[58:59], 0, s[40:41]
	v_add_co_u32 v5, vcc_lo, v12, v3
	s_wait_alu 0xfffe
	s_fmamk_f32 s2, s37, 0x4f800000, s2
	s_wait_alu 0xfffd
	v_add_co_ci_u32_e64 v7, null, v13, v3, vcc_lo
	v_xor_b32_e32 v5, v5, v3
	s_wait_alu 0xfffe
	v_s_rcp_f32 s2, s2
	s_delay_alu instid0(VALU_DEP_2) | instskip(SKIP_1) | instid1(TRANS32_DEP_1)
	v_xor_b32_e32 v7, v7, v3
	v_xor_b32_e32 v3, s38, v3
	s_mul_f32 s2, s2, 0x5f7ffffc
	s_wait_alu 0xfffe
	s_delay_alu instid0(SALU_CYCLE_2) | instskip(SKIP_1) | instid1(SALU_CYCLE_2)
	s_mul_f32 s37, s2, 0x2f800000
	s_wait_alu 0xfffe
	s_trunc_f32 s37, s37
	s_wait_alu 0xfffe
	s_delay_alu instid0(SALU_CYCLE_2) | instskip(SKIP_2) | instid1(SALU_CYCLE_1)
	s_fmamk_f32 s2, s37, 0xcf800000, s2
	s_cvt_u32_f32 s57, s37
	s_wait_alu 0xfffe
	s_cvt_u32_f32 s56, s2
	s_delay_alu instid0(SALU_CYCLE_3) | instskip(NEXT) | instid1(SALU_CYCLE_1)
	s_mul_u64 s[62:63], s[58:59], s[56:57]
	s_mul_hi_u32 s67, s56, s63
	s_mul_i32 s66, s56, s63
	s_mul_hi_u32 s60, s56, s62
	s_mul_i32 s37, s57, s62
	s_add_nc_u64 s[60:61], s[60:61], s[66:67]
	s_mul_hi_u32 s2, s57, s62
	s_mul_hi_u32 s39, s57, s63
	s_wait_alu 0xfffe
	s_add_co_u32 s37, s60, s37
	s_add_co_ci_u32 s64, s61, s2
	s_mul_i32 s62, s57, s63
	s_add_co_ci_u32 s63, s39, 0
	s_delay_alu instid0(SALU_CYCLE_1)
	s_add_nc_u64 s[60:61], s[64:65], s[62:63]
	s_mov_b32 s63, s21
	s_add_co_u32 s56, s56, s60
	s_cselect_b32 s2, -1, 0
	s_wait_alu 0xfffe
	s_cmp_lg_u32 s2, 0
	s_add_co_ci_u32 s57, s57, s61
	s_mov_b32 s61, s21
	s_mul_u64 s[58:59], s[58:59], s[56:57]
	s_delay_alu instid0(SALU_CYCLE_1)
	s_mul_hi_u32 s65, s56, s59
	s_mul_i32 s64, s56, s59
	s_mul_hi_u32 s62, s56, s58
	s_mul_i32 s37, s57, s58
	s_add_nc_u64 s[62:63], s[62:63], s[64:65]
	s_mul_hi_u32 s2, s57, s58
	s_mul_hi_u32 s39, s57, s59
	s_wait_alu 0xfffe
	s_add_co_u32 s37, s62, s37
	s_add_co_ci_u32 s60, s63, s2
	s_mul_i32 s58, s57, s59
	s_add_co_ci_u32 s59, s39, 0
	s_delay_alu instid0(SALU_CYCLE_1) | instskip(NEXT) | instid1(SALU_CYCLE_1)
	s_add_nc_u64 s[58:59], s[60:61], s[58:59]
	s_add_co_u32 s2, s56, s58
	s_cselect_b32 s37, -1, 0
	s_wait_alu 0xfffe
	v_mul_hi_u32 v9, v5, s2
	s_cmp_lg_u32 s37, 0
	v_mad_co_u64_u32 v[15:16], null, v7, s2, 0
	s_add_co_ci_u32 s37, s57, s59
	s_wait_alu 0xfffe
	v_mad_co_u64_u32 v[13:14], null, v5, s37, 0
	v_mad_co_u64_u32 v[22:23], null, v7, s37, 0
	s_delay_alu instid0(VALU_DEP_2) | instskip(SKIP_1) | instid1(VALU_DEP_3)
	v_add_co_u32 v9, vcc_lo, v9, v13
	s_wait_alu 0xfffd
	v_add_co_ci_u32_e64 v11, null, 0, v14, vcc_lo
	s_delay_alu instid0(VALU_DEP_2) | instskip(SKIP_1) | instid1(VALU_DEP_2)
	v_add_co_u32 v9, vcc_lo, v9, v15
	s_wait_alu 0xfffd
	v_add_co_ci_u32_e32 v9, vcc_lo, v11, v16, vcc_lo
	s_wait_alu 0xfffd
	v_add_co_ci_u32_e32 v11, vcc_lo, 0, v23, vcc_lo
	s_delay_alu instid0(VALU_DEP_2) | instskip(SKIP_1) | instid1(VALU_DEP_2)
	v_add_co_u32 v9, vcc_lo, v9, v22
	s_wait_alu 0xfffd
	v_add_co_ci_u32_e64 v11, null, 0, v11, vcc_lo
	s_delay_alu instid0(VALU_DEP_2) | instskip(SKIP_1) | instid1(VALU_DEP_3)
	v_mul_lo_u32 v15, s41, v9
	v_mad_co_u64_u32 v[13:14], null, s40, v9, 0
	v_mul_lo_u32 v16, s40, v11
	s_delay_alu instid0(VALU_DEP_2) | instskip(NEXT) | instid1(VALU_DEP_2)
	v_sub_co_u32 v5, vcc_lo, v5, v13
	v_add3_u32 v14, v14, v16, v15
	s_delay_alu instid0(VALU_DEP_1) | instskip(SKIP_2) | instid1(VALU_DEP_2)
	v_sub_nc_u32_e32 v15, v7, v14
	s_wait_alu 0xfffd
	v_sub_co_ci_u32_e64 v7, null, v7, v14, vcc_lo
	v_subrev_co_ci_u32_e64 v13, null, s41, v15, vcc_lo
	v_add_co_u32 v15, s2, v9, 2
	s_wait_alu 0xf1ff
	v_add_co_ci_u32_e64 v16, null, 0, v11, s2
	v_sub_co_u32 v17, s2, v5, s40
	s_wait_alu 0xf1ff
	v_subrev_co_ci_u32_e64 v13, null, 0, v13, s2
	s_delay_alu instid0(VALU_DEP_2) | instskip(SKIP_2) | instid1(VALU_DEP_3)
	v_cmp_le_u32_e32 vcc_lo, s40, v17
	s_wait_alu 0xfffd
	v_cndmask_b32_e64 v14, 0, -1, vcc_lo
	v_cmp_le_u32_e32 vcc_lo, s41, v13
	s_wait_alu 0xfffd
	v_cndmask_b32_e64 v17, 0, -1, vcc_lo
	;; [unrolled: 3-line block ×4, first 2 shown]
	v_cmp_eq_u32_e32 vcc_lo, s41, v13
	s_wait_alu 0xfffd
	v_cndmask_b32_e32 v13, v17, v14, vcc_lo
	v_add_co_u32 v14, vcc_lo, v9, 1
	s_wait_alu 0xfffd
	v_add_co_ci_u32_e64 v17, null, 0, v11, vcc_lo
	v_cmp_eq_u32_e32 vcc_lo, s41, v7
	s_wait_alu 0xfffd
	v_cndmask_b32_e32 v5, v22, v5, vcc_lo
	v_cmp_ne_u32_e32 vcc_lo, 0, v13
	s_delay_alu instid0(VALU_DEP_2) | instskip(SKIP_4) | instid1(VALU_DEP_2)
	v_cmp_ne_u32_e64 s2, 0, v5
	s_wait_alu 0xfffd
	v_cndmask_b32_e32 v5, v14, v15, vcc_lo
	v_cndmask_b32_e32 v7, v17, v16, vcc_lo
	s_wait_alu 0xf1ff
	v_cndmask_b32_e64 v5, v9, v5, s2
	s_delay_alu instid0(VALU_DEP_2) | instskip(NEXT) | instid1(VALU_DEP_2)
	v_cndmask_b32_e64 v7, v11, v7, s2
	v_xor_b32_e32 v5, v5, v3
	s_delay_alu instid0(VALU_DEP_2) | instskip(NEXT) | instid1(VALU_DEP_2)
	v_xor_b32_e32 v7, v7, v3
	v_sub_co_u32 v14, vcc_lo, v5, v3
	s_wait_alu 0xfffd
	s_delay_alu instid0(VALU_DEP_2)
	v_sub_co_ci_u32_e64 v15, null, v7, v3, vcc_lo
.LBB45_30:                              ;   in Loop: Header=BB45_20 Depth=2
	s_wait_alu 0xfffe
	s_and_not1_saveexec_b32 s2, s42
	s_cbranch_execz .LBB45_32
; %bb.31:                               ;   in Loop: Header=BB45_20 Depth=2
	v_cvt_f32_u32_e32 v3, s36
	s_sub_co_i32 s37, 0, s36
	v_mov_b32_e32 v15, v2
	s_delay_alu instid0(VALU_DEP_2) | instskip(NEXT) | instid1(TRANS32_DEP_1)
	v_rcp_iflag_f32_e32 v3, v3
	v_mul_f32_e32 v3, 0x4f7ffffe, v3
	s_delay_alu instid0(VALU_DEP_1) | instskip(SKIP_1) | instid1(VALU_DEP_1)
	v_cvt_u32_f32_e32 v3, v3
	s_wait_alu 0xfffe
	v_mul_lo_u32 v5, s37, v3
	s_delay_alu instid0(VALU_DEP_1) | instskip(NEXT) | instid1(VALU_DEP_1)
	v_mul_hi_u32 v5, v3, v5
	v_add_nc_u32_e32 v3, v3, v5
	s_delay_alu instid0(VALU_DEP_1) | instskip(NEXT) | instid1(VALU_DEP_1)
	v_mul_hi_u32 v3, v12, v3
	v_mul_lo_u32 v5, v3, s36
	v_add_nc_u32_e32 v7, 1, v3
	s_delay_alu instid0(VALU_DEP_2) | instskip(NEXT) | instid1(VALU_DEP_1)
	v_sub_nc_u32_e32 v5, v12, v5
	v_cmp_le_u32_e32 vcc_lo, s36, v5
	v_subrev_nc_u32_e32 v9, s36, v5
	s_wait_alu 0xfffd
	v_cndmask_b32_e32 v3, v3, v7, vcc_lo
	s_delay_alu instid0(VALU_DEP_1) | instskip(NEXT) | instid1(VALU_DEP_3)
	v_add_nc_u32_e32 v7, 1, v3
	v_cndmask_b32_e32 v5, v5, v9, vcc_lo
	s_delay_alu instid0(VALU_DEP_1) | instskip(SKIP_1) | instid1(VALU_DEP_3)
	v_cmp_le_u32_e32 vcc_lo, s36, v5
	s_wait_alu 0xfffd
	v_cndmask_b32_e32 v14, v3, v7, vcc_lo
.LBB45_32:                              ;   in Loop: Header=BB45_20 Depth=2
	s_wait_alu 0xfffe
	s_or_b32 exec_lo, exec_lo, s2
	s_add_co_i32 s38, s20, -3
	s_mov_b32 s39, s21
	s_add_nc_u64 s[46:47], s[0:1], s[46:47]
	s_wait_alu 0xfffe
	s_lshl_b64 s[42:43], s[38:39], 2
                                        ; implicit-def: $vgpr16_vgpr17
	s_mov_b32 s2, exec_lo
	s_wait_alu 0xfffe
	s_add_nc_u64 s[40:41], s[12:13], s[42:43]
	s_clause 0x2
	s_load_b32 s38, s[40:41], 0x8
	s_load_b32 s37, s[44:45], 0x6c
	;; [unrolled: 1-line block ×3, first 2 shown]
	s_wait_kmcnt 0x0
	s_ashr_i32 s39, s38, 31
	s_wait_alu 0xfffe
	v_or_b32_e32 v3, s39, v15
	s_delay_alu instid0(VALU_DEP_1)
	v_cmpx_ne_u64_e32 0, v[2:3]
	s_xor_b32 s56, exec_lo, s2
	s_cbranch_execz .LBB45_34
; %bb.33:                               ;   in Loop: Header=BB45_20 Depth=2
	s_ashr_i32 s44, s39, 31
	s_mov_b32 s63, s21
	s_wait_alu 0xfffe
	s_mov_b32 s45, s44
	s_mov_b32 s67, s21
	s_wait_alu 0xfffe
	s_add_nc_u64 s[46:47], s[38:39], s[44:45]
	v_ashrrev_i32_e32 v3, 31, v15
	s_wait_alu 0xfffe
	s_xor_b64 s[46:47], s[46:47], s[44:45]
	s_wait_alu 0xfffe
	s_cvt_f32_u32 s2, s46
	s_cvt_f32_u32 s39, s47
	s_sub_nc_u64 s[60:61], 0, s[46:47]
	v_add_co_u32 v5, vcc_lo, v14, v3
	s_wait_alu 0xfffe
	s_fmamk_f32 s2, s39, 0x4f800000, s2
	s_wait_alu 0xfffd
	v_add_co_ci_u32_e64 v7, null, v15, v3, vcc_lo
	v_xor_b32_e32 v5, v5, v3
	s_wait_alu 0xfffe
	v_s_rcp_f32 s2, s2
	s_delay_alu instid0(VALU_DEP_2) | instskip(SKIP_1) | instid1(TRANS32_DEP_1)
	v_xor_b32_e32 v7, v7, v3
	v_xor_b32_e32 v3, s44, v3
	s_mul_f32 s2, s2, 0x5f7ffffc
	s_wait_alu 0xfffe
	s_delay_alu instid0(SALU_CYCLE_2) | instskip(SKIP_1) | instid1(SALU_CYCLE_2)
	s_mul_f32 s39, s2, 0x2f800000
	s_wait_alu 0xfffe
	s_trunc_f32 s39, s39
	s_wait_alu 0xfffe
	s_delay_alu instid0(SALU_CYCLE_2) | instskip(SKIP_2) | instid1(SALU_CYCLE_1)
	s_fmamk_f32 s2, s39, 0xcf800000, s2
	s_cvt_u32_f32 s59, s39
	s_wait_alu 0xfffe
	s_cvt_u32_f32 s58, s2
	s_delay_alu instid0(SALU_CYCLE_3) | instskip(NEXT) | instid1(SALU_CYCLE_1)
	s_mul_u64 s[64:65], s[60:61], s[58:59]
	s_mul_hi_u32 s69, s58, s65
	s_mul_i32 s68, s58, s65
	s_mul_hi_u32 s62, s58, s64
	s_mul_i32 s39, s59, s64
	s_add_nc_u64 s[62:63], s[62:63], s[68:69]
	s_mul_hi_u32 s2, s59, s64
	s_mul_hi_u32 s45, s59, s65
	s_wait_alu 0xfffe
	s_add_co_u32 s39, s62, s39
	s_add_co_ci_u32 s66, s63, s2
	s_mul_i32 s64, s59, s65
	s_add_co_ci_u32 s65, s45, 0
	s_delay_alu instid0(SALU_CYCLE_1)
	s_add_nc_u64 s[62:63], s[66:67], s[64:65]
	s_mov_b32 s65, s21
	s_add_co_u32 s58, s58, s62
	s_cselect_b32 s2, -1, 0
	s_wait_alu 0xfffe
	s_cmp_lg_u32 s2, 0
	s_add_co_ci_u32 s59, s59, s63
	s_mov_b32 s63, s21
	s_mul_u64 s[60:61], s[60:61], s[58:59]
	s_delay_alu instid0(SALU_CYCLE_1)
	s_mul_hi_u32 s67, s58, s61
	s_mul_i32 s66, s58, s61
	s_mul_hi_u32 s64, s58, s60
	s_mul_i32 s39, s59, s60
	s_add_nc_u64 s[64:65], s[64:65], s[66:67]
	s_mul_hi_u32 s2, s59, s60
	s_mul_hi_u32 s45, s59, s61
	s_wait_alu 0xfffe
	s_add_co_u32 s39, s64, s39
	s_add_co_ci_u32 s62, s65, s2
	s_mul_i32 s60, s59, s61
	s_add_co_ci_u32 s61, s45, 0
	s_delay_alu instid0(SALU_CYCLE_1) | instskip(NEXT) | instid1(SALU_CYCLE_1)
	s_add_nc_u64 s[60:61], s[62:63], s[60:61]
	s_add_co_u32 s2, s58, s60
	s_cselect_b32 s39, -1, 0
	s_wait_alu 0xfffe
	v_mul_hi_u32 v9, v5, s2
	s_cmp_lg_u32 s39, 0
	v_mad_co_u64_u32 v[22:23], null, v7, s2, 0
	s_add_co_ci_u32 s39, s59, s61
	s_wait_alu 0xfffe
	v_mad_co_u64_u32 v[15:16], null, v5, s39, 0
	v_mad_co_u64_u32 v[24:25], null, v7, s39, 0
	s_delay_alu instid0(VALU_DEP_2) | instskip(SKIP_1) | instid1(VALU_DEP_3)
	v_add_co_u32 v9, vcc_lo, v9, v15
	s_wait_alu 0xfffd
	v_add_co_ci_u32_e64 v11, null, 0, v16, vcc_lo
	s_delay_alu instid0(VALU_DEP_2) | instskip(SKIP_1) | instid1(VALU_DEP_2)
	v_add_co_u32 v9, vcc_lo, v9, v22
	s_wait_alu 0xfffd
	v_add_co_ci_u32_e32 v9, vcc_lo, v11, v23, vcc_lo
	s_wait_alu 0xfffd
	v_add_co_ci_u32_e32 v11, vcc_lo, 0, v25, vcc_lo
	s_delay_alu instid0(VALU_DEP_2) | instskip(SKIP_1) | instid1(VALU_DEP_2)
	v_add_co_u32 v9, vcc_lo, v9, v24
	s_wait_alu 0xfffd
	v_add_co_ci_u32_e64 v11, null, 0, v11, vcc_lo
	s_delay_alu instid0(VALU_DEP_2) | instskip(SKIP_1) | instid1(VALU_DEP_3)
	v_mul_lo_u32 v13, s47, v9
	v_mad_co_u64_u32 v[15:16], null, s46, v9, 0
	v_mul_lo_u32 v17, s46, v11
	s_delay_alu instid0(VALU_DEP_2) | instskip(NEXT) | instid1(VALU_DEP_2)
	v_sub_co_u32 v5, vcc_lo, v5, v15
	v_add3_u32 v13, v16, v17, v13
	s_delay_alu instid0(VALU_DEP_1) | instskip(SKIP_2) | instid1(VALU_DEP_2)
	v_sub_nc_u32_e32 v16, v7, v13
	s_wait_alu 0xfffd
	v_sub_co_ci_u32_e64 v7, null, v7, v13, vcc_lo
	v_subrev_co_ci_u32_e64 v15, null, s47, v16, vcc_lo
	v_add_co_u32 v16, s2, v9, 2
	s_wait_alu 0xf1ff
	v_add_co_ci_u32_e64 v17, null, 0, v11, s2
	v_sub_co_u32 v22, s2, v5, s46
	s_wait_alu 0xf1ff
	v_subrev_co_ci_u32_e64 v15, null, 0, v15, s2
	s_delay_alu instid0(VALU_DEP_2) | instskip(SKIP_2) | instid1(VALU_DEP_3)
	v_cmp_le_u32_e32 vcc_lo, s46, v22
	s_wait_alu 0xfffd
	v_cndmask_b32_e64 v13, 0, -1, vcc_lo
	v_cmp_le_u32_e32 vcc_lo, s47, v15
	s_wait_alu 0xfffd
	v_cndmask_b32_e64 v22, 0, -1, vcc_lo
	;; [unrolled: 3-line block ×4, first 2 shown]
	v_cmp_eq_u32_e32 vcc_lo, s47, v15
	s_wait_alu 0xfffd
	v_cndmask_b32_e32 v13, v22, v13, vcc_lo
	v_add_co_u32 v15, vcc_lo, v9, 1
	s_wait_alu 0xfffd
	v_add_co_ci_u32_e64 v22, null, 0, v11, vcc_lo
	v_cmp_eq_u32_e32 vcc_lo, s47, v7
	s_wait_alu 0xfffd
	v_cndmask_b32_e32 v5, v23, v5, vcc_lo
	v_cmp_ne_u32_e32 vcc_lo, 0, v13
	s_delay_alu instid0(VALU_DEP_2) | instskip(SKIP_4) | instid1(VALU_DEP_2)
	v_cmp_ne_u32_e64 s2, 0, v5
	s_wait_alu 0xfffd
	v_cndmask_b32_e32 v5, v15, v16, vcc_lo
	v_cndmask_b32_e32 v7, v22, v17, vcc_lo
	s_wait_alu 0xf1ff
	v_cndmask_b32_e64 v5, v9, v5, s2
	s_delay_alu instid0(VALU_DEP_2) | instskip(NEXT) | instid1(VALU_DEP_2)
	v_cndmask_b32_e64 v7, v11, v7, s2
	v_xor_b32_e32 v5, v5, v3
	s_delay_alu instid0(VALU_DEP_2) | instskip(NEXT) | instid1(VALU_DEP_2)
	v_xor_b32_e32 v7, v7, v3
	v_sub_co_u32 v16, vcc_lo, v5, v3
	s_wait_alu 0xfffd
	s_delay_alu instid0(VALU_DEP_2)
	v_sub_co_ci_u32_e64 v17, null, v7, v3, vcc_lo
.LBB45_34:                              ;   in Loop: Header=BB45_20 Depth=2
	s_and_not1_saveexec_b32 s2, s56
	s_cbranch_execz .LBB45_36
; %bb.35:                               ;   in Loop: Header=BB45_20 Depth=2
	v_cvt_f32_u32_e32 v3, s38
	s_sub_co_i32 s39, 0, s38
	v_mov_b32_e32 v17, v2
	s_delay_alu instid0(VALU_DEP_2) | instskip(NEXT) | instid1(TRANS32_DEP_1)
	v_rcp_iflag_f32_e32 v3, v3
	v_mul_f32_e32 v3, 0x4f7ffffe, v3
	s_delay_alu instid0(VALU_DEP_1) | instskip(SKIP_1) | instid1(VALU_DEP_1)
	v_cvt_u32_f32_e32 v3, v3
	s_wait_alu 0xfffe
	v_mul_lo_u32 v5, s39, v3
	s_delay_alu instid0(VALU_DEP_1) | instskip(NEXT) | instid1(VALU_DEP_1)
	v_mul_hi_u32 v5, v3, v5
	v_add_nc_u32_e32 v3, v3, v5
	s_delay_alu instid0(VALU_DEP_1) | instskip(NEXT) | instid1(VALU_DEP_1)
	v_mul_hi_u32 v3, v14, v3
	v_mul_lo_u32 v5, v3, s38
	v_add_nc_u32_e32 v7, 1, v3
	s_delay_alu instid0(VALU_DEP_2) | instskip(NEXT) | instid1(VALU_DEP_1)
	v_sub_nc_u32_e32 v5, v14, v5
	v_cmp_le_u32_e32 vcc_lo, s38, v5
	v_subrev_nc_u32_e32 v9, s38, v5
	s_wait_alu 0xfffd
	v_cndmask_b32_e32 v3, v3, v7, vcc_lo
	s_delay_alu instid0(VALU_DEP_1) | instskip(NEXT) | instid1(VALU_DEP_3)
	v_add_nc_u32_e32 v7, 1, v3
	v_cndmask_b32_e32 v5, v5, v9, vcc_lo
	s_delay_alu instid0(VALU_DEP_1) | instskip(SKIP_1) | instid1(VALU_DEP_3)
	v_cmp_le_u32_e32 vcc_lo, s38, v5
	s_wait_alu 0xfffd
	v_cndmask_b32_e32 v16, v3, v7, vcc_lo
.LBB45_36:                              ;   in Loop: Header=BB45_20 Depth=2
	s_wait_alu 0xfffe
	s_or_b32 exec_lo, exec_lo, s2
	s_add_nc_u64 s[42:43], s[0:1], s[42:43]
	v_mul_lo_u32 v3, v10, s30
	s_clause 0x1
	s_load_b32 s2, s[40:41], 0x6c
	s_load_b32 s30, s[42:43], 0x6c
	v_mul_lo_u32 v5, v12, s34
	v_mul_lo_u32 v7, v14, s36
	;; [unrolled: 1-line block ×3, first 2 shown]
	s_add_co_i32 s20, s20, -4
	s_wait_alu 0xfffe
	s_cmp_eq_u32 s20, -1
	v_sub_nc_u32_e32 v3, v8, v3
	s_delay_alu instid0(VALU_DEP_4) | instskip(NEXT) | instid1(VALU_DEP_4)
	v_sub_nc_u32_e32 v5, v10, v5
	v_sub_nc_u32_e32 v7, v12, v7
	s_delay_alu instid0(VALU_DEP_4) | instskip(NEXT) | instid1(VALU_DEP_4)
	v_sub_nc_u32_e32 v8, v14, v9
	v_mul_lo_u32 v9, s29, v3
	v_mul_lo_u32 v3, s31, v3
	;; [unrolled: 1-line block ×6, first 2 shown]
	s_wait_kmcnt 0x0
	v_mul_lo_u32 v12, s2, v8
	v_mul_lo_u32 v8, s30, v8
	v_add3_u32 v6, v9, v6, v10
	v_add3_u32 v3, v3, v4, v5
	s_delay_alu instid0(VALU_DEP_2) | instskip(NEXT) | instid1(VALU_DEP_2)
	v_add3_u32 v6, v11, v6, v12
	v_add3_u32 v4, v7, v3, v8
	s_cbranch_scc1 .LBB45_38
; %bb.37:                               ;   in Loop: Header=BB45_20 Depth=2
	v_dual_mov_b32 v8, v16 :: v_dual_mov_b32 v9, v17
	s_branch .LBB45_20
.LBB45_38:                              ;   in Loop: Header=BB45_3 Depth=1
	v_sub_nc_u32_e32 v8, v20, v21
	v_dual_mov_b32 v11, 0 :: v_dual_mov_b32 v10, 0
	v_mov_b32_e32 v3, 0
	v_mov_b32_e32 v7, 0
	s_delay_alu instid0(VALU_DEP_4) | instskip(SKIP_1) | instid1(VALU_DEP_1)
	v_ashrrev_i32_e32 v9, 31, v8
	s_mov_b32 s2, exec_lo
	v_cmpx_ge_i64_e64 s[4:5], v[8:9]
	s_cbranch_execz .LBB45_48
; %bb.39:                               ;   in Loop: Header=BB45_3 Depth=1
	v_dual_mov_b32 v13, 0 :: v_dual_mov_b32 v12, 0
	v_mov_b32_e32 v7, 0
	v_mov_b32_e32 v3, 0
	s_mov_b32 s20, exec_lo
	v_cmpx_gt_i32_e64 s3, v20
	s_cbranch_execz .LBB45_47
; %bb.40:                               ;   in Loop: Header=BB45_3 Depth=1
	v_ashrrev_i32_e32 v7, 31, v6
	v_dual_mov_b32 v12, 0 :: v_dual_add_nc_u32 v5, 1, v20
	v_mov_b32_e32 v13, 0
	s_mov_b32 s29, exec_lo
	s_delay_alu instid0(VALU_DEP_3) | instskip(SKIP_1) | instid1(VALU_DEP_2)
	v_lshlrev_b64_e32 v[10:11], 1, v[6:7]
	v_mov_b32_e32 v7, 0
	v_add_co_u32 v10, vcc_lo, s10, v10
	s_wait_alu 0xfffd
	s_delay_alu instid0(VALU_DEP_3)
	v_add_co_ci_u32_e64 v11, null, s11, v11, vcc_lo
	global_load_u16 v3, v[10:11], off
	v_cmpx_gt_i32_e64 s3, v5
	s_wait_alu 0xfffe
	s_xor_b32 s29, exec_lo, s29
	s_cbranch_execz .LBB45_46
; %bb.41:                               ;   in Loop: Header=BB45_3 Depth=1
	s_lshl_b64 s[30:31], s[24:25], 1
	v_dual_mov_b32 v12, 0 :: v_dual_add_nc_u32 v5, 2, v20
	s_wait_alu 0xfffe
	v_add_co_u32 v10, vcc_lo, v10, s30
	s_wait_alu 0xfffd
	v_add_co_ci_u32_e64 v11, null, s31, v11, vcc_lo
	v_mov_b32_e32 v13, 0
	s_mov_b32 s30, exec_lo
	global_load_u16 v7, v[10:11], off
	v_cmpx_gt_i32_e64 s3, v5
	s_wait_alu 0xfffe
	s_xor_b32 s30, exec_lo, s30
	s_cbranch_execz .LBB45_45
; %bb.42:                               ;   in Loop: Header=BB45_3 Depth=1
	v_add_nc_u32_e32 v5, s15, v6
	s_mov_b32 s31, exec_lo
	v_mov_b32_e32 v13, 0
	s_delay_alu instid0(VALU_DEP_2) | instskip(NEXT) | instid1(VALU_DEP_1)
	v_ashrrev_i32_e32 v6, 31, v5
	v_lshlrev_b64_e32 v[10:11], 1, v[5:6]
	v_add_nc_u32_e32 v6, 3, v20
	s_delay_alu instid0(VALU_DEP_2) | instskip(SKIP_1) | instid1(VALU_DEP_3)
	v_add_co_u32 v10, vcc_lo, s10, v10
	s_wait_alu 0xfffd
	v_add_co_ci_u32_e64 v11, null, s11, v11, vcc_lo
	global_load_u16 v12, v[10:11], off
	v_cmpx_gt_i32_e64 s3, v6
	s_wait_alu 0xfffe
	s_xor_b32 s31, exec_lo, s31
	s_cbranch_execz .LBB45_44
; %bb.43:                               ;   in Loop: Header=BB45_3 Depth=1
	v_add_nc_u32_e32 v5, s24, v5
	s_delay_alu instid0(VALU_DEP_1) | instskip(NEXT) | instid1(VALU_DEP_1)
	v_ashrrev_i32_e32 v6, 31, v5
	v_lshlrev_b64_e32 v[5:6], 1, v[5:6]
	s_delay_alu instid0(VALU_DEP_1) | instskip(SKIP_1) | instid1(VALU_DEP_2)
	v_add_co_u32 v5, vcc_lo, s10, v5
	s_wait_alu 0xfffd
	v_add_co_ci_u32_e64 v6, null, s11, v6, vcc_lo
	global_load_u16 v13, v[5:6], off
.LBB45_44:                              ;   in Loop: Header=BB45_3 Depth=1
	s_wait_alu 0xfffe
	s_or_b32 exec_lo, exec_lo, s31
.LBB45_45:                              ;   in Loop: Header=BB45_3 Depth=1
	s_wait_alu 0xfffe
	s_or_b32 exec_lo, exec_lo, s30
.LBB45_46:                              ;   in Loop: Header=BB45_3 Depth=1
	s_wait_alu 0xfffe
	s_or_b32 exec_lo, exec_lo, s29
.LBB45_47:                              ;   in Loop: Header=BB45_3 Depth=1
	s_wait_alu 0xfffe
	s_or_b32 exec_lo, exec_lo, s20
	v_add_nc_u32_e32 v5, 1, v8
	v_cmp_ge_i64_e32 vcc_lo, s[4:5], v[8:9]
	v_add_nc_u32_e32 v14, 2, v8
	s_delay_alu instid0(VALU_DEP_3)
	v_ashrrev_i32_e32 v6, 31, v5
	s_wait_loadcnt 0x0
	s_wait_alu 0xfffd
	v_cndmask_b32_e32 v11, 0, v3, vcc_lo
	v_ashrrev_i32_e32 v15, 31, v14
	v_cmp_ge_i64_e32 vcc_lo, s[4:5], v[5:6]
	s_wait_alu 0xfffd
	v_dual_cndmask_b32 v3, 0, v7 :: v_dual_add_nc_u32 v16, 3, v8
	s_delay_alu instid0(VALU_DEP_3) | instskip(NEXT) | instid1(VALU_DEP_2)
	v_cmp_ge_i64_e32 vcc_lo, s[4:5], v[14:15]
	v_ashrrev_i32_e32 v17, 31, v16
	s_wait_alu 0xfffd
	v_cndmask_b32_e32 v10, 0, v12, vcc_lo
	s_delay_alu instid0(VALU_DEP_2)
	v_cmp_ge_i64_e32 vcc_lo, s[4:5], v[16:17]
	s_wait_alu 0xfffd
	v_cndmask_b32_e32 v7, 0, v13, vcc_lo
.LBB45_48:                              ;   in Loop: Header=BB45_3 Depth=1
	s_wait_alu 0xfffe
	s_or_b32 exec_lo, exec_lo, s2
	s_delay_alu instid0(SALU_CYCLE_1)
	s_mov_b32 s2, exec_lo
	v_cmpx_gt_i32_e64 s3, v20
	s_cbranch_execz .LBB45_2
; %bb.49:                               ;   in Loop: Header=BB45_3 Depth=1
	v_ashrrev_i32_e32 v5, 31, v4
	v_add_nc_u32_e32 v8, 1, v20
	s_mov_b32 s20, exec_lo
	s_delay_alu instid0(VALU_DEP_2) | instskip(NEXT) | instid1(VALU_DEP_1)
	v_lshlrev_b64_e32 v[5:6], 1, v[4:5]
	v_add_co_u32 v5, vcc_lo, s18, v5
	s_wait_alu 0xfffd
	s_delay_alu instid0(VALU_DEP_2)
	v_add_co_ci_u32_e64 v6, null, s19, v6, vcc_lo
	global_store_b16 v[5:6], v11, off
	v_cmpx_gt_i32_e64 s3, v8
	s_wait_alu 0xfffe
	s_xor_b32 s20, exec_lo, s20
	s_cbranch_execz .LBB45_2
; %bb.50:                               ;   in Loop: Header=BB45_3 Depth=1
	s_lshl_b64 s[30:31], s[26:27], 1
	v_add_nc_u32_e32 v8, 2, v20
	s_wait_alu 0xfffe
	v_add_co_u32 v5, vcc_lo, v5, s30
	s_wait_alu 0xfffd
	v_add_co_ci_u32_e64 v6, null, s31, v6, vcc_lo
	s_mov_b32 s20, exec_lo
	global_store_b16 v[5:6], v3, off
	v_cmpx_gt_i32_e64 s3, v8
	s_wait_alu 0xfffe
	s_xor_b32 s20, exec_lo, s20
	s_cbranch_execz .LBB45_2
; %bb.51:                               ;   in Loop: Header=BB45_3 Depth=1
	v_add_nc_u32_e32 v3, s17, v4
	v_add_nc_u32_e32 v6, 3, v20
	s_mov_b32 s20, exec_lo
	s_delay_alu instid0(VALU_DEP_2) | instskip(NEXT) | instid1(VALU_DEP_1)
	v_ashrrev_i32_e32 v4, 31, v3
	v_lshlrev_b64_e32 v[4:5], 1, v[3:4]
	s_delay_alu instid0(VALU_DEP_1) | instskip(SKIP_1) | instid1(VALU_DEP_2)
	v_add_co_u32 v4, vcc_lo, s18, v4
	s_wait_alu 0xfffd
	v_add_co_ci_u32_e64 v5, null, s19, v5, vcc_lo
	global_store_b16 v[4:5], v10, off
	v_cmpx_gt_i32_e64 s3, v6
	s_wait_alu 0xfffe
	s_xor_b32 s20, exec_lo, s20
	s_cbranch_execz .LBB45_2
; %bb.52:                               ;   in Loop: Header=BB45_3 Depth=1
	v_add_nc_u32_e32 v3, s26, v3
	s_delay_alu instid0(VALU_DEP_1) | instskip(NEXT) | instid1(VALU_DEP_1)
	v_ashrrev_i32_e32 v4, 31, v3
	v_lshlrev_b64_e32 v[3:4], 1, v[3:4]
	s_delay_alu instid0(VALU_DEP_1) | instskip(SKIP_1) | instid1(VALU_DEP_2)
	v_add_co_u32 v3, vcc_lo, s18, v3
	s_wait_alu 0xfffd
	v_add_co_ci_u32_e64 v4, null, s19, v4, vcc_lo
	global_store_b16 v[3:4], v7, off
	s_branch .LBB45_2
.LBB45_53:
	s_endpgm
	.section	.rodata,"a",@progbits
	.p2align	6, 0x0
	.amdhsa_kernel _ZN2at6native16triu_tril_kernelIN3c108BFloat16EiLb0ELi4ELb0EEEvNS_4cuda6detail10TensorInfoIT_T0_EENS6_IKS7_S8_EEllS8_
		.amdhsa_group_segment_fixed_size 0
		.amdhsa_private_segment_fixed_size 0
		.amdhsa_kernarg_size 712
		.amdhsa_user_sgpr_count 2
		.amdhsa_user_sgpr_dispatch_ptr 0
		.amdhsa_user_sgpr_queue_ptr 0
		.amdhsa_user_sgpr_kernarg_segment_ptr 1
		.amdhsa_user_sgpr_dispatch_id 0
		.amdhsa_user_sgpr_private_segment_size 0
		.amdhsa_wavefront_size32 1
		.amdhsa_uses_dynamic_stack 0
		.amdhsa_enable_private_segment 0
		.amdhsa_system_sgpr_workgroup_id_x 1
		.amdhsa_system_sgpr_workgroup_id_y 0
		.amdhsa_system_sgpr_workgroup_id_z 0
		.amdhsa_system_sgpr_workgroup_info 0
		.amdhsa_system_vgpr_workitem_id 0
		.amdhsa_next_free_vgpr 26
		.amdhsa_next_free_sgpr 70
		.amdhsa_reserve_vcc 1
		.amdhsa_float_round_mode_32 0
		.amdhsa_float_round_mode_16_64 0
		.amdhsa_float_denorm_mode_32 3
		.amdhsa_float_denorm_mode_16_64 3
		.amdhsa_fp16_overflow 0
		.amdhsa_workgroup_processor_mode 1
		.amdhsa_memory_ordered 1
		.amdhsa_forward_progress 1
		.amdhsa_inst_pref_size 68
		.amdhsa_round_robin_scheduling 0
		.amdhsa_exception_fp_ieee_invalid_op 0
		.amdhsa_exception_fp_denorm_src 0
		.amdhsa_exception_fp_ieee_div_zero 0
		.amdhsa_exception_fp_ieee_overflow 0
		.amdhsa_exception_fp_ieee_underflow 0
		.amdhsa_exception_fp_ieee_inexact 0
		.amdhsa_exception_int_div_zero 0
	.end_amdhsa_kernel
	.section	.text._ZN2at6native16triu_tril_kernelIN3c108BFloat16EiLb0ELi4ELb0EEEvNS_4cuda6detail10TensorInfoIT_T0_EENS6_IKS7_S8_EEllS8_,"axG",@progbits,_ZN2at6native16triu_tril_kernelIN3c108BFloat16EiLb0ELi4ELb0EEEvNS_4cuda6detail10TensorInfoIT_T0_EENS6_IKS7_S8_EEllS8_,comdat
.Lfunc_end45:
	.size	_ZN2at6native16triu_tril_kernelIN3c108BFloat16EiLb0ELi4ELb0EEEvNS_4cuda6detail10TensorInfoIT_T0_EENS6_IKS7_S8_EEllS8_, .Lfunc_end45-_ZN2at6native16triu_tril_kernelIN3c108BFloat16EiLb0ELi4ELb0EEEvNS_4cuda6detail10TensorInfoIT_T0_EENS6_IKS7_S8_EEllS8_
                                        ; -- End function
	.set _ZN2at6native16triu_tril_kernelIN3c108BFloat16EiLb0ELi4ELb0EEEvNS_4cuda6detail10TensorInfoIT_T0_EENS6_IKS7_S8_EEllS8_.num_vgpr, 26
	.set _ZN2at6native16triu_tril_kernelIN3c108BFloat16EiLb0ELi4ELb0EEEvNS_4cuda6detail10TensorInfoIT_T0_EENS6_IKS7_S8_EEllS8_.num_agpr, 0
	.set _ZN2at6native16triu_tril_kernelIN3c108BFloat16EiLb0ELi4ELb0EEEvNS_4cuda6detail10TensorInfoIT_T0_EENS6_IKS7_S8_EEllS8_.numbered_sgpr, 70
	.set _ZN2at6native16triu_tril_kernelIN3c108BFloat16EiLb0ELi4ELb0EEEvNS_4cuda6detail10TensorInfoIT_T0_EENS6_IKS7_S8_EEllS8_.num_named_barrier, 0
	.set _ZN2at6native16triu_tril_kernelIN3c108BFloat16EiLb0ELi4ELb0EEEvNS_4cuda6detail10TensorInfoIT_T0_EENS6_IKS7_S8_EEllS8_.private_seg_size, 0
	.set _ZN2at6native16triu_tril_kernelIN3c108BFloat16EiLb0ELi4ELb0EEEvNS_4cuda6detail10TensorInfoIT_T0_EENS6_IKS7_S8_EEllS8_.uses_vcc, 1
	.set _ZN2at6native16triu_tril_kernelIN3c108BFloat16EiLb0ELi4ELb0EEEvNS_4cuda6detail10TensorInfoIT_T0_EENS6_IKS7_S8_EEllS8_.uses_flat_scratch, 0
	.set _ZN2at6native16triu_tril_kernelIN3c108BFloat16EiLb0ELi4ELb0EEEvNS_4cuda6detail10TensorInfoIT_T0_EENS6_IKS7_S8_EEllS8_.has_dyn_sized_stack, 0
	.set _ZN2at6native16triu_tril_kernelIN3c108BFloat16EiLb0ELi4ELb0EEEvNS_4cuda6detail10TensorInfoIT_T0_EENS6_IKS7_S8_EEllS8_.has_recursion, 0
	.set _ZN2at6native16triu_tril_kernelIN3c108BFloat16EiLb0ELi4ELb0EEEvNS_4cuda6detail10TensorInfoIT_T0_EENS6_IKS7_S8_EEllS8_.has_indirect_call, 0
	.section	.AMDGPU.csdata,"",@progbits
; Kernel info:
; codeLenInByte = 8692
; TotalNumSgprs: 72
; NumVgprs: 26
; ScratchSize: 0
; MemoryBound: 0
; FloatMode: 240
; IeeeMode: 1
; LDSByteSize: 0 bytes/workgroup (compile time only)
; SGPRBlocks: 0
; VGPRBlocks: 3
; NumSGPRsForWavesPerEU: 72
; NumVGPRsForWavesPerEU: 26
; Occupancy: 16
; WaveLimiterHint : 1
; COMPUTE_PGM_RSRC2:SCRATCH_EN: 0
; COMPUTE_PGM_RSRC2:USER_SGPR: 2
; COMPUTE_PGM_RSRC2:TRAP_HANDLER: 0
; COMPUTE_PGM_RSRC2:TGID_X_EN: 1
; COMPUTE_PGM_RSRC2:TGID_Y_EN: 0
; COMPUTE_PGM_RSRC2:TGID_Z_EN: 0
; COMPUTE_PGM_RSRC2:TIDIG_COMP_CNT: 0
	.section	.text._ZN2at6native16triu_tril_kernelIN3c108BFloat16ElLb0ELi4ELb1EEEvNS_4cuda6detail10TensorInfoIT_T0_EENS6_IKS7_S8_EEllS8_,"axG",@progbits,_ZN2at6native16triu_tril_kernelIN3c108BFloat16ElLb0ELi4ELb1EEEvNS_4cuda6detail10TensorInfoIT_T0_EENS6_IKS7_S8_EEllS8_,comdat
	.protected	_ZN2at6native16triu_tril_kernelIN3c108BFloat16ElLb0ELi4ELb1EEEvNS_4cuda6detail10TensorInfoIT_T0_EENS6_IKS7_S8_EEllS8_ ; -- Begin function _ZN2at6native16triu_tril_kernelIN3c108BFloat16ElLb0ELi4ELb1EEEvNS_4cuda6detail10TensorInfoIT_T0_EENS6_IKS7_S8_EEllS8_
	.globl	_ZN2at6native16triu_tril_kernelIN3c108BFloat16ElLb0ELi4ELb1EEEvNS_4cuda6detail10TensorInfoIT_T0_EENS6_IKS7_S8_EEllS8_
	.p2align	8
	.type	_ZN2at6native16triu_tril_kernelIN3c108BFloat16ElLb0ELi4ELb1EEEvNS_4cuda6detail10TensorInfoIT_T0_EENS6_IKS7_S8_EEllS8_,@function
_ZN2at6native16triu_tril_kernelIN3c108BFloat16ElLb0ELi4ELb1EEEvNS_4cuda6detail10TensorInfoIT_T0_EENS6_IKS7_S8_EEllS8_: ; @_ZN2at6native16triu_tril_kernelIN3c108BFloat16ElLb0ELi4ELb1EEEvNS_4cuda6detail10TensorInfoIT_T0_EENS6_IKS7_S8_EEllS8_
; %bb.0:
	s_clause 0x1
	s_load_b32 s2, s[0:1], 0x364
	s_load_b128 s[4:7], s[0:1], 0x340
	v_mov_b32_e32 v2, 0
	s_mov_b32 s3, exec_lo
	s_delay_alu instid0(VALU_DEP_1)
	v_mov_b32_e32 v1, v2
	s_wait_kmcnt 0x0
	s_and_b32 s2, s2, 0xffff
	s_delay_alu instid0(VALU_DEP_1) | instid1(SALU_CYCLE_1)
	v_mad_co_u64_u32 v[0:1], null, s2, ttmp9, v[0:1]
	s_delay_alu instid0(VALU_DEP_1) | instskip(NEXT) | instid1(VALU_DEP_1)
	v_lshlrev_b64_e32 v[0:1], 2, v[0:1]
	v_cmpx_gt_i64_e64 s[6:7], v[0:1]
	s_cbranch_execz .LBB46_49
; %bb.1:
	s_load_b32 s22, s[0:1], 0x338
	s_add_nc_u64 s[12:13], s[0:1], 0x358
	s_clause 0x1
	s_load_b64 s[8:9], s[0:1], 0x350
	s_load_b64 s[10:11], s[0:1], 0x0
	s_add_nc_u64 s[28:29], s[0:1], 0x1a0
	s_load_b32 s3, s[12:13], 0x0
	s_movk_i32 s18, 0xffe0
	s_add_nc_u64 s[16:17], s[0:1], 0xb8
	s_mov_b32 s19, -1
	s_add_nc_u64 s[34:35], s[0:1], 0x190
	s_mov_b32 s65, 0
	s_wait_kmcnt 0x0
	s_add_co_i32 s14, s22, -2
	v_cvt_f32_u32_e32 v3, s8
	s_ashr_i32 s15, s14, 31
	s_add_co_i32 s20, s22, -3
	s_lshl_b64 s[12:13], s[14:15], 3
	s_ashr_i32 s23, s22, 31
	s_add_nc_u64 s[12:13], s[28:29], s[12:13]
	v_rcp_iflag_f32_e32 v3, v3
	s_load_b64 s[12:13], s[12:13], 0x8
	s_mul_i32 s24, s3, s2
	s_and_b32 s25, s20, 3
	s_lshl_b64 s[2:3], s[22:23], 3
	s_ashr_i32 s21, s20, 31
	s_and_b32 s14, s14, 3
	s_lshl_b32 s62, s24, 2
	s_cmp_lg_u32 s25, 3
	v_cmp_gt_i64_e64 s33, s[22:23], 2
	s_cselect_b32 s63, -1, 0
	s_cmp_gt_u32 s20, 2
	s_wait_alu 0xfffe
	s_add_nc_u64 s[22:23], s[0:1], s[2:3]
	s_add_nc_u64 s[24:25], s[28:29], s[2:3]
	s_cselect_b32 s64, -1, 0
	s_lshl_b64 s[2:3], s[20:21], 3
	s_mov_b32 s15, 0
	s_wait_alu 0xfffe
	s_add_nc_u64 s[30:31], s[0:1], s[2:3]
	s_add_nc_u64 s[2:3], s[28:29], s[2:3]
	s_mov_b64 s[26:27], s[14:15]
	s_add_nc_u64 s[28:29], s[30:31], 0xd0
	s_wait_kmcnt 0x0
	v_cvt_f32_u32_e32 v4, s12
	s_wait_alu 0xfffe
	s_add_nc_u64 s[30:31], s[2:3], 8
	s_ashr_i32 s36, s9, 31
	s_delay_alu instid0(VALU_DEP_1) | instskip(NEXT) | instid1(TRANS32_DEP_1)
	v_rcp_iflag_f32_e32 v4, v4
	v_dual_mul_f32 v3, 0x4f7ffffe, v3 :: v_dual_mul_f32 v4, 0x4f7ffffe, v4
	s_delay_alu instid0(VALU_DEP_1) | instskip(NEXT) | instid1(VALU_DEP_2)
	v_cvt_u32_f32_e32 v20, v3
	v_cvt_u32_f32_e32 v21, v4
	s_branch .LBB46_3
.LBB46_2:                               ;   in Loop: Header=BB46_3 Depth=1
	s_wait_alu 0xfffe
	s_or_b32 exec_lo, exec_lo, s37
	v_add_co_u32 v0, vcc_lo, v0, s62
	s_wait_alu 0xfffd
	v_add_co_ci_u32_e64 v1, null, 0, v1, vcc_lo
	s_delay_alu instid0(VALU_DEP_1) | instskip(SKIP_1) | instid1(SALU_CYCLE_1)
	v_cmp_le_i64_e32 vcc_lo, s[6:7], v[0:1]
	s_or_b32 s65, vcc_lo, s65
	s_and_not1_b32 exec_lo, exec_lo, s65
	s_cbranch_execz .LBB46_49
.LBB46_3:                               ; =>This Loop Header: Depth=1
                                        ;     Child Loop BB46_17 Depth 2
                                        ;     Child Loop BB46_22 Depth 2
	v_or_b32_e32 v3, s9, v1
                                        ; implicit-def: $vgpr6_vgpr7
	s_mov_b32 s0, exec_lo
	s_delay_alu instid0(VALU_DEP_1)
	v_cmpx_ne_u64_e32 0, v[2:3]
	s_wait_alu 0xfffe
	s_xor_b32 s1, exec_lo, s0
	s_cbranch_execz .LBB46_5
; %bb.4:                                ;   in Loop: Header=BB46_3 Depth=1
	s_mov_b32 s37, s36
	v_ashrrev_i32_e32 v9, 31, v1
	s_wait_alu 0xfffe
	s_add_nc_u64 s[2:3], s[8:9], s[36:37]
	s_wait_alu 0xfffe
	s_xor_b64 s[2:3], s[2:3], s[36:37]
	v_add_co_u32 v3, vcc_lo, v0, v9
	s_wait_alu 0xfffe
	s_cvt_f32_u32 s0, s2
	s_cvt_f32_u32 s14, s3
	s_sub_nc_u64 s[40:41], 0, s[2:3]
	s_wait_alu 0xfffd
	v_add_co_ci_u32_e64 v4, null, v1, v9, vcc_lo
	s_wait_alu 0xfffe
	s_fmamk_f32 s0, s14, 0x4f800000, s0
	v_xor_b32_e32 v10, v3, v9
	s_delay_alu instid0(VALU_DEP_2) | instskip(SKIP_2) | instid1(TRANS32_DEP_1)
	v_xor_b32_e32 v11, v4, v9
	s_wait_alu 0xfffe
	v_s_rcp_f32 s0, s0
	s_mul_f32 s0, s0, 0x5f7ffffc
	s_wait_alu 0xfffe
	s_delay_alu instid0(SALU_CYCLE_2) | instskip(SKIP_1) | instid1(SALU_CYCLE_2)
	s_mul_f32 s14, s0, 0x2f800000
	s_wait_alu 0xfffe
	s_trunc_f32 s14, s14
	s_wait_alu 0xfffe
	s_delay_alu instid0(SALU_CYCLE_2) | instskip(SKIP_2) | instid1(SALU_CYCLE_1)
	s_fmamk_f32 s0, s14, 0xcf800000, s0
	s_cvt_u32_f32 s39, s14
	s_wait_alu 0xfffe
	s_cvt_u32_f32 s38, s0
	s_wait_alu 0xfffe
	s_delay_alu instid0(SALU_CYCLE_2) | instskip(NEXT) | instid1(SALU_CYCLE_1)
	s_mul_u64 s[42:43], s[40:41], s[38:39]
	s_mul_hi_u32 s45, s38, s43
	s_mul_i32 s44, s38, s43
	s_mul_hi_u32 s14, s38, s42
	s_mul_i32 s37, s39, s42
	s_wait_alu 0xfffe
	s_add_nc_u64 s[44:45], s[14:15], s[44:45]
	s_mul_hi_u32 s0, s39, s42
	s_mul_hi_u32 s46, s39, s43
	s_wait_alu 0xfffe
	s_add_co_u32 s14, s44, s37
	s_add_co_ci_u32 s14, s45, s0
	s_mul_i32 s42, s39, s43
	s_add_co_ci_u32 s43, s46, 0
	s_wait_alu 0xfffe
	s_add_nc_u64 s[42:43], s[14:15], s[42:43]
	s_delay_alu instid0(SALU_CYCLE_1)
	s_add_co_u32 s38, s38, s42
	s_cselect_b32 s0, -1, 0
	s_wait_alu 0xfffe
	s_cmp_lg_u32 s0, 0
	s_add_co_ci_u32 s39, s39, s43
	s_wait_alu 0xfffe
	s_mul_u64 s[40:41], s[40:41], s[38:39]
	s_wait_alu 0xfffe
	s_mul_hi_u32 s43, s38, s41
	s_mul_i32 s42, s38, s41
	s_mul_hi_u32 s14, s38, s40
	s_mul_i32 s37, s39, s40
	s_wait_alu 0xfffe
	s_add_nc_u64 s[42:43], s[14:15], s[42:43]
	s_mul_hi_u32 s0, s39, s40
	s_mul_hi_u32 s44, s39, s41
	s_add_co_u32 s14, s42, s37
	s_wait_alu 0xfffe
	s_add_co_ci_u32 s14, s43, s0
	s_mul_i32 s40, s39, s41
	s_add_co_ci_u32 s41, s44, 0
	s_wait_alu 0xfffe
	s_add_nc_u64 s[40:41], s[14:15], s[40:41]
	s_wait_alu 0xfffe
	s_add_co_u32 s0, s38, s40
	s_cselect_b32 s14, -1, 0
	s_wait_alu 0xfffe
	v_mul_hi_u32 v12, v10, s0
	s_cmp_lg_u32 s14, 0
	v_mad_co_u64_u32 v[5:6], null, v11, s0, 0
	s_add_co_ci_u32 s14, s39, s41
	s_wait_alu 0xfffe
	v_mad_co_u64_u32 v[3:4], null, v10, s14, 0
	v_mad_co_u64_u32 v[7:8], null, v11, s14, 0
	s_delay_alu instid0(VALU_DEP_2) | instskip(SKIP_1) | instid1(VALU_DEP_3)
	v_add_co_u32 v3, vcc_lo, v12, v3
	s_wait_alu 0xfffd
	v_add_co_ci_u32_e64 v4, null, 0, v4, vcc_lo
	s_delay_alu instid0(VALU_DEP_2) | instskip(SKIP_1) | instid1(VALU_DEP_2)
	v_add_co_u32 v3, vcc_lo, v3, v5
	s_wait_alu 0xfffd
	v_add_co_ci_u32_e32 v3, vcc_lo, v4, v6, vcc_lo
	s_wait_alu 0xfffd
	v_add_co_ci_u32_e32 v4, vcc_lo, 0, v8, vcc_lo
	s_delay_alu instid0(VALU_DEP_2) | instskip(SKIP_1) | instid1(VALU_DEP_2)
	v_add_co_u32 v5, vcc_lo, v3, v7
	s_wait_alu 0xfffd
	v_add_co_ci_u32_e64 v6, null, 0, v4, vcc_lo
	s_delay_alu instid0(VALU_DEP_2) | instskip(SKIP_1) | instid1(VALU_DEP_3)
	v_mul_lo_u32 v7, s3, v5
	v_mad_co_u64_u32 v[3:4], null, s2, v5, 0
	v_mul_lo_u32 v8, s2, v6
	s_delay_alu instid0(VALU_DEP_2) | instskip(NEXT) | instid1(VALU_DEP_2)
	v_sub_co_u32 v3, vcc_lo, v10, v3
	v_add3_u32 v4, v4, v8, v7
	v_add_co_u32 v8, s0, v5, 2
	s_wait_alu 0xf1ff
	v_add_co_ci_u32_e64 v10, null, 0, v6, s0
	s_delay_alu instid0(VALU_DEP_3) | instskip(SKIP_3) | instid1(VALU_DEP_3)
	v_sub_nc_u32_e32 v7, v11, v4
	v_sub_co_u32 v12, s0, v3, s2
	s_wait_alu 0xfffd
	v_sub_co_ci_u32_e64 v4, null, v11, v4, vcc_lo
	v_subrev_co_ci_u32_e64 v7, null, s3, v7, vcc_lo
	s_delay_alu instid0(VALU_DEP_3) | instskip(SKIP_1) | instid1(VALU_DEP_2)
	v_cmp_le_u32_e32 vcc_lo, s2, v12
	s_wait_alu 0xf1ff
	v_subrev_co_ci_u32_e64 v7, null, 0, v7, s0
	s_wait_alu 0xfffd
	v_cndmask_b32_e64 v11, 0, -1, vcc_lo
	s_delay_alu instid0(VALU_DEP_2)
	v_cmp_le_u32_e32 vcc_lo, s3, v7
	s_wait_alu 0xfffd
	v_cndmask_b32_e64 v12, 0, -1, vcc_lo
	v_cmp_le_u32_e32 vcc_lo, s2, v3
	s_wait_alu 0xfffd
	v_cndmask_b32_e64 v3, 0, -1, vcc_lo
	;; [unrolled: 3-line block ×3, first 2 shown]
	v_cmp_eq_u32_e32 vcc_lo, s3, v7
	s_wait_alu 0xfffd
	v_cndmask_b32_e32 v7, v12, v11, vcc_lo
	v_add_co_u32 v11, vcc_lo, v5, 1
	s_wait_alu 0xfffd
	v_add_co_ci_u32_e64 v12, null, 0, v6, vcc_lo
	v_cmp_eq_u32_e32 vcc_lo, s3, v4
	s_wait_alu 0xfffd
	v_cndmask_b32_e32 v3, v13, v3, vcc_lo
	v_cmp_ne_u32_e32 vcc_lo, 0, v7
	v_xor_b32_e32 v7, s36, v9
	s_wait_alu 0xfffd
	v_cndmask_b32_e32 v4, v12, v10, vcc_lo
	v_cmp_ne_u32_e64 s0, 0, v3
	v_cndmask_b32_e32 v3, v11, v8, vcc_lo
	s_wait_alu 0xf1ff
	s_delay_alu instid0(VALU_DEP_2) | instskip(NEXT) | instid1(VALU_DEP_2)
	v_cndmask_b32_e64 v4, v6, v4, s0
	v_cndmask_b32_e64 v3, v5, v3, s0
	s_delay_alu instid0(VALU_DEP_2) | instskip(NEXT) | instid1(VALU_DEP_2)
	v_xor_b32_e32 v4, v4, v7
	v_xor_b32_e32 v3, v3, v7
	s_delay_alu instid0(VALU_DEP_1) | instskip(SKIP_1) | instid1(VALU_DEP_3)
	v_sub_co_u32 v6, vcc_lo, v3, v7
	s_wait_alu 0xfffd
	v_sub_co_ci_u32_e64 v7, null, v4, v7, vcc_lo
.LBB46_5:                               ;   in Loop: Header=BB46_3 Depth=1
	s_wait_alu 0xfffe
	s_and_not1_saveexec_b32 s0, s1
	s_cbranch_execz .LBB46_7
; %bb.6:                                ;   in Loop: Header=BB46_3 Depth=1
	s_sub_co_i32 s1, 0, s8
	v_mov_b32_e32 v7, v2
	s_wait_alu 0xfffe
	v_mul_lo_u32 v3, s1, v20
	s_delay_alu instid0(VALU_DEP_1) | instskip(NEXT) | instid1(VALU_DEP_1)
	v_mul_hi_u32 v3, v20, v3
	v_add_nc_u32_e32 v3, v20, v3
	s_delay_alu instid0(VALU_DEP_1) | instskip(NEXT) | instid1(VALU_DEP_1)
	v_mul_hi_u32 v3, v0, v3
	v_mul_lo_u32 v4, v3, s8
	s_delay_alu instid0(VALU_DEP_1) | instskip(NEXT) | instid1(VALU_DEP_1)
	v_sub_nc_u32_e32 v4, v0, v4
	v_subrev_nc_u32_e32 v6, s8, v4
	v_cmp_le_u32_e32 vcc_lo, s8, v4
	s_wait_alu 0xfffd
	s_delay_alu instid0(VALU_DEP_2) | instskip(NEXT) | instid1(VALU_DEP_1)
	v_dual_cndmask_b32 v4, v4, v6 :: v_dual_add_nc_u32 v5, 1, v3
	v_cndmask_b32_e32 v3, v3, v5, vcc_lo
	s_delay_alu instid0(VALU_DEP_2) | instskip(NEXT) | instid1(VALU_DEP_2)
	v_cmp_le_u32_e32 vcc_lo, s8, v4
	v_add_nc_u32_e32 v5, 1, v3
	s_wait_alu 0xfffd
	s_delay_alu instid0(VALU_DEP_1)
	v_cndmask_b32_e32 v6, v3, v5, vcc_lo
.LBB46_7:                               ;   in Loop: Header=BB46_3 Depth=1
	s_wait_alu 0xfffe
	s_or_b32 exec_lo, exec_lo, s0
	v_or_b32_e32 v3, s13, v7
                                        ; implicit-def: $vgpr8_vgpr9
	s_mov_b32 s0, exec_lo
	s_delay_alu instid0(VALU_DEP_1)
	v_cmpx_ne_u64_e32 0, v[2:3]
	s_wait_alu 0xfffe
	s_xor_b32 s1, exec_lo, s0
	s_cbranch_execz .LBB46_9
; %bb.8:                                ;   in Loop: Header=BB46_3 Depth=1
	s_ashr_i32 s2, s13, 31
	v_ashrrev_i32_e32 v5, 31, v7
	s_wait_alu 0xfffe
	s_mov_b32 s3, s2
	s_wait_alu 0xfffe
	s_add_nc_u64 s[38:39], s[12:13], s[2:3]
	v_add_co_u32 v3, vcc_lo, v6, v5
	s_wait_alu 0xfffe
	s_xor_b64 s[38:39], s[38:39], s[2:3]
	s_wait_alu 0xfffd
	v_add_co_ci_u32_e64 v4, null, v7, v5, vcc_lo
	s_wait_alu 0xfffe
	s_cvt_f32_u32 s0, s38
	s_cvt_f32_u32 s3, s39
	s_sub_nc_u64 s[42:43], 0, s[38:39]
	v_xor_b32_e32 v12, v3, v5
	v_xor_b32_e32 v13, v4, v5
	s_wait_alu 0xfffe
	s_fmamk_f32 s0, s3, 0x4f800000, s0
	v_xor_b32_e32 v5, s2, v5
	s_wait_alu 0xfffe
	s_delay_alu instid0(SALU_CYCLE_1) | instskip(NEXT) | instid1(TRANS32_DEP_1)
	v_s_rcp_f32 s0, s0
	s_mul_f32 s0, s0, 0x5f7ffffc
	s_wait_alu 0xfffe
	s_delay_alu instid0(SALU_CYCLE_2) | instskip(SKIP_1) | instid1(SALU_CYCLE_2)
	s_mul_f32 s3, s0, 0x2f800000
	s_wait_alu 0xfffe
	s_trunc_f32 s3, s3
	s_wait_alu 0xfffe
	s_delay_alu instid0(SALU_CYCLE_2) | instskip(SKIP_2) | instid1(SALU_CYCLE_1)
	s_fmamk_f32 s0, s3, 0xcf800000, s0
	s_cvt_u32_f32 s41, s3
	s_wait_alu 0xfffe
	s_cvt_u32_f32 s40, s0
	s_wait_alu 0xfffe
	s_delay_alu instid0(SALU_CYCLE_2)
	s_mul_u64 s[44:45], s[42:43], s[40:41]
	s_wait_alu 0xfffe
	s_mul_hi_u32 s47, s40, s45
	s_mul_i32 s46, s40, s45
	s_mul_hi_u32 s14, s40, s44
	s_mul_i32 s3, s41, s44
	s_wait_alu 0xfffe
	s_add_nc_u64 s[46:47], s[14:15], s[46:47]
	s_mul_hi_u32 s0, s41, s44
	s_mul_hi_u32 s37, s41, s45
	s_wait_alu 0xfffe
	s_add_co_u32 s3, s46, s3
	s_add_co_ci_u32 s14, s47, s0
	s_mul_i32 s44, s41, s45
	s_add_co_ci_u32 s45, s37, 0
	s_wait_alu 0xfffe
	s_add_nc_u64 s[44:45], s[14:15], s[44:45]
	s_wait_alu 0xfffe
	s_add_co_u32 s40, s40, s44
	s_cselect_b32 s0, -1, 0
	s_wait_alu 0xfffe
	s_cmp_lg_u32 s0, 0
	s_add_co_ci_u32 s41, s41, s45
	s_wait_alu 0xfffe
	s_mul_u64 s[42:43], s[42:43], s[40:41]
	s_delay_alu instid0(SALU_CYCLE_1)
	s_mul_hi_u32 s45, s40, s43
	s_mul_i32 s44, s40, s43
	s_mul_hi_u32 s14, s40, s42
	s_mul_i32 s3, s41, s42
	s_wait_alu 0xfffe
	s_add_nc_u64 s[44:45], s[14:15], s[44:45]
	s_mul_hi_u32 s0, s41, s42
	s_mul_hi_u32 s37, s41, s43
	s_wait_alu 0xfffe
	s_add_co_u32 s3, s44, s3
	s_add_co_ci_u32 s14, s45, s0
	s_mul_i32 s42, s41, s43
	s_add_co_ci_u32 s43, s37, 0
	s_wait_alu 0xfffe
	s_add_nc_u64 s[42:43], s[14:15], s[42:43]
	s_delay_alu instid0(SALU_CYCLE_1)
	s_add_co_u32 s0, s40, s42
	s_cselect_b32 s3, -1, 0
	s_wait_alu 0xfffe
	v_mul_hi_u32 v14, v12, s0
	s_cmp_lg_u32 s3, 0
	v_mad_co_u64_u32 v[8:9], null, v13, s0, 0
	s_add_co_ci_u32 s3, s41, s43
	s_wait_alu 0xfffe
	v_mad_co_u64_u32 v[3:4], null, v12, s3, 0
	v_mad_co_u64_u32 v[10:11], null, v13, s3, 0
	s_delay_alu instid0(VALU_DEP_2) | instskip(SKIP_1) | instid1(VALU_DEP_3)
	v_add_co_u32 v3, vcc_lo, v14, v3
	s_wait_alu 0xfffd
	v_add_co_ci_u32_e64 v4, null, 0, v4, vcc_lo
	s_delay_alu instid0(VALU_DEP_2) | instskip(SKIP_1) | instid1(VALU_DEP_2)
	v_add_co_u32 v3, vcc_lo, v3, v8
	s_wait_alu 0xfffd
	v_add_co_ci_u32_e32 v3, vcc_lo, v4, v9, vcc_lo
	s_wait_alu 0xfffd
	v_add_co_ci_u32_e32 v4, vcc_lo, 0, v11, vcc_lo
	s_delay_alu instid0(VALU_DEP_2) | instskip(SKIP_1) | instid1(VALU_DEP_2)
	v_add_co_u32 v8, vcc_lo, v3, v10
	s_wait_alu 0xfffd
	v_add_co_ci_u32_e64 v9, null, 0, v4, vcc_lo
	s_delay_alu instid0(VALU_DEP_2) | instskip(SKIP_1) | instid1(VALU_DEP_3)
	v_mul_lo_u32 v10, s39, v8
	v_mad_co_u64_u32 v[3:4], null, s38, v8, 0
	v_mul_lo_u32 v11, s38, v9
	s_delay_alu instid0(VALU_DEP_2) | instskip(NEXT) | instid1(VALU_DEP_2)
	v_sub_co_u32 v3, vcc_lo, v12, v3
	v_add3_u32 v4, v4, v11, v10
	v_add_co_u32 v11, s0, v8, 2
	s_wait_alu 0xf1ff
	v_add_co_ci_u32_e64 v12, null, 0, v9, s0
	s_delay_alu instid0(VALU_DEP_3) | instskip(SKIP_3) | instid1(VALU_DEP_3)
	v_sub_nc_u32_e32 v10, v13, v4
	v_sub_co_u32 v14, s0, v3, s38
	s_wait_alu 0xfffd
	v_sub_co_ci_u32_e64 v4, null, v13, v4, vcc_lo
	v_subrev_co_ci_u32_e64 v10, null, s39, v10, vcc_lo
	s_delay_alu instid0(VALU_DEP_3) | instskip(SKIP_1) | instid1(VALU_DEP_2)
	v_cmp_le_u32_e32 vcc_lo, s38, v14
	s_wait_alu 0xf1ff
	v_subrev_co_ci_u32_e64 v10, null, 0, v10, s0
	s_wait_alu 0xfffd
	v_cndmask_b32_e64 v13, 0, -1, vcc_lo
	s_delay_alu instid0(VALU_DEP_2)
	v_cmp_le_u32_e32 vcc_lo, s39, v10
	s_wait_alu 0xfffd
	v_cndmask_b32_e64 v14, 0, -1, vcc_lo
	v_cmp_le_u32_e32 vcc_lo, s38, v3
	s_wait_alu 0xfffd
	v_cndmask_b32_e64 v3, 0, -1, vcc_lo
	;; [unrolled: 3-line block ×3, first 2 shown]
	v_cmp_eq_u32_e32 vcc_lo, s39, v10
	s_wait_alu 0xfffd
	v_cndmask_b32_e32 v10, v14, v13, vcc_lo
	v_add_co_u32 v13, vcc_lo, v8, 1
	s_wait_alu 0xfffd
	v_add_co_ci_u32_e64 v14, null, 0, v9, vcc_lo
	v_cmp_eq_u32_e32 vcc_lo, s39, v4
	s_wait_alu 0xfffd
	v_cndmask_b32_e32 v3, v15, v3, vcc_lo
	v_cmp_ne_u32_e32 vcc_lo, 0, v10
	s_delay_alu instid0(VALU_DEP_2) | instskip(SKIP_3) | instid1(VALU_DEP_1)
	v_cmp_ne_u32_e64 s0, 0, v3
	s_wait_alu 0xfffd
	v_dual_cndmask_b32 v4, v14, v12 :: v_dual_cndmask_b32 v3, v13, v11
	s_wait_alu 0xf1ff
	v_cndmask_b32_e64 v4, v9, v4, s0
	s_delay_alu instid0(VALU_DEP_2) | instskip(NEXT) | instid1(VALU_DEP_2)
	v_cndmask_b32_e64 v3, v8, v3, s0
	v_xor_b32_e32 v4, v4, v5
	s_delay_alu instid0(VALU_DEP_2) | instskip(NEXT) | instid1(VALU_DEP_1)
	v_xor_b32_e32 v3, v3, v5
	v_sub_co_u32 v8, vcc_lo, v3, v5
	s_wait_alu 0xfffd
	s_delay_alu instid0(VALU_DEP_3)
	v_sub_co_ci_u32_e64 v9, null, v4, v5, vcc_lo
.LBB46_9:                               ;   in Loop: Header=BB46_3 Depth=1
	s_wait_alu 0xfffe
	s_and_not1_saveexec_b32 s0, s1
	s_cbranch_execz .LBB46_11
; %bb.10:                               ;   in Loop: Header=BB46_3 Depth=1
	s_sub_co_i32 s1, 0, s12
	v_mov_b32_e32 v9, v2
	s_wait_alu 0xfffe
	v_mul_lo_u32 v3, s1, v21
	s_delay_alu instid0(VALU_DEP_1) | instskip(NEXT) | instid1(VALU_DEP_1)
	v_mul_hi_u32 v3, v21, v3
	v_add_nc_u32_e32 v3, v21, v3
	s_delay_alu instid0(VALU_DEP_1) | instskip(NEXT) | instid1(VALU_DEP_1)
	v_mul_hi_u32 v3, v6, v3
	v_mul_lo_u32 v4, v3, s12
	v_add_nc_u32_e32 v5, 1, v3
	s_delay_alu instid0(VALU_DEP_2) | instskip(NEXT) | instid1(VALU_DEP_1)
	v_sub_nc_u32_e32 v4, v6, v4
	v_subrev_nc_u32_e32 v8, s12, v4
	v_cmp_le_u32_e32 vcc_lo, s12, v4
	s_wait_alu 0xfffd
	s_delay_alu instid0(VALU_DEP_2) | instskip(NEXT) | instid1(VALU_DEP_1)
	v_dual_cndmask_b32 v4, v4, v8 :: v_dual_cndmask_b32 v3, v3, v5
	v_cmp_le_u32_e32 vcc_lo, s12, v4
	s_delay_alu instid0(VALU_DEP_2) | instskip(SKIP_1) | instid1(VALU_DEP_1)
	v_add_nc_u32_e32 v5, 1, v3
	s_wait_alu 0xfffd
	v_cndmask_b32_e32 v8, v3, v5, vcc_lo
.LBB46_11:                              ;   in Loop: Header=BB46_3 Depth=1
	s_wait_alu 0xfffe
	s_or_b32 exec_lo, exec_lo, s0
	v_mul_lo_u32 v5, v7, s8
	v_mul_lo_u32 v12, v6, s9
	v_mad_co_u64_u32 v[3:4], null, v6, s8, 0
	v_mul_lo_u32 v13, v9, s12
	v_mul_lo_u32 v14, v8, s13
	v_mad_co_u64_u32 v[10:11], null, v8, s12, 0
	s_mov_b32 s37, exec_lo
	v_add3_u32 v5, v4, v12, v5
	v_sub_co_u32 v4, vcc_lo, v0, v3
	v_add3_u32 v11, v11, v14, v13
	s_wait_alu 0xfffd
	s_delay_alu instid0(VALU_DEP_3) | instskip(SKIP_3) | instid1(VALU_DEP_2)
	v_sub_co_ci_u32_e64 v5, null, v1, v5, vcc_lo
	v_sub_co_u32 v22, vcc_lo, v6, v10
	s_wait_alu 0xfffd
	v_sub_co_ci_u32_e64 v23, null, v7, v11, vcc_lo
	v_sub_co_u32 v6, vcc_lo, v4, v22
	s_wait_alu 0xfffd
	s_delay_alu instid0(VALU_DEP_2) | instskip(NEXT) | instid1(VALU_DEP_2)
	v_sub_co_ci_u32_e64 v7, null, v5, v23, vcc_lo
	v_add_co_u32 v10, vcc_lo, v6, 4
	s_wait_alu 0xfffd
	s_delay_alu instid0(VALU_DEP_2) | instskip(NEXT) | instid1(VALU_DEP_1)
	v_add_co_ci_u32_e64 v11, null, 0, v7, vcc_lo
	v_cmpx_lt_i64_e64 s[4:5], v[10:11]
	s_cbranch_execz .LBB46_2
; %bb.12:                               ;   in Loop: Header=BB46_3 Depth=1
	s_load_b128 s[0:3], s[22:23], 0xc0
	s_and_not1_b32 vcc_lo, exec_lo, s33
	s_wait_kmcnt 0x0
	v_mul_lo_u32 v3, s3, v4
	v_mul_lo_u32 v12, s2, v5
	v_mad_co_u64_u32 v[10:11], null, s2, v4, 0
	s_delay_alu instid0(VALU_DEP_1) | instskip(SKIP_2) | instid1(VALU_DEP_3)
	v_add3_u32 v11, v11, v12, v3
	v_mul_lo_u32 v3, s0, v23
	v_mul_lo_u32 v12, s1, v22
	v_mad_co_u64_u32 v[10:11], null, s0, v22, v[10:11]
	s_delay_alu instid0(VALU_DEP_1)
	v_add3_u32 v11, v12, v11, v3
	s_wait_alu 0xfffe
	s_cbranch_vccnz .LBB46_38
; %bb.13:                               ;   in Loop: Header=BB46_3 Depth=1
	s_mov_b64 s[38:39], s[26:27]
	s_mov_b64 s[40:41], s[30:31]
	s_and_not1_b32 vcc_lo, exec_lo, s63
	s_mov_b64 s[44:45], s[28:29]
	s_mov_b64 s[42:43], s[20:21]
	s_wait_alu 0xfffe
	s_cbranch_vccz .LBB46_17
.LBB46_14:                              ;   in Loop: Header=BB46_3 Depth=1
	s_and_not1_b32 vcc_lo, exec_lo, s64
	s_wait_alu 0xfffe
	s_cbranch_vccnz .LBB46_38
; %bb.15:                               ;   in Loop: Header=BB46_3 Depth=1
	s_lshl_b64 s[0:1], s[42:43], 3
	s_add_nc_u64 s[42:43], s[42:43], 1
	s_wait_alu 0xfffe
	s_add_nc_u64 s[38:39], s[16:17], s[0:1]
	s_add_nc_u64 s[40:41], s[34:35], s[0:1]
	s_branch .LBB46_22
.LBB46_16:                              ;   in Loop: Header=BB46_17 Depth=2
	s_wait_alu 0xfffe
	s_or_b32 exec_lo, exec_lo, s0
	s_load_b64 s[0:1], s[44:45], 0x0
	v_mul_lo_u32 v3, v13, s46
	v_mul_lo_u32 v16, v12, s47
	v_mad_co_u64_u32 v[14:15], null, v12, s46, 0
	s_add_nc_u64 s[38:39], s[38:39], -1
	s_add_nc_u64 s[42:43], s[42:43], -1
	s_add_nc_u64 s[44:45], s[44:45], -8
	s_wait_alu 0xfffe
	s_cmp_lg_u64 s[38:39], 0
	s_add_nc_u64 s[40:41], s[40:41], -8
	v_add3_u32 v3, v15, v16, v3
	v_sub_co_u32 v8, vcc_lo, v8, v14
	s_wait_alu 0xfffd
	s_delay_alu instid0(VALU_DEP_2) | instskip(SKIP_1) | instid1(VALU_DEP_2)
	v_sub_co_ci_u32_e64 v3, null, v9, v3, vcc_lo
	s_wait_kmcnt 0x0
	v_mul_lo_u32 v9, s1, v8
	s_delay_alu instid0(VALU_DEP_2) | instskip(SKIP_1) | instid1(VALU_DEP_1)
	v_mul_lo_u32 v3, s0, v3
	v_mad_co_u64_u32 v[10:11], null, s0, v8, v[10:11]
	v_add3_u32 v11, v9, v11, v3
	v_dual_mov_b32 v8, v12 :: v_dual_mov_b32 v9, v13
	s_cbranch_scc0 .LBB46_14
.LBB46_17:                              ;   Parent Loop BB46_3 Depth=1
                                        ; =>  This Inner Loop Header: Depth=2
	s_load_b64 s[46:47], s[40:41], 0x0
                                        ; implicit-def: $vgpr12_vgpr13
	s_mov_b32 s0, exec_lo
	s_wait_kmcnt 0x0
	v_or_b32_e32 v3, s47, v9
	s_delay_alu instid0(VALU_DEP_1)
	v_cmpx_ne_u64_e32 0, v[2:3]
	s_wait_alu 0xfffe
	s_xor_b32 s1, exec_lo, s0
	s_cbranch_execz .LBB46_19
; %bb.18:                               ;   in Loop: Header=BB46_17 Depth=2
	s_ashr_i32 s48, s47, 31
	v_ashrrev_i32_e32 v3, 31, v9
	s_wait_alu 0xfffe
	s_mov_b32 s49, s48
	s_wait_alu 0xfffe
	s_add_nc_u64 s[50:51], s[46:47], s[48:49]
	v_add_co_u32 v12, vcc_lo, v8, v3
	s_wait_alu 0xfffe
	s_xor_b64 s[50:51], s[50:51], s[48:49]
	s_wait_alu 0xfffd
	v_add_co_ci_u32_e64 v13, null, v9, v3, vcc_lo
	s_wait_alu 0xfffe
	s_cvt_f32_u32 s0, s50
	s_cvt_f32_u32 s14, s51
	s_sub_nc_u64 s[54:55], 0, s[50:51]
	v_xor_b32_e32 v18, v12, v3
	v_xor_b32_e32 v19, v13, v3
	s_wait_alu 0xfffe
	s_fmamk_f32 s0, s14, 0x4f800000, s0
	v_xor_b32_e32 v3, s48, v3
	s_wait_alu 0xfffe
	s_delay_alu instid0(SALU_CYCLE_1) | instskip(NEXT) | instid1(TRANS32_DEP_1)
	v_s_rcp_f32 s0, s0
	s_mul_f32 s0, s0, 0x5f7ffffc
	s_wait_alu 0xfffe
	s_delay_alu instid0(SALU_CYCLE_2) | instskip(SKIP_1) | instid1(SALU_CYCLE_2)
	s_mul_f32 s14, s0, 0x2f800000
	s_wait_alu 0xfffe
	s_trunc_f32 s14, s14
	s_wait_alu 0xfffe
	s_delay_alu instid0(SALU_CYCLE_2) | instskip(SKIP_2) | instid1(SALU_CYCLE_1)
	s_fmamk_f32 s0, s14, 0xcf800000, s0
	s_cvt_u32_f32 s53, s14
	s_wait_alu 0xfffe
	s_cvt_u32_f32 s52, s0
	s_wait_alu 0xfffe
	s_delay_alu instid0(SALU_CYCLE_2)
	s_mul_u64 s[56:57], s[54:55], s[52:53]
	s_wait_alu 0xfffe
	s_mul_hi_u32 s59, s52, s57
	s_mul_i32 s58, s52, s57
	s_mul_hi_u32 s14, s52, s56
	s_mul_i32 s49, s53, s56
	s_wait_alu 0xfffe
	s_add_nc_u64 s[58:59], s[14:15], s[58:59]
	s_mul_hi_u32 s0, s53, s56
	s_mul_hi_u32 s60, s53, s57
	s_wait_alu 0xfffe
	s_add_co_u32 s14, s58, s49
	s_add_co_ci_u32 s14, s59, s0
	s_mul_i32 s56, s53, s57
	s_add_co_ci_u32 s57, s60, 0
	s_wait_alu 0xfffe
	s_add_nc_u64 s[56:57], s[14:15], s[56:57]
	s_wait_alu 0xfffe
	s_add_co_u32 s52, s52, s56
	s_cselect_b32 s0, -1, 0
	s_wait_alu 0xfffe
	s_cmp_lg_u32 s0, 0
	s_add_co_ci_u32 s53, s53, s57
	s_wait_alu 0xfffe
	s_mul_u64 s[54:55], s[54:55], s[52:53]
	s_wait_alu 0xfffe
	s_mul_hi_u32 s57, s52, s55
	s_mul_i32 s56, s52, s55
	s_mul_hi_u32 s14, s52, s54
	s_mul_i32 s49, s53, s54
	s_wait_alu 0xfffe
	s_add_nc_u64 s[56:57], s[14:15], s[56:57]
	s_mul_hi_u32 s0, s53, s54
	s_mul_hi_u32 s58, s53, s55
	s_wait_alu 0xfffe
	s_add_co_u32 s14, s56, s49
	s_add_co_ci_u32 s14, s57, s0
	s_mul_i32 s54, s53, s55
	s_add_co_ci_u32 s55, s58, 0
	s_wait_alu 0xfffe
	s_add_nc_u64 s[54:55], s[14:15], s[54:55]
	s_wait_alu 0xfffe
	s_add_co_u32 s0, s52, s54
	s_cselect_b32 s14, -1, 0
	s_wait_alu 0xfffe
	v_mul_hi_u32 v24, v18, s0
	s_cmp_lg_u32 s14, 0
	v_mad_co_u64_u32 v[14:15], null, v19, s0, 0
	s_add_co_ci_u32 s14, s53, s55
	s_wait_alu 0xfffe
	v_mad_co_u64_u32 v[12:13], null, v18, s14, 0
	v_mad_co_u64_u32 v[16:17], null, v19, s14, 0
	s_delay_alu instid0(VALU_DEP_2) | instskip(SKIP_1) | instid1(VALU_DEP_3)
	v_add_co_u32 v12, vcc_lo, v24, v12
	s_wait_alu 0xfffd
	v_add_co_ci_u32_e64 v13, null, 0, v13, vcc_lo
	s_delay_alu instid0(VALU_DEP_2) | instskip(SKIP_1) | instid1(VALU_DEP_2)
	v_add_co_u32 v12, vcc_lo, v12, v14
	s_wait_alu 0xfffd
	v_add_co_ci_u32_e32 v12, vcc_lo, v13, v15, vcc_lo
	s_wait_alu 0xfffd
	v_add_co_ci_u32_e32 v13, vcc_lo, 0, v17, vcc_lo
	s_delay_alu instid0(VALU_DEP_2) | instskip(SKIP_1) | instid1(VALU_DEP_2)
	v_add_co_u32 v14, vcc_lo, v12, v16
	s_wait_alu 0xfffd
	v_add_co_ci_u32_e64 v15, null, 0, v13, vcc_lo
	s_delay_alu instid0(VALU_DEP_2) | instskip(SKIP_1) | instid1(VALU_DEP_3)
	v_mul_lo_u32 v16, s51, v14
	v_mad_co_u64_u32 v[12:13], null, s50, v14, 0
	v_mul_lo_u32 v17, s50, v15
	s_delay_alu instid0(VALU_DEP_2) | instskip(NEXT) | instid1(VALU_DEP_2)
	v_sub_co_u32 v12, vcc_lo, v18, v12
	v_add3_u32 v13, v13, v17, v16
	v_add_co_u32 v17, s0, v14, 2
	s_wait_alu 0xf1ff
	v_add_co_ci_u32_e64 v18, null, 0, v15, s0
	s_delay_alu instid0(VALU_DEP_3) | instskip(SKIP_3) | instid1(VALU_DEP_3)
	v_sub_nc_u32_e32 v16, v19, v13
	v_sub_co_u32 v24, s0, v12, s50
	s_wait_alu 0xfffd
	v_sub_co_ci_u32_e64 v13, null, v19, v13, vcc_lo
	v_subrev_co_ci_u32_e64 v16, null, s51, v16, vcc_lo
	s_delay_alu instid0(VALU_DEP_3) | instskip(SKIP_1) | instid1(VALU_DEP_2)
	v_cmp_le_u32_e32 vcc_lo, s50, v24
	s_wait_alu 0xf1ff
	v_subrev_co_ci_u32_e64 v16, null, 0, v16, s0
	s_wait_alu 0xfffd
	v_cndmask_b32_e64 v19, 0, -1, vcc_lo
	s_delay_alu instid0(VALU_DEP_2)
	v_cmp_le_u32_e32 vcc_lo, s51, v16
	s_wait_alu 0xfffd
	v_cndmask_b32_e64 v24, 0, -1, vcc_lo
	v_cmp_le_u32_e32 vcc_lo, s50, v12
	s_wait_alu 0xfffd
	v_cndmask_b32_e64 v12, 0, -1, vcc_lo
	;; [unrolled: 3-line block ×3, first 2 shown]
	v_cmp_eq_u32_e32 vcc_lo, s51, v16
	s_wait_alu 0xfffd
	v_cndmask_b32_e32 v16, v24, v19, vcc_lo
	v_add_co_u32 v19, vcc_lo, v14, 1
	s_wait_alu 0xfffd
	v_add_co_ci_u32_e64 v24, null, 0, v15, vcc_lo
	v_cmp_eq_u32_e32 vcc_lo, s51, v13
	s_wait_alu 0xfffd
	v_cndmask_b32_e32 v12, v25, v12, vcc_lo
	v_cmp_ne_u32_e32 vcc_lo, 0, v16
	s_wait_alu 0xfffd
	v_cndmask_b32_e32 v13, v24, v18, vcc_lo
	s_delay_alu instid0(VALU_DEP_3) | instskip(SKIP_2) | instid1(VALU_DEP_2)
	v_cmp_ne_u32_e64 s0, 0, v12
	v_cndmask_b32_e32 v12, v19, v17, vcc_lo
	s_wait_alu 0xf1ff
	v_cndmask_b32_e64 v13, v15, v13, s0
	s_delay_alu instid0(VALU_DEP_2) | instskip(NEXT) | instid1(VALU_DEP_2)
	v_cndmask_b32_e64 v12, v14, v12, s0
	v_xor_b32_e32 v13, v13, v3
	s_delay_alu instid0(VALU_DEP_2) | instskip(NEXT) | instid1(VALU_DEP_1)
	v_xor_b32_e32 v12, v12, v3
	v_sub_co_u32 v12, vcc_lo, v12, v3
	s_wait_alu 0xfffd
	s_delay_alu instid0(VALU_DEP_3)
	v_sub_co_ci_u32_e64 v13, null, v13, v3, vcc_lo
.LBB46_19:                              ;   in Loop: Header=BB46_17 Depth=2
	s_wait_alu 0xfffe
	s_and_not1_saveexec_b32 s0, s1
	s_cbranch_execz .LBB46_16
; %bb.20:                               ;   in Loop: Header=BB46_17 Depth=2
	v_cvt_f32_u32_e32 v3, s46
	s_sub_co_i32 s1, 0, s46
	s_delay_alu instid0(VALU_DEP_1) | instskip(NEXT) | instid1(TRANS32_DEP_1)
	v_rcp_iflag_f32_e32 v3, v3
	v_mul_f32_e32 v3, 0x4f7ffffe, v3
	s_delay_alu instid0(VALU_DEP_1) | instskip(SKIP_1) | instid1(VALU_DEP_1)
	v_cvt_u32_f32_e32 v3, v3
	s_wait_alu 0xfffe
	v_mul_lo_u32 v12, s1, v3
	s_delay_alu instid0(VALU_DEP_1) | instskip(NEXT) | instid1(VALU_DEP_1)
	v_mul_hi_u32 v12, v3, v12
	v_add_nc_u32_e32 v3, v3, v12
	s_delay_alu instid0(VALU_DEP_1) | instskip(NEXT) | instid1(VALU_DEP_1)
	v_mul_hi_u32 v3, v8, v3
	v_mul_lo_u32 v12, v3, s46
	v_add_nc_u32_e32 v13, 1, v3
	s_delay_alu instid0(VALU_DEP_2) | instskip(NEXT) | instid1(VALU_DEP_1)
	v_sub_nc_u32_e32 v12, v8, v12
	v_subrev_nc_u32_e32 v14, s46, v12
	v_cmp_le_u32_e32 vcc_lo, s46, v12
	s_wait_alu 0xfffd
	s_delay_alu instid0(VALU_DEP_2) | instskip(NEXT) | instid1(VALU_DEP_1)
	v_dual_cndmask_b32 v12, v12, v14 :: v_dual_cndmask_b32 v3, v3, v13
	v_cmp_le_u32_e32 vcc_lo, s46, v12
	s_delay_alu instid0(VALU_DEP_2) | instskip(SKIP_1) | instid1(VALU_DEP_1)
	v_add_nc_u32_e32 v13, 1, v3
	s_wait_alu 0xfffd
	v_dual_cndmask_b32 v12, v3, v13 :: v_dual_mov_b32 v13, v2
	s_branch .LBB46_16
.LBB46_21:                              ;   in Loop: Header=BB46_22 Depth=2
	s_wait_alu 0xfffe
	s_or_b32 exec_lo, exec_lo, s0
	v_mul_lo_u32 v3, v13, s44
	v_mul_lo_u32 v28, v12, s45
	v_mad_co_u64_u32 v[24:25], null, v12, s44, 0
	v_mul_lo_u32 v29, v15, s48
	v_mul_lo_u32 v30, v14, s49
	v_mad_co_u64_u32 v[26:27], null, v14, s48, 0
	s_load_b64 s[0:1], s[38:39], 0x0
	s_add_nc_u64 s[42:43], s[42:43], -4
	v_add3_u32 v3, v25, v28, v3
	v_sub_co_u32 v8, vcc_lo, v8, v24
	v_mul_lo_u32 v24, v17, s52
	v_add3_u32 v25, v27, v30, v29
	s_wait_alu 0xfffd
	v_sub_co_ci_u32_e64 v3, null, v9, v3, vcc_lo
	v_mul_lo_u32 v27, s47, v8
	v_mad_co_u64_u32 v[8:9], null, s46, v8, v[10:11]
	s_delay_alu instid0(VALU_DEP_3)
	v_mul_lo_u32 v3, s46, v3
	v_mul_lo_u32 v28, v16, s53
	v_mad_co_u64_u32 v[10:11], null, v16, s52, 0
	v_sub_co_u32 v12, vcc_lo, v12, v26
	s_wait_alu 0xfffd
	v_sub_co_ci_u32_e64 v13, null, v13, v25, vcc_lo
	v_add3_u32 v9, v27, v9, v3
	s_add_nc_u64 s[38:39], s[38:39], s[18:19]
	s_delay_alu instid0(VALU_DEP_4)
	v_add3_u32 v3, v11, v28, v24
	v_mul_lo_u32 v24, s51, v12
	v_mul_lo_u32 v13, s50, v13
	v_mad_co_u64_u32 v[8:9], null, s50, v12, v[8:9]
	v_sub_co_u32 v12, vcc_lo, v14, v10
	s_wait_alu 0xfffd
	v_sub_co_ci_u32_e64 v3, null, v15, v3, vcc_lo
	v_mul_lo_u32 v14, v19, s56
	v_mul_lo_u32 v15, v18, s57
	v_mad_co_u64_u32 v[10:11], null, v18, s56, 0
	v_add3_u32 v9, v24, v9, v13
	v_mul_lo_u32 v3, s54, v3
	s_cmp_eq_u64 s[42:43], 0
	s_add_nc_u64 s[40:41], s[40:41], s[18:19]
	s_delay_alu instid0(VALU_DEP_2) | instskip(SKIP_4) | instid1(VALU_DEP_2)
	v_mad_co_u64_u32 v[8:9], null, s54, v12, v[8:9]
	v_mul_lo_u32 v12, s55, v12
	v_add3_u32 v11, v11, v15, v14
	v_sub_co_u32 v10, vcc_lo, v16, v10
	s_wait_alu 0xfffd
	v_sub_co_ci_u32_e64 v11, null, v17, v11, vcc_lo
	s_delay_alu instid0(VALU_DEP_4) | instskip(SKIP_2) | instid1(VALU_DEP_3)
	v_add3_u32 v9, v12, v9, v3
	s_wait_kmcnt 0x0
	v_mul_lo_u32 v12, s1, v10
	v_mul_lo_u32 v3, s0, v11
	s_delay_alu instid0(VALU_DEP_3) | instskip(SKIP_1) | instid1(VALU_DEP_2)
	v_mad_co_u64_u32 v[10:11], null, s0, v10, v[8:9]
	v_dual_mov_b32 v8, v18 :: v_dual_mov_b32 v9, v19
	v_add3_u32 v11, v12, v11, v3
	s_cbranch_scc1 .LBB46_38
.LBB46_22:                              ;   Parent Loop BB46_3 Depth=1
                                        ; =>  This Inner Loop Header: Depth=2
	s_load_b64 s[44:45], s[40:41], 0x18
                                        ; implicit-def: $vgpr12_vgpr13
	s_mov_b32 s0, exec_lo
	s_wait_kmcnt 0x0
	v_or_b32_e32 v3, s45, v9
	s_delay_alu instid0(VALU_DEP_1)
	v_cmpx_ne_u64_e32 0, v[2:3]
	s_wait_alu 0xfffe
	s_xor_b32 s1, exec_lo, s0
	s_cbranch_execz .LBB46_24
; %bb.23:                               ;   in Loop: Header=BB46_22 Depth=2
	s_ashr_i32 s46, s45, 31
	v_ashrrev_i32_e32 v3, 31, v9
	s_wait_alu 0xfffe
	s_mov_b32 s47, s46
	s_wait_alu 0xfffe
	s_add_nc_u64 s[48:49], s[44:45], s[46:47]
	v_add_co_u32 v12, vcc_lo, v8, v3
	s_wait_alu 0xfffe
	s_xor_b64 s[48:49], s[48:49], s[46:47]
	s_wait_alu 0xfffd
	v_add_co_ci_u32_e64 v13, null, v9, v3, vcc_lo
	s_wait_alu 0xfffe
	s_cvt_f32_u32 s0, s48
	s_cvt_f32_u32 s14, s49
	s_sub_nc_u64 s[52:53], 0, s[48:49]
	v_xor_b32_e32 v18, v12, v3
	v_xor_b32_e32 v19, v13, v3
	s_wait_alu 0xfffe
	s_fmamk_f32 s0, s14, 0x4f800000, s0
	v_xor_b32_e32 v3, s46, v3
	s_wait_alu 0xfffe
	s_delay_alu instid0(SALU_CYCLE_1) | instskip(NEXT) | instid1(TRANS32_DEP_1)
	v_s_rcp_f32 s0, s0
	s_mul_f32 s0, s0, 0x5f7ffffc
	s_wait_alu 0xfffe
	s_delay_alu instid0(SALU_CYCLE_2) | instskip(SKIP_1) | instid1(SALU_CYCLE_2)
	s_mul_f32 s14, s0, 0x2f800000
	s_wait_alu 0xfffe
	s_trunc_f32 s14, s14
	s_wait_alu 0xfffe
	s_delay_alu instid0(SALU_CYCLE_2) | instskip(SKIP_2) | instid1(SALU_CYCLE_1)
	s_fmamk_f32 s0, s14, 0xcf800000, s0
	s_cvt_u32_f32 s51, s14
	s_wait_alu 0xfffe
	s_cvt_u32_f32 s50, s0
	s_wait_alu 0xfffe
	s_delay_alu instid0(SALU_CYCLE_2)
	s_mul_u64 s[54:55], s[52:53], s[50:51]
	s_wait_alu 0xfffe
	s_mul_hi_u32 s57, s50, s55
	s_mul_i32 s56, s50, s55
	s_mul_hi_u32 s14, s50, s54
	s_mul_i32 s47, s51, s54
	s_wait_alu 0xfffe
	s_add_nc_u64 s[56:57], s[14:15], s[56:57]
	s_mul_hi_u32 s0, s51, s54
	s_mul_hi_u32 s58, s51, s55
	s_wait_alu 0xfffe
	s_add_co_u32 s14, s56, s47
	s_add_co_ci_u32 s14, s57, s0
	s_mul_i32 s54, s51, s55
	s_add_co_ci_u32 s55, s58, 0
	s_wait_alu 0xfffe
	s_add_nc_u64 s[54:55], s[14:15], s[54:55]
	s_wait_alu 0xfffe
	s_add_co_u32 s50, s50, s54
	s_cselect_b32 s0, -1, 0
	s_wait_alu 0xfffe
	s_cmp_lg_u32 s0, 0
	s_add_co_ci_u32 s51, s51, s55
	s_wait_alu 0xfffe
	s_mul_u64 s[52:53], s[52:53], s[50:51]
	s_wait_alu 0xfffe
	s_mul_hi_u32 s55, s50, s53
	s_mul_i32 s54, s50, s53
	s_mul_hi_u32 s14, s50, s52
	s_mul_i32 s47, s51, s52
	s_wait_alu 0xfffe
	s_add_nc_u64 s[54:55], s[14:15], s[54:55]
	s_mul_hi_u32 s0, s51, s52
	s_mul_hi_u32 s56, s51, s53
	s_wait_alu 0xfffe
	s_add_co_u32 s14, s54, s47
	s_add_co_ci_u32 s14, s55, s0
	s_mul_i32 s52, s51, s53
	s_add_co_ci_u32 s53, s56, 0
	s_wait_alu 0xfffe
	s_add_nc_u64 s[52:53], s[14:15], s[52:53]
	s_wait_alu 0xfffe
	s_add_co_u32 s0, s50, s52
	s_cselect_b32 s14, -1, 0
	s_wait_alu 0xfffe
	v_mul_hi_u32 v24, v18, s0
	s_cmp_lg_u32 s14, 0
	v_mad_co_u64_u32 v[14:15], null, v19, s0, 0
	s_add_co_ci_u32 s14, s51, s53
	s_wait_alu 0xfffe
	v_mad_co_u64_u32 v[12:13], null, v18, s14, 0
	v_mad_co_u64_u32 v[16:17], null, v19, s14, 0
	s_delay_alu instid0(VALU_DEP_2) | instskip(SKIP_1) | instid1(VALU_DEP_3)
	v_add_co_u32 v12, vcc_lo, v24, v12
	s_wait_alu 0xfffd
	v_add_co_ci_u32_e64 v13, null, 0, v13, vcc_lo
	s_delay_alu instid0(VALU_DEP_2) | instskip(SKIP_1) | instid1(VALU_DEP_2)
	v_add_co_u32 v12, vcc_lo, v12, v14
	s_wait_alu 0xfffd
	v_add_co_ci_u32_e32 v12, vcc_lo, v13, v15, vcc_lo
	s_wait_alu 0xfffd
	v_add_co_ci_u32_e32 v13, vcc_lo, 0, v17, vcc_lo
	s_delay_alu instid0(VALU_DEP_2) | instskip(SKIP_1) | instid1(VALU_DEP_2)
	v_add_co_u32 v14, vcc_lo, v12, v16
	s_wait_alu 0xfffd
	v_add_co_ci_u32_e64 v15, null, 0, v13, vcc_lo
	s_delay_alu instid0(VALU_DEP_2) | instskip(SKIP_1) | instid1(VALU_DEP_3)
	v_mul_lo_u32 v16, s49, v14
	v_mad_co_u64_u32 v[12:13], null, s48, v14, 0
	v_mul_lo_u32 v17, s48, v15
	s_delay_alu instid0(VALU_DEP_2) | instskip(NEXT) | instid1(VALU_DEP_2)
	v_sub_co_u32 v12, vcc_lo, v18, v12
	v_add3_u32 v13, v13, v17, v16
	v_add_co_u32 v17, s0, v14, 2
	s_wait_alu 0xf1ff
	v_add_co_ci_u32_e64 v18, null, 0, v15, s0
	s_delay_alu instid0(VALU_DEP_3) | instskip(SKIP_3) | instid1(VALU_DEP_3)
	v_sub_nc_u32_e32 v16, v19, v13
	v_sub_co_u32 v24, s0, v12, s48
	s_wait_alu 0xfffd
	v_sub_co_ci_u32_e64 v13, null, v19, v13, vcc_lo
	v_subrev_co_ci_u32_e64 v16, null, s49, v16, vcc_lo
	s_delay_alu instid0(VALU_DEP_3) | instskip(SKIP_1) | instid1(VALU_DEP_2)
	v_cmp_le_u32_e32 vcc_lo, s48, v24
	s_wait_alu 0xf1ff
	v_subrev_co_ci_u32_e64 v16, null, 0, v16, s0
	s_wait_alu 0xfffd
	v_cndmask_b32_e64 v19, 0, -1, vcc_lo
	s_delay_alu instid0(VALU_DEP_2)
	v_cmp_le_u32_e32 vcc_lo, s49, v16
	s_wait_alu 0xfffd
	v_cndmask_b32_e64 v24, 0, -1, vcc_lo
	v_cmp_le_u32_e32 vcc_lo, s48, v12
	s_wait_alu 0xfffd
	v_cndmask_b32_e64 v12, 0, -1, vcc_lo
	;; [unrolled: 3-line block ×3, first 2 shown]
	v_cmp_eq_u32_e32 vcc_lo, s49, v16
	s_wait_alu 0xfffd
	v_cndmask_b32_e32 v16, v24, v19, vcc_lo
	v_add_co_u32 v19, vcc_lo, v14, 1
	s_wait_alu 0xfffd
	v_add_co_ci_u32_e64 v24, null, 0, v15, vcc_lo
	v_cmp_eq_u32_e32 vcc_lo, s49, v13
	s_wait_alu 0xfffd
	v_cndmask_b32_e32 v12, v25, v12, vcc_lo
	v_cmp_ne_u32_e32 vcc_lo, 0, v16
	s_wait_alu 0xfffd
	v_cndmask_b32_e32 v13, v24, v18, vcc_lo
	s_delay_alu instid0(VALU_DEP_3) | instskip(SKIP_2) | instid1(VALU_DEP_2)
	v_cmp_ne_u32_e64 s0, 0, v12
	v_cndmask_b32_e32 v12, v19, v17, vcc_lo
	s_wait_alu 0xf1ff
	v_cndmask_b32_e64 v13, v15, v13, s0
	s_delay_alu instid0(VALU_DEP_2) | instskip(NEXT) | instid1(VALU_DEP_2)
	v_cndmask_b32_e64 v12, v14, v12, s0
	v_xor_b32_e32 v13, v13, v3
	s_delay_alu instid0(VALU_DEP_2) | instskip(NEXT) | instid1(VALU_DEP_1)
	v_xor_b32_e32 v12, v12, v3
	v_sub_co_u32 v12, vcc_lo, v12, v3
	s_wait_alu 0xfffd
	s_delay_alu instid0(VALU_DEP_3)
	v_sub_co_ci_u32_e64 v13, null, v13, v3, vcc_lo
.LBB46_24:                              ;   in Loop: Header=BB46_22 Depth=2
	s_wait_alu 0xfffe
	s_and_not1_saveexec_b32 s0, s1
	s_cbranch_execz .LBB46_26
; %bb.25:                               ;   in Loop: Header=BB46_22 Depth=2
	v_cvt_f32_u32_e32 v3, s44
	s_sub_co_i32 s1, 0, s44
	s_delay_alu instid0(VALU_DEP_1) | instskip(NEXT) | instid1(TRANS32_DEP_1)
	v_rcp_iflag_f32_e32 v3, v3
	v_mul_f32_e32 v3, 0x4f7ffffe, v3
	s_delay_alu instid0(VALU_DEP_1) | instskip(SKIP_1) | instid1(VALU_DEP_1)
	v_cvt_u32_f32_e32 v3, v3
	s_wait_alu 0xfffe
	v_mul_lo_u32 v12, s1, v3
	s_delay_alu instid0(VALU_DEP_1) | instskip(NEXT) | instid1(VALU_DEP_1)
	v_mul_hi_u32 v12, v3, v12
	v_add_nc_u32_e32 v3, v3, v12
	s_delay_alu instid0(VALU_DEP_1) | instskip(NEXT) | instid1(VALU_DEP_1)
	v_mul_hi_u32 v3, v8, v3
	v_mul_lo_u32 v12, v3, s44
	v_add_nc_u32_e32 v13, 1, v3
	s_delay_alu instid0(VALU_DEP_2) | instskip(NEXT) | instid1(VALU_DEP_1)
	v_sub_nc_u32_e32 v12, v8, v12
	v_subrev_nc_u32_e32 v14, s44, v12
	v_cmp_le_u32_e32 vcc_lo, s44, v12
	s_wait_alu 0xfffd
	s_delay_alu instid0(VALU_DEP_2) | instskip(NEXT) | instid1(VALU_DEP_1)
	v_dual_cndmask_b32 v12, v12, v14 :: v_dual_cndmask_b32 v3, v3, v13
	v_cmp_le_u32_e32 vcc_lo, s44, v12
	s_delay_alu instid0(VALU_DEP_2) | instskip(SKIP_1) | instid1(VALU_DEP_1)
	v_add_nc_u32_e32 v13, 1, v3
	s_wait_alu 0xfffd
	v_dual_cndmask_b32 v12, v3, v13 :: v_dual_mov_b32 v13, v2
.LBB46_26:                              ;   in Loop: Header=BB46_22 Depth=2
	s_wait_alu 0xfffe
	s_or_b32 exec_lo, exec_lo, s0
	s_load_b64 s[48:49], s[40:41], 0x10
	s_load_b64 s[46:47], s[38:39], 0x18
                                        ; implicit-def: $vgpr14_vgpr15
	s_mov_b32 s0, exec_lo
	s_wait_kmcnt 0x0
	v_or_b32_e32 v3, s49, v13
	s_delay_alu instid0(VALU_DEP_1)
	v_cmpx_ne_u64_e32 0, v[2:3]
	s_wait_alu 0xfffe
	s_xor_b32 s1, exec_lo, s0
	s_cbranch_execz .LBB46_28
; %bb.27:                               ;   in Loop: Header=BB46_22 Depth=2
	s_ashr_i32 s50, s49, 31
	v_ashrrev_i32_e32 v3, 31, v13
	s_wait_alu 0xfffe
	s_mov_b32 s51, s50
	s_wait_alu 0xfffe
	s_add_nc_u64 s[52:53], s[48:49], s[50:51]
	v_add_co_u32 v14, vcc_lo, v12, v3
	s_wait_alu 0xfffe
	s_xor_b64 s[52:53], s[52:53], s[50:51]
	s_wait_alu 0xfffd
	v_add_co_ci_u32_e64 v15, null, v13, v3, vcc_lo
	s_wait_alu 0xfffe
	s_cvt_f32_u32 s0, s52
	s_cvt_f32_u32 s14, s53
	s_sub_nc_u64 s[56:57], 0, s[52:53]
	v_xor_b32_e32 v24, v14, v3
	v_xor_b32_e32 v25, v15, v3
	s_wait_alu 0xfffe
	s_fmamk_f32 s0, s14, 0x4f800000, s0
	v_xor_b32_e32 v3, s50, v3
	s_wait_alu 0xfffe
	s_delay_alu instid0(SALU_CYCLE_1) | instskip(NEXT) | instid1(TRANS32_DEP_1)
	v_s_rcp_f32 s0, s0
	s_mul_f32 s0, s0, 0x5f7ffffc
	s_wait_alu 0xfffe
	s_delay_alu instid0(SALU_CYCLE_2) | instskip(SKIP_1) | instid1(SALU_CYCLE_2)
	s_mul_f32 s14, s0, 0x2f800000
	s_wait_alu 0xfffe
	s_trunc_f32 s14, s14
	s_wait_alu 0xfffe
	s_delay_alu instid0(SALU_CYCLE_2) | instskip(SKIP_2) | instid1(SALU_CYCLE_1)
	s_fmamk_f32 s0, s14, 0xcf800000, s0
	s_cvt_u32_f32 s55, s14
	s_wait_alu 0xfffe
	s_cvt_u32_f32 s54, s0
	s_wait_alu 0xfffe
	s_delay_alu instid0(SALU_CYCLE_2)
	s_mul_u64 s[58:59], s[56:57], s[54:55]
	s_wait_alu 0xfffe
	s_mul_hi_u32 s61, s54, s59
	s_mul_i32 s60, s54, s59
	s_mul_hi_u32 s14, s54, s58
	s_mul_i32 s51, s55, s58
	s_wait_alu 0xfffe
	s_add_nc_u64 s[60:61], s[14:15], s[60:61]
	s_mul_hi_u32 s0, s55, s58
	s_mul_hi_u32 s66, s55, s59
	s_wait_alu 0xfffe
	s_add_co_u32 s14, s60, s51
	s_add_co_ci_u32 s14, s61, s0
	s_mul_i32 s58, s55, s59
	s_add_co_ci_u32 s59, s66, 0
	s_wait_alu 0xfffe
	s_add_nc_u64 s[58:59], s[14:15], s[58:59]
	s_wait_alu 0xfffe
	s_add_co_u32 s54, s54, s58
	s_cselect_b32 s0, -1, 0
	s_wait_alu 0xfffe
	s_cmp_lg_u32 s0, 0
	s_add_co_ci_u32 s55, s55, s59
	s_wait_alu 0xfffe
	s_mul_u64 s[56:57], s[56:57], s[54:55]
	s_wait_alu 0xfffe
	s_mul_hi_u32 s59, s54, s57
	s_mul_i32 s58, s54, s57
	s_mul_hi_u32 s14, s54, s56
	s_mul_i32 s51, s55, s56
	s_wait_alu 0xfffe
	s_add_nc_u64 s[58:59], s[14:15], s[58:59]
	s_mul_hi_u32 s0, s55, s56
	s_mul_hi_u32 s60, s55, s57
	s_wait_alu 0xfffe
	s_add_co_u32 s14, s58, s51
	s_add_co_ci_u32 s14, s59, s0
	s_mul_i32 s56, s55, s57
	s_add_co_ci_u32 s57, s60, 0
	s_wait_alu 0xfffe
	s_add_nc_u64 s[56:57], s[14:15], s[56:57]
	s_wait_alu 0xfffe
	s_add_co_u32 s0, s54, s56
	s_cselect_b32 s14, -1, 0
	s_wait_alu 0xfffe
	v_mul_hi_u32 v26, v24, s0
	s_cmp_lg_u32 s14, 0
	v_mad_co_u64_u32 v[16:17], null, v25, s0, 0
	s_add_co_ci_u32 s14, s55, s57
	s_wait_alu 0xfffe
	v_mad_co_u64_u32 v[14:15], null, v24, s14, 0
	v_mad_co_u64_u32 v[18:19], null, v25, s14, 0
	s_delay_alu instid0(VALU_DEP_2) | instskip(SKIP_1) | instid1(VALU_DEP_3)
	v_add_co_u32 v14, vcc_lo, v26, v14
	s_wait_alu 0xfffd
	v_add_co_ci_u32_e64 v15, null, 0, v15, vcc_lo
	s_delay_alu instid0(VALU_DEP_2) | instskip(SKIP_1) | instid1(VALU_DEP_2)
	v_add_co_u32 v14, vcc_lo, v14, v16
	s_wait_alu 0xfffd
	v_add_co_ci_u32_e32 v14, vcc_lo, v15, v17, vcc_lo
	s_wait_alu 0xfffd
	v_add_co_ci_u32_e32 v15, vcc_lo, 0, v19, vcc_lo
	s_delay_alu instid0(VALU_DEP_2) | instskip(SKIP_1) | instid1(VALU_DEP_2)
	v_add_co_u32 v16, vcc_lo, v14, v18
	s_wait_alu 0xfffd
	v_add_co_ci_u32_e64 v17, null, 0, v15, vcc_lo
	s_delay_alu instid0(VALU_DEP_2) | instskip(SKIP_1) | instid1(VALU_DEP_3)
	v_mul_lo_u32 v18, s53, v16
	v_mad_co_u64_u32 v[14:15], null, s52, v16, 0
	v_mul_lo_u32 v19, s52, v17
	s_delay_alu instid0(VALU_DEP_2) | instskip(NEXT) | instid1(VALU_DEP_2)
	v_sub_co_u32 v14, vcc_lo, v24, v14
	v_add3_u32 v15, v15, v19, v18
	v_add_co_u32 v19, s0, v16, 2
	s_wait_alu 0xf1ff
	v_add_co_ci_u32_e64 v24, null, 0, v17, s0
	s_delay_alu instid0(VALU_DEP_3) | instskip(SKIP_3) | instid1(VALU_DEP_3)
	v_sub_nc_u32_e32 v18, v25, v15
	v_sub_co_u32 v26, s0, v14, s52
	s_wait_alu 0xfffd
	v_sub_co_ci_u32_e64 v15, null, v25, v15, vcc_lo
	v_subrev_co_ci_u32_e64 v18, null, s53, v18, vcc_lo
	s_delay_alu instid0(VALU_DEP_3) | instskip(SKIP_1) | instid1(VALU_DEP_2)
	v_cmp_le_u32_e32 vcc_lo, s52, v26
	s_wait_alu 0xf1ff
	v_subrev_co_ci_u32_e64 v18, null, 0, v18, s0
	s_wait_alu 0xfffd
	v_cndmask_b32_e64 v25, 0, -1, vcc_lo
	s_delay_alu instid0(VALU_DEP_2)
	v_cmp_le_u32_e32 vcc_lo, s53, v18
	s_wait_alu 0xfffd
	v_cndmask_b32_e64 v26, 0, -1, vcc_lo
	v_cmp_le_u32_e32 vcc_lo, s52, v14
	s_wait_alu 0xfffd
	v_cndmask_b32_e64 v14, 0, -1, vcc_lo
	;; [unrolled: 3-line block ×3, first 2 shown]
	v_cmp_eq_u32_e32 vcc_lo, s53, v18
	s_wait_alu 0xfffd
	v_cndmask_b32_e32 v18, v26, v25, vcc_lo
	v_add_co_u32 v25, vcc_lo, v16, 1
	s_wait_alu 0xfffd
	v_add_co_ci_u32_e64 v26, null, 0, v17, vcc_lo
	v_cmp_eq_u32_e32 vcc_lo, s53, v15
	s_wait_alu 0xfffd
	v_cndmask_b32_e32 v14, v27, v14, vcc_lo
	v_cmp_ne_u32_e32 vcc_lo, 0, v18
	s_wait_alu 0xfffd
	v_cndmask_b32_e32 v15, v26, v24, vcc_lo
	s_delay_alu instid0(VALU_DEP_3) | instskip(SKIP_2) | instid1(VALU_DEP_2)
	v_cmp_ne_u32_e64 s0, 0, v14
	v_cndmask_b32_e32 v14, v25, v19, vcc_lo
	s_wait_alu 0xf1ff
	v_cndmask_b32_e64 v15, v17, v15, s0
	s_delay_alu instid0(VALU_DEP_2) | instskip(NEXT) | instid1(VALU_DEP_2)
	v_cndmask_b32_e64 v14, v16, v14, s0
	v_xor_b32_e32 v15, v15, v3
	s_delay_alu instid0(VALU_DEP_2) | instskip(NEXT) | instid1(VALU_DEP_1)
	v_xor_b32_e32 v14, v14, v3
	v_sub_co_u32 v14, vcc_lo, v14, v3
	s_wait_alu 0xfffd
	s_delay_alu instid0(VALU_DEP_3)
	v_sub_co_ci_u32_e64 v15, null, v15, v3, vcc_lo
.LBB46_28:                              ;   in Loop: Header=BB46_22 Depth=2
	s_wait_alu 0xfffe
	s_and_not1_saveexec_b32 s0, s1
	s_cbranch_execz .LBB46_30
; %bb.29:                               ;   in Loop: Header=BB46_22 Depth=2
	v_cvt_f32_u32_e32 v3, s48
	s_sub_co_i32 s1, 0, s48
	s_delay_alu instid0(VALU_DEP_1) | instskip(NEXT) | instid1(TRANS32_DEP_1)
	v_rcp_iflag_f32_e32 v3, v3
	v_mul_f32_e32 v3, 0x4f7ffffe, v3
	s_delay_alu instid0(VALU_DEP_1) | instskip(SKIP_1) | instid1(VALU_DEP_1)
	v_cvt_u32_f32_e32 v3, v3
	s_wait_alu 0xfffe
	v_mul_lo_u32 v14, s1, v3
	s_delay_alu instid0(VALU_DEP_1) | instskip(NEXT) | instid1(VALU_DEP_1)
	v_mul_hi_u32 v14, v3, v14
	v_add_nc_u32_e32 v3, v3, v14
	s_delay_alu instid0(VALU_DEP_1) | instskip(NEXT) | instid1(VALU_DEP_1)
	v_mul_hi_u32 v3, v12, v3
	v_mul_lo_u32 v14, v3, s48
	v_add_nc_u32_e32 v15, 1, v3
	s_delay_alu instid0(VALU_DEP_2) | instskip(NEXT) | instid1(VALU_DEP_1)
	v_sub_nc_u32_e32 v14, v12, v14
	v_subrev_nc_u32_e32 v16, s48, v14
	v_cmp_le_u32_e32 vcc_lo, s48, v14
	s_wait_alu 0xfffd
	s_delay_alu instid0(VALU_DEP_2) | instskip(NEXT) | instid1(VALU_DEP_1)
	v_dual_cndmask_b32 v14, v14, v16 :: v_dual_cndmask_b32 v3, v3, v15
	v_cmp_le_u32_e32 vcc_lo, s48, v14
	s_delay_alu instid0(VALU_DEP_2) | instskip(SKIP_1) | instid1(VALU_DEP_1)
	v_add_nc_u32_e32 v15, 1, v3
	s_wait_alu 0xfffd
	v_dual_cndmask_b32 v14, v3, v15 :: v_dual_mov_b32 v15, v2
.LBB46_30:                              ;   in Loop: Header=BB46_22 Depth=2
	s_wait_alu 0xfffe
	s_or_b32 exec_lo, exec_lo, s0
	s_load_b64 s[52:53], s[40:41], 0x8
	s_load_b64 s[50:51], s[38:39], 0x10
                                        ; implicit-def: $vgpr16_vgpr17
	s_mov_b32 s0, exec_lo
	s_wait_kmcnt 0x0
	v_or_b32_e32 v3, s53, v15
	s_delay_alu instid0(VALU_DEP_1)
	v_cmpx_ne_u64_e32 0, v[2:3]
	s_wait_alu 0xfffe
	s_xor_b32 s1, exec_lo, s0
	s_cbranch_execz .LBB46_32
; %bb.31:                               ;   in Loop: Header=BB46_22 Depth=2
	s_ashr_i32 s54, s53, 31
	v_ashrrev_i32_e32 v3, 31, v15
	s_wait_alu 0xfffe
	s_mov_b32 s55, s54
	s_wait_alu 0xfffe
	s_add_nc_u64 s[56:57], s[52:53], s[54:55]
	v_add_co_u32 v16, vcc_lo, v14, v3
	s_wait_alu 0xfffe
	s_xor_b64 s[56:57], s[56:57], s[54:55]
	s_wait_alu 0xfffd
	v_add_co_ci_u32_e64 v17, null, v15, v3, vcc_lo
	s_wait_alu 0xfffe
	s_cvt_f32_u32 s0, s56
	s_cvt_f32_u32 s14, s57
	s_sub_nc_u64 s[60:61], 0, s[56:57]
	v_xor_b32_e32 v26, v16, v3
	v_xor_b32_e32 v27, v17, v3
	s_wait_alu 0xfffe
	s_fmamk_f32 s0, s14, 0x4f800000, s0
	v_xor_b32_e32 v3, s54, v3
	s_wait_alu 0xfffe
	s_delay_alu instid0(SALU_CYCLE_1) | instskip(NEXT) | instid1(TRANS32_DEP_1)
	v_s_rcp_f32 s0, s0
	s_mul_f32 s0, s0, 0x5f7ffffc
	s_wait_alu 0xfffe
	s_delay_alu instid0(SALU_CYCLE_2) | instskip(SKIP_1) | instid1(SALU_CYCLE_2)
	s_mul_f32 s14, s0, 0x2f800000
	s_wait_alu 0xfffe
	s_trunc_f32 s14, s14
	s_wait_alu 0xfffe
	s_delay_alu instid0(SALU_CYCLE_2) | instskip(SKIP_2) | instid1(SALU_CYCLE_1)
	s_fmamk_f32 s0, s14, 0xcf800000, s0
	s_cvt_u32_f32 s59, s14
	s_wait_alu 0xfffe
	s_cvt_u32_f32 s58, s0
	s_wait_alu 0xfffe
	s_delay_alu instid0(SALU_CYCLE_2) | instskip(NEXT) | instid1(SALU_CYCLE_1)
	s_mul_u64 s[66:67], s[60:61], s[58:59]
	s_mul_hi_u32 s69, s58, s67
	s_mul_i32 s68, s58, s67
	s_mul_hi_u32 s14, s58, s66
	s_mul_i32 s55, s59, s66
	s_wait_alu 0xfffe
	s_add_nc_u64 s[68:69], s[14:15], s[68:69]
	s_mul_hi_u32 s0, s59, s66
	s_mul_hi_u32 s70, s59, s67
	s_add_co_u32 s14, s68, s55
	s_wait_alu 0xfffe
	s_add_co_ci_u32 s14, s69, s0
	s_mul_i32 s66, s59, s67
	s_add_co_ci_u32 s67, s70, 0
	s_wait_alu 0xfffe
	s_add_nc_u64 s[66:67], s[14:15], s[66:67]
	s_delay_alu instid0(SALU_CYCLE_1)
	s_add_co_u32 s58, s58, s66
	s_cselect_b32 s0, -1, 0
	s_wait_alu 0xfffe
	s_cmp_lg_u32 s0, 0
	s_add_co_ci_u32 s59, s59, s67
	s_wait_alu 0xfffe
	s_mul_u64 s[60:61], s[60:61], s[58:59]
	s_wait_alu 0xfffe
	s_mul_hi_u32 s67, s58, s61
	s_mul_i32 s66, s58, s61
	s_mul_hi_u32 s14, s58, s60
	s_mul_i32 s55, s59, s60
	s_wait_alu 0xfffe
	s_add_nc_u64 s[66:67], s[14:15], s[66:67]
	s_mul_hi_u32 s0, s59, s60
	s_mul_hi_u32 s68, s59, s61
	s_add_co_u32 s14, s66, s55
	s_wait_alu 0xfffe
	s_add_co_ci_u32 s14, s67, s0
	s_mul_i32 s60, s59, s61
	s_add_co_ci_u32 s61, s68, 0
	s_wait_alu 0xfffe
	s_add_nc_u64 s[60:61], s[14:15], s[60:61]
	s_wait_alu 0xfffe
	s_add_co_u32 s0, s58, s60
	s_cselect_b32 s14, -1, 0
	s_wait_alu 0xfffe
	v_mul_hi_u32 v28, v26, s0
	s_cmp_lg_u32 s14, 0
	v_mad_co_u64_u32 v[18:19], null, v27, s0, 0
	s_add_co_ci_u32 s14, s59, s61
	s_wait_alu 0xfffe
	v_mad_co_u64_u32 v[16:17], null, v26, s14, 0
	v_mad_co_u64_u32 v[24:25], null, v27, s14, 0
	s_delay_alu instid0(VALU_DEP_2) | instskip(SKIP_1) | instid1(VALU_DEP_3)
	v_add_co_u32 v16, vcc_lo, v28, v16
	s_wait_alu 0xfffd
	v_add_co_ci_u32_e64 v17, null, 0, v17, vcc_lo
	s_delay_alu instid0(VALU_DEP_2) | instskip(SKIP_1) | instid1(VALU_DEP_2)
	v_add_co_u32 v16, vcc_lo, v16, v18
	s_wait_alu 0xfffd
	v_add_co_ci_u32_e32 v16, vcc_lo, v17, v19, vcc_lo
	s_wait_alu 0xfffd
	v_add_co_ci_u32_e32 v17, vcc_lo, 0, v25, vcc_lo
	s_delay_alu instid0(VALU_DEP_2) | instskip(SKIP_1) | instid1(VALU_DEP_2)
	v_add_co_u32 v18, vcc_lo, v16, v24
	s_wait_alu 0xfffd
	v_add_co_ci_u32_e64 v19, null, 0, v17, vcc_lo
	s_delay_alu instid0(VALU_DEP_2) | instskip(SKIP_1) | instid1(VALU_DEP_3)
	v_mul_lo_u32 v24, s57, v18
	v_mad_co_u64_u32 v[16:17], null, s56, v18, 0
	v_mul_lo_u32 v25, s56, v19
	s_delay_alu instid0(VALU_DEP_2) | instskip(NEXT) | instid1(VALU_DEP_2)
	v_sub_co_u32 v16, vcc_lo, v26, v16
	v_add3_u32 v17, v17, v25, v24
	v_add_co_u32 v25, s0, v18, 2
	s_wait_alu 0xf1ff
	v_add_co_ci_u32_e64 v26, null, 0, v19, s0
	s_delay_alu instid0(VALU_DEP_3) | instskip(SKIP_3) | instid1(VALU_DEP_3)
	v_sub_nc_u32_e32 v24, v27, v17
	v_sub_co_u32 v28, s0, v16, s56
	s_wait_alu 0xfffd
	v_sub_co_ci_u32_e64 v17, null, v27, v17, vcc_lo
	v_subrev_co_ci_u32_e64 v24, null, s57, v24, vcc_lo
	s_delay_alu instid0(VALU_DEP_3) | instskip(SKIP_1) | instid1(VALU_DEP_2)
	v_cmp_le_u32_e32 vcc_lo, s56, v28
	s_wait_alu 0xf1ff
	v_subrev_co_ci_u32_e64 v24, null, 0, v24, s0
	s_wait_alu 0xfffd
	v_cndmask_b32_e64 v27, 0, -1, vcc_lo
	s_delay_alu instid0(VALU_DEP_2)
	v_cmp_le_u32_e32 vcc_lo, s57, v24
	s_wait_alu 0xfffd
	v_cndmask_b32_e64 v28, 0, -1, vcc_lo
	v_cmp_le_u32_e32 vcc_lo, s56, v16
	s_wait_alu 0xfffd
	v_cndmask_b32_e64 v16, 0, -1, vcc_lo
	;; [unrolled: 3-line block ×3, first 2 shown]
	v_cmp_eq_u32_e32 vcc_lo, s57, v24
	s_wait_alu 0xfffd
	v_cndmask_b32_e32 v24, v28, v27, vcc_lo
	v_add_co_u32 v27, vcc_lo, v18, 1
	s_wait_alu 0xfffd
	v_add_co_ci_u32_e64 v28, null, 0, v19, vcc_lo
	v_cmp_eq_u32_e32 vcc_lo, s57, v17
	s_wait_alu 0xfffd
	v_cndmask_b32_e32 v16, v29, v16, vcc_lo
	v_cmp_ne_u32_e32 vcc_lo, 0, v24
	s_wait_alu 0xfffd
	v_cndmask_b32_e32 v17, v28, v26, vcc_lo
	s_delay_alu instid0(VALU_DEP_3) | instskip(SKIP_2) | instid1(VALU_DEP_2)
	v_cmp_ne_u32_e64 s0, 0, v16
	v_cndmask_b32_e32 v16, v27, v25, vcc_lo
	s_wait_alu 0xf1ff
	v_cndmask_b32_e64 v17, v19, v17, s0
	s_delay_alu instid0(VALU_DEP_2) | instskip(NEXT) | instid1(VALU_DEP_2)
	v_cndmask_b32_e64 v16, v18, v16, s0
	v_xor_b32_e32 v17, v17, v3
	s_delay_alu instid0(VALU_DEP_2) | instskip(NEXT) | instid1(VALU_DEP_1)
	v_xor_b32_e32 v16, v16, v3
	v_sub_co_u32 v16, vcc_lo, v16, v3
	s_wait_alu 0xfffd
	s_delay_alu instid0(VALU_DEP_3)
	v_sub_co_ci_u32_e64 v17, null, v17, v3, vcc_lo
.LBB46_32:                              ;   in Loop: Header=BB46_22 Depth=2
	s_wait_alu 0xfffe
	s_and_not1_saveexec_b32 s0, s1
	s_cbranch_execz .LBB46_34
; %bb.33:                               ;   in Loop: Header=BB46_22 Depth=2
	v_cvt_f32_u32_e32 v3, s52
	s_sub_co_i32 s1, 0, s52
	s_delay_alu instid0(VALU_DEP_1) | instskip(NEXT) | instid1(TRANS32_DEP_1)
	v_rcp_iflag_f32_e32 v3, v3
	v_mul_f32_e32 v3, 0x4f7ffffe, v3
	s_delay_alu instid0(VALU_DEP_1) | instskip(SKIP_1) | instid1(VALU_DEP_1)
	v_cvt_u32_f32_e32 v3, v3
	s_wait_alu 0xfffe
	v_mul_lo_u32 v16, s1, v3
	s_delay_alu instid0(VALU_DEP_1) | instskip(NEXT) | instid1(VALU_DEP_1)
	v_mul_hi_u32 v16, v3, v16
	v_add_nc_u32_e32 v3, v3, v16
	s_delay_alu instid0(VALU_DEP_1) | instskip(NEXT) | instid1(VALU_DEP_1)
	v_mul_hi_u32 v3, v14, v3
	v_mul_lo_u32 v16, v3, s52
	v_add_nc_u32_e32 v17, 1, v3
	s_delay_alu instid0(VALU_DEP_2) | instskip(NEXT) | instid1(VALU_DEP_1)
	v_sub_nc_u32_e32 v16, v14, v16
	v_subrev_nc_u32_e32 v18, s52, v16
	v_cmp_le_u32_e32 vcc_lo, s52, v16
	s_wait_alu 0xfffd
	s_delay_alu instid0(VALU_DEP_2) | instskip(NEXT) | instid1(VALU_DEP_1)
	v_dual_cndmask_b32 v16, v16, v18 :: v_dual_cndmask_b32 v3, v3, v17
	v_cmp_le_u32_e32 vcc_lo, s52, v16
	s_delay_alu instid0(VALU_DEP_2) | instskip(SKIP_1) | instid1(VALU_DEP_1)
	v_add_nc_u32_e32 v17, 1, v3
	s_wait_alu 0xfffd
	v_dual_cndmask_b32 v16, v3, v17 :: v_dual_mov_b32 v17, v2
.LBB46_34:                              ;   in Loop: Header=BB46_22 Depth=2
	s_wait_alu 0xfffe
	s_or_b32 exec_lo, exec_lo, s0
	s_load_b64 s[56:57], s[40:41], 0x0
	s_load_b64 s[54:55], s[38:39], 0x8
                                        ; implicit-def: $vgpr18_vgpr19
	s_mov_b32 s0, exec_lo
	s_wait_kmcnt 0x0
	v_or_b32_e32 v3, s57, v17
	s_delay_alu instid0(VALU_DEP_1)
	v_cmpx_ne_u64_e32 0, v[2:3]
	s_wait_alu 0xfffe
	s_xor_b32 s1, exec_lo, s0
	s_cbranch_execz .LBB46_36
; %bb.35:                               ;   in Loop: Header=BB46_22 Depth=2
	s_ashr_i32 s58, s57, 31
	v_ashrrev_i32_e32 v3, 31, v17
	s_wait_alu 0xfffe
	s_mov_b32 s59, s58
	s_wait_alu 0xfffe
	s_add_nc_u64 s[60:61], s[56:57], s[58:59]
	v_add_co_u32 v18, vcc_lo, v16, v3
	s_wait_alu 0xfffe
	s_xor_b64 s[60:61], s[60:61], s[58:59]
	s_wait_alu 0xfffd
	v_add_co_ci_u32_e64 v19, null, v17, v3, vcc_lo
	s_wait_alu 0xfffe
	s_cvt_f32_u32 s0, s60
	s_cvt_f32_u32 s14, s61
	s_sub_nc_u64 s[68:69], 0, s[60:61]
	v_xor_b32_e32 v28, v18, v3
	v_xor_b32_e32 v29, v19, v3
	s_wait_alu 0xfffe
	s_fmamk_f32 s0, s14, 0x4f800000, s0
	v_xor_b32_e32 v3, s58, v3
	s_wait_alu 0xfffe
	s_delay_alu instid0(SALU_CYCLE_1) | instskip(NEXT) | instid1(TRANS32_DEP_1)
	v_s_rcp_f32 s0, s0
	s_mul_f32 s0, s0, 0x5f7ffffc
	s_wait_alu 0xfffe
	s_delay_alu instid0(SALU_CYCLE_2) | instskip(SKIP_1) | instid1(SALU_CYCLE_2)
	s_mul_f32 s14, s0, 0x2f800000
	s_wait_alu 0xfffe
	s_trunc_f32 s14, s14
	s_wait_alu 0xfffe
	s_delay_alu instid0(SALU_CYCLE_2) | instskip(SKIP_2) | instid1(SALU_CYCLE_1)
	s_fmamk_f32 s0, s14, 0xcf800000, s0
	s_cvt_u32_f32 s67, s14
	s_wait_alu 0xfffe
	s_cvt_u32_f32 s66, s0
	s_delay_alu instid0(SALU_CYCLE_3) | instskip(NEXT) | instid1(SALU_CYCLE_1)
	s_mul_u64 s[70:71], s[68:69], s[66:67]
	s_mul_hi_u32 s73, s66, s71
	s_mul_i32 s72, s66, s71
	s_mul_hi_u32 s14, s66, s70
	s_mul_i32 s59, s67, s70
	s_wait_alu 0xfffe
	s_add_nc_u64 s[72:73], s[14:15], s[72:73]
	s_mul_hi_u32 s0, s67, s70
	s_mul_hi_u32 s74, s67, s71
	s_add_co_u32 s14, s72, s59
	s_wait_alu 0xfffe
	s_add_co_ci_u32 s14, s73, s0
	s_mul_i32 s70, s67, s71
	s_add_co_ci_u32 s71, s74, 0
	s_wait_alu 0xfffe
	s_add_nc_u64 s[70:71], s[14:15], s[70:71]
	s_delay_alu instid0(SALU_CYCLE_1) | instskip(SKIP_4) | instid1(SALU_CYCLE_1)
	s_add_co_u32 s66, s66, s70
	s_cselect_b32 s0, -1, 0
	s_wait_alu 0xfffe
	s_cmp_lg_u32 s0, 0
	s_add_co_ci_u32 s67, s67, s71
	s_mul_u64 s[68:69], s[68:69], s[66:67]
	s_delay_alu instid0(SALU_CYCLE_1)
	s_mul_hi_u32 s71, s66, s69
	s_mul_i32 s70, s66, s69
	s_mul_hi_u32 s14, s66, s68
	s_mul_i32 s59, s67, s68
	s_wait_alu 0xfffe
	s_add_nc_u64 s[70:71], s[14:15], s[70:71]
	s_mul_hi_u32 s0, s67, s68
	s_mul_hi_u32 s72, s67, s69
	s_add_co_u32 s14, s70, s59
	s_wait_alu 0xfffe
	s_add_co_ci_u32 s14, s71, s0
	s_mul_i32 s68, s67, s69
	s_add_co_ci_u32 s69, s72, 0
	s_wait_alu 0xfffe
	s_add_nc_u64 s[68:69], s[14:15], s[68:69]
	s_delay_alu instid0(SALU_CYCLE_1)
	s_add_co_u32 s0, s66, s68
	s_cselect_b32 s14, -1, 0
	s_wait_alu 0xfffe
	v_mul_hi_u32 v30, v28, s0
	s_cmp_lg_u32 s14, 0
	v_mad_co_u64_u32 v[24:25], null, v29, s0, 0
	s_add_co_ci_u32 s14, s67, s69
	s_wait_alu 0xfffe
	v_mad_co_u64_u32 v[18:19], null, v28, s14, 0
	v_mad_co_u64_u32 v[26:27], null, v29, s14, 0
	s_delay_alu instid0(VALU_DEP_2) | instskip(SKIP_1) | instid1(VALU_DEP_3)
	v_add_co_u32 v18, vcc_lo, v30, v18
	s_wait_alu 0xfffd
	v_add_co_ci_u32_e64 v19, null, 0, v19, vcc_lo
	s_delay_alu instid0(VALU_DEP_2) | instskip(SKIP_1) | instid1(VALU_DEP_2)
	v_add_co_u32 v18, vcc_lo, v18, v24
	s_wait_alu 0xfffd
	v_add_co_ci_u32_e32 v18, vcc_lo, v19, v25, vcc_lo
	s_wait_alu 0xfffd
	v_add_co_ci_u32_e32 v19, vcc_lo, 0, v27, vcc_lo
	s_delay_alu instid0(VALU_DEP_2) | instskip(SKIP_1) | instid1(VALU_DEP_2)
	v_add_co_u32 v24, vcc_lo, v18, v26
	s_wait_alu 0xfffd
	v_add_co_ci_u32_e64 v25, null, 0, v19, vcc_lo
	s_delay_alu instid0(VALU_DEP_2) | instskip(SKIP_1) | instid1(VALU_DEP_3)
	v_mul_lo_u32 v26, s61, v24
	v_mad_co_u64_u32 v[18:19], null, s60, v24, 0
	v_mul_lo_u32 v27, s60, v25
	s_delay_alu instid0(VALU_DEP_2) | instskip(NEXT) | instid1(VALU_DEP_2)
	v_sub_co_u32 v18, vcc_lo, v28, v18
	v_add3_u32 v19, v19, v27, v26
	v_add_co_u32 v27, s0, v24, 2
	s_wait_alu 0xf1ff
	v_add_co_ci_u32_e64 v28, null, 0, v25, s0
	s_delay_alu instid0(VALU_DEP_3) | instskip(SKIP_3) | instid1(VALU_DEP_3)
	v_sub_nc_u32_e32 v26, v29, v19
	v_sub_co_u32 v30, s0, v18, s60
	s_wait_alu 0xfffd
	v_sub_co_ci_u32_e64 v19, null, v29, v19, vcc_lo
	v_subrev_co_ci_u32_e64 v26, null, s61, v26, vcc_lo
	s_delay_alu instid0(VALU_DEP_3) | instskip(SKIP_1) | instid1(VALU_DEP_2)
	v_cmp_le_u32_e32 vcc_lo, s60, v30
	s_wait_alu 0xf1ff
	v_subrev_co_ci_u32_e64 v26, null, 0, v26, s0
	s_wait_alu 0xfffd
	v_cndmask_b32_e64 v29, 0, -1, vcc_lo
	s_delay_alu instid0(VALU_DEP_2)
	v_cmp_le_u32_e32 vcc_lo, s61, v26
	s_wait_alu 0xfffd
	v_cndmask_b32_e64 v30, 0, -1, vcc_lo
	v_cmp_le_u32_e32 vcc_lo, s60, v18
	s_wait_alu 0xfffd
	v_cndmask_b32_e64 v18, 0, -1, vcc_lo
	;; [unrolled: 3-line block ×3, first 2 shown]
	v_cmp_eq_u32_e32 vcc_lo, s61, v26
	s_wait_alu 0xfffd
	v_cndmask_b32_e32 v26, v30, v29, vcc_lo
	v_add_co_u32 v29, vcc_lo, v24, 1
	s_wait_alu 0xfffd
	v_add_co_ci_u32_e64 v30, null, 0, v25, vcc_lo
	v_cmp_eq_u32_e32 vcc_lo, s61, v19
	s_wait_alu 0xfffd
	v_cndmask_b32_e32 v18, v31, v18, vcc_lo
	v_cmp_ne_u32_e32 vcc_lo, 0, v26
	s_wait_alu 0xfffd
	v_cndmask_b32_e32 v19, v30, v28, vcc_lo
	s_delay_alu instid0(VALU_DEP_3) | instskip(SKIP_2) | instid1(VALU_DEP_2)
	v_cmp_ne_u32_e64 s0, 0, v18
	v_cndmask_b32_e32 v18, v29, v27, vcc_lo
	s_wait_alu 0xf1ff
	v_cndmask_b32_e64 v19, v25, v19, s0
	s_delay_alu instid0(VALU_DEP_2) | instskip(NEXT) | instid1(VALU_DEP_2)
	v_cndmask_b32_e64 v18, v24, v18, s0
	v_xor_b32_e32 v19, v19, v3
	s_delay_alu instid0(VALU_DEP_2) | instskip(NEXT) | instid1(VALU_DEP_1)
	v_xor_b32_e32 v18, v18, v3
	v_sub_co_u32 v18, vcc_lo, v18, v3
	s_wait_alu 0xfffd
	s_delay_alu instid0(VALU_DEP_3)
	v_sub_co_ci_u32_e64 v19, null, v19, v3, vcc_lo
.LBB46_36:                              ;   in Loop: Header=BB46_22 Depth=2
	s_wait_alu 0xfffe
	s_and_not1_saveexec_b32 s0, s1
	s_cbranch_execz .LBB46_21
; %bb.37:                               ;   in Loop: Header=BB46_22 Depth=2
	v_cvt_f32_u32_e32 v3, s56
	s_sub_co_i32 s1, 0, s56
	s_delay_alu instid0(VALU_DEP_1) | instskip(NEXT) | instid1(TRANS32_DEP_1)
	v_rcp_iflag_f32_e32 v3, v3
	v_mul_f32_e32 v3, 0x4f7ffffe, v3
	s_delay_alu instid0(VALU_DEP_1) | instskip(SKIP_1) | instid1(VALU_DEP_1)
	v_cvt_u32_f32_e32 v3, v3
	s_wait_alu 0xfffe
	v_mul_lo_u32 v18, s1, v3
	s_delay_alu instid0(VALU_DEP_1) | instskip(NEXT) | instid1(VALU_DEP_1)
	v_mul_hi_u32 v18, v3, v18
	v_add_nc_u32_e32 v3, v3, v18
	s_delay_alu instid0(VALU_DEP_1) | instskip(NEXT) | instid1(VALU_DEP_1)
	v_mul_hi_u32 v3, v16, v3
	v_mul_lo_u32 v18, v3, s56
	v_add_nc_u32_e32 v19, 1, v3
	s_delay_alu instid0(VALU_DEP_2) | instskip(NEXT) | instid1(VALU_DEP_1)
	v_sub_nc_u32_e32 v18, v16, v18
	v_subrev_nc_u32_e32 v24, s56, v18
	v_cmp_le_u32_e32 vcc_lo, s56, v18
	s_wait_alu 0xfffd
	s_delay_alu instid0(VALU_DEP_2) | instskip(NEXT) | instid1(VALU_DEP_1)
	v_dual_cndmask_b32 v18, v18, v24 :: v_dual_cndmask_b32 v3, v3, v19
	v_cmp_le_u32_e32 vcc_lo, s56, v18
	s_delay_alu instid0(VALU_DEP_2) | instskip(SKIP_1) | instid1(VALU_DEP_1)
	v_add_nc_u32_e32 v19, 1, v3
	s_wait_alu 0xfffd
	v_dual_cndmask_b32 v18, v3, v19 :: v_dual_mov_b32 v19, v2
	s_branch .LBB46_21
.LBB46_38:                              ;   in Loop: Header=BB46_3 Depth=1
	s_load_b64 s[38:39], s[24:25], 0x0
	s_wait_kmcnt 0x0
	v_cmp_gt_i64_e32 vcc_lo, s[38:39], v[4:5]
	s_and_b32 exec_lo, exec_lo, vcc_lo
	s_cbranch_execz .LBB46_2
; %bb.39:                               ;   in Loop: Header=BB46_3 Depth=1
	v_lshlrev_b64_e32 v[8:9], 1, v[10:11]
	v_cmp_lt_i64_e32 vcc_lo, s[4:5], v[6:7]
	s_delay_alu instid0(VALU_DEP_2) | instskip(SKIP_1) | instid1(VALU_DEP_3)
	v_add_co_u32 v6, s0, s10, v8
	s_wait_alu 0xf1ff
	v_add_co_ci_u32_e64 v7, null, s11, v9, s0
	s_and_saveexec_b32 s0, vcc_lo
	s_cbranch_execz .LBB46_41
; %bb.40:                               ;   in Loop: Header=BB46_3 Depth=1
	global_store_b16 v[6:7], v2, off
.LBB46_41:                              ;   in Loop: Header=BB46_3 Depth=1
	s_wait_alu 0xfffe
	s_or_b32 exec_lo, exec_lo, s0
	v_add_co_u32 v8, vcc_lo, v4, 1
	s_wait_alu 0xfffd
	v_add_co_ci_u32_e64 v9, null, 0, v5, vcc_lo
	s_delay_alu instid0(VALU_DEP_1)
	v_cmp_gt_i64_e32 vcc_lo, s[38:39], v[8:9]
	s_and_b32 exec_lo, exec_lo, vcc_lo
	s_cbranch_execz .LBB46_2
; %bb.42:                               ;   in Loop: Header=BB46_3 Depth=1
	v_sub_co_u32 v8, vcc_lo, v8, v22
	s_wait_alu 0xfffd
	v_sub_co_ci_u32_e64 v9, null, v9, v23, vcc_lo
	s_mov_b32 s0, exec_lo
	v_cmpx_lt_i64_e64 s[4:5], v[8:9]
	s_cbranch_execz .LBB46_44
; %bb.43:                               ;   in Loop: Header=BB46_3 Depth=1
	s_lshl_b64 s[40:41], s[2:3], 1
	s_wait_alu 0xfffe
	v_add_co_u32 v8, vcc_lo, v6, s40
	s_wait_alu 0xfffd
	v_add_co_ci_u32_e64 v9, null, s41, v7, vcc_lo
	global_store_b16 v[8:9], v2, off
.LBB46_44:                              ;   in Loop: Header=BB46_3 Depth=1
	s_wait_alu 0xfffe
	s_or_b32 exec_lo, exec_lo, s0
	v_add_co_u32 v8, vcc_lo, v4, 2
	s_wait_alu 0xfffd
	v_add_co_ci_u32_e64 v9, null, 0, v5, vcc_lo
	s_delay_alu instid0(VALU_DEP_1)
	v_cmp_gt_i64_e32 vcc_lo, s[38:39], v[8:9]
	s_and_b32 exec_lo, exec_lo, vcc_lo
	s_cbranch_execz .LBB46_2
; %bb.45:                               ;   in Loop: Header=BB46_3 Depth=1
	v_sub_co_u32 v8, vcc_lo, v8, v22
	s_wait_alu 0xfffd
	v_sub_co_ci_u32_e64 v9, null, v9, v23, vcc_lo
	s_mov_b32 s0, exec_lo
	v_cmpx_lt_i64_e64 s[4:5], v[8:9]
	s_cbranch_execz .LBB46_47
; %bb.46:                               ;   in Loop: Header=BB46_3 Depth=1
	s_lshl_b64 s[40:41], s[2:3], 2
	s_wait_alu 0xfffe
	v_add_co_u32 v8, vcc_lo, v6, s40
	s_wait_alu 0xfffd
	v_add_co_ci_u32_e64 v9, null, s41, v7, vcc_lo
	global_store_b16 v[8:9], v2, off
.LBB46_47:                              ;   in Loop: Header=BB46_3 Depth=1
	s_wait_alu 0xfffe
	s_or_b32 exec_lo, exec_lo, s0
	v_add_co_u32 v3, vcc_lo, v4, 3
	s_wait_alu 0xfffd
	v_add_co_ci_u32_e64 v4, null, 0, v5, vcc_lo
	s_delay_alu instid0(VALU_DEP_2) | instskip(SKIP_1) | instid1(VALU_DEP_2)
	v_sub_co_u32 v8, vcc_lo, v3, v22
	s_wait_alu 0xfffd
	v_sub_co_ci_u32_e64 v9, null, v4, v23, vcc_lo
	v_cmp_gt_i64_e32 vcc_lo, s[38:39], v[3:4]
	s_delay_alu instid0(VALU_DEP_2)
	v_cmp_lt_i64_e64 s0, s[4:5], v[8:9]
	s_and_b32 s0, vcc_lo, s0
	s_wait_alu 0xfffe
	s_and_b32 exec_lo, exec_lo, s0
	s_cbranch_execz .LBB46_2
; %bb.48:                               ;   in Loop: Header=BB46_3 Depth=1
	v_mad_co_u64_u32 v[3:4], null, s2, 6, v[6:7]
	s_delay_alu instid0(VALU_DEP_1)
	v_mad_co_u64_u32 v[4:5], null, s3, 6, v[4:5]
	global_store_b16 v[3:4], v2, off
	s_branch .LBB46_2
.LBB46_49:
	s_endpgm
	.section	.rodata,"a",@progbits
	.p2align	6, 0x0
	.amdhsa_kernel _ZN2at6native16triu_tril_kernelIN3c108BFloat16ElLb0ELi4ELb1EEEvNS_4cuda6detail10TensorInfoIT_T0_EENS6_IKS7_S8_EEllS8_
		.amdhsa_group_segment_fixed_size 0
		.amdhsa_private_segment_fixed_size 0
		.amdhsa_kernarg_size 1112
		.amdhsa_user_sgpr_count 2
		.amdhsa_user_sgpr_dispatch_ptr 0
		.amdhsa_user_sgpr_queue_ptr 0
		.amdhsa_user_sgpr_kernarg_segment_ptr 1
		.amdhsa_user_sgpr_dispatch_id 0
		.amdhsa_user_sgpr_private_segment_size 0
		.amdhsa_wavefront_size32 1
		.amdhsa_uses_dynamic_stack 0
		.amdhsa_enable_private_segment 0
		.amdhsa_system_sgpr_workgroup_id_x 1
		.amdhsa_system_sgpr_workgroup_id_y 0
		.amdhsa_system_sgpr_workgroup_id_z 0
		.amdhsa_system_sgpr_workgroup_info 0
		.amdhsa_system_vgpr_workitem_id 0
		.amdhsa_next_free_vgpr 32
		.amdhsa_next_free_sgpr 75
		.amdhsa_reserve_vcc 1
		.amdhsa_float_round_mode_32 0
		.amdhsa_float_round_mode_16_64 0
		.amdhsa_float_denorm_mode_32 3
		.amdhsa_float_denorm_mode_16_64 3
		.amdhsa_fp16_overflow 0
		.amdhsa_workgroup_processor_mode 1
		.amdhsa_memory_ordered 1
		.amdhsa_forward_progress 1
		.amdhsa_inst_pref_size 68
		.amdhsa_round_robin_scheduling 0
		.amdhsa_exception_fp_ieee_invalid_op 0
		.amdhsa_exception_fp_denorm_src 0
		.amdhsa_exception_fp_ieee_div_zero 0
		.amdhsa_exception_fp_ieee_overflow 0
		.amdhsa_exception_fp_ieee_underflow 0
		.amdhsa_exception_fp_ieee_inexact 0
		.amdhsa_exception_int_div_zero 0
	.end_amdhsa_kernel
	.section	.text._ZN2at6native16triu_tril_kernelIN3c108BFloat16ElLb0ELi4ELb1EEEvNS_4cuda6detail10TensorInfoIT_T0_EENS6_IKS7_S8_EEllS8_,"axG",@progbits,_ZN2at6native16triu_tril_kernelIN3c108BFloat16ElLb0ELi4ELb1EEEvNS_4cuda6detail10TensorInfoIT_T0_EENS6_IKS7_S8_EEllS8_,comdat
.Lfunc_end46:
	.size	_ZN2at6native16triu_tril_kernelIN3c108BFloat16ElLb0ELi4ELb1EEEvNS_4cuda6detail10TensorInfoIT_T0_EENS6_IKS7_S8_EEllS8_, .Lfunc_end46-_ZN2at6native16triu_tril_kernelIN3c108BFloat16ElLb0ELi4ELb1EEEvNS_4cuda6detail10TensorInfoIT_T0_EENS6_IKS7_S8_EEllS8_
                                        ; -- End function
	.set _ZN2at6native16triu_tril_kernelIN3c108BFloat16ElLb0ELi4ELb1EEEvNS_4cuda6detail10TensorInfoIT_T0_EENS6_IKS7_S8_EEllS8_.num_vgpr, 32
	.set _ZN2at6native16triu_tril_kernelIN3c108BFloat16ElLb0ELi4ELb1EEEvNS_4cuda6detail10TensorInfoIT_T0_EENS6_IKS7_S8_EEllS8_.num_agpr, 0
	.set _ZN2at6native16triu_tril_kernelIN3c108BFloat16ElLb0ELi4ELb1EEEvNS_4cuda6detail10TensorInfoIT_T0_EENS6_IKS7_S8_EEllS8_.numbered_sgpr, 75
	.set _ZN2at6native16triu_tril_kernelIN3c108BFloat16ElLb0ELi4ELb1EEEvNS_4cuda6detail10TensorInfoIT_T0_EENS6_IKS7_S8_EEllS8_.num_named_barrier, 0
	.set _ZN2at6native16triu_tril_kernelIN3c108BFloat16ElLb0ELi4ELb1EEEvNS_4cuda6detail10TensorInfoIT_T0_EENS6_IKS7_S8_EEllS8_.private_seg_size, 0
	.set _ZN2at6native16triu_tril_kernelIN3c108BFloat16ElLb0ELi4ELb1EEEvNS_4cuda6detail10TensorInfoIT_T0_EENS6_IKS7_S8_EEllS8_.uses_vcc, 1
	.set _ZN2at6native16triu_tril_kernelIN3c108BFloat16ElLb0ELi4ELb1EEEvNS_4cuda6detail10TensorInfoIT_T0_EENS6_IKS7_S8_EEllS8_.uses_flat_scratch, 0
	.set _ZN2at6native16triu_tril_kernelIN3c108BFloat16ElLb0ELi4ELb1EEEvNS_4cuda6detail10TensorInfoIT_T0_EENS6_IKS7_S8_EEllS8_.has_dyn_sized_stack, 0
	.set _ZN2at6native16triu_tril_kernelIN3c108BFloat16ElLb0ELi4ELb1EEEvNS_4cuda6detail10TensorInfoIT_T0_EENS6_IKS7_S8_EEllS8_.has_recursion, 0
	.set _ZN2at6native16triu_tril_kernelIN3c108BFloat16ElLb0ELi4ELb1EEEvNS_4cuda6detail10TensorInfoIT_T0_EENS6_IKS7_S8_EEllS8_.has_indirect_call, 0
	.section	.AMDGPU.csdata,"",@progbits
; Kernel info:
; codeLenInByte = 8604
; TotalNumSgprs: 77
; NumVgprs: 32
; ScratchSize: 0
; MemoryBound: 0
; FloatMode: 240
; IeeeMode: 1
; LDSByteSize: 0 bytes/workgroup (compile time only)
; SGPRBlocks: 0
; VGPRBlocks: 3
; NumSGPRsForWavesPerEU: 77
; NumVGPRsForWavesPerEU: 32
; Occupancy: 16
; WaveLimiterHint : 0
; COMPUTE_PGM_RSRC2:SCRATCH_EN: 0
; COMPUTE_PGM_RSRC2:USER_SGPR: 2
; COMPUTE_PGM_RSRC2:TRAP_HANDLER: 0
; COMPUTE_PGM_RSRC2:TGID_X_EN: 1
; COMPUTE_PGM_RSRC2:TGID_Y_EN: 0
; COMPUTE_PGM_RSRC2:TGID_Z_EN: 0
; COMPUTE_PGM_RSRC2:TIDIG_COMP_CNT: 0
	.section	.text._ZN2at6native16triu_tril_kernelIN3c108BFloat16ElLb0ELi4ELb0EEEvNS_4cuda6detail10TensorInfoIT_T0_EENS6_IKS7_S8_EEllS8_,"axG",@progbits,_ZN2at6native16triu_tril_kernelIN3c108BFloat16ElLb0ELi4ELb0EEEvNS_4cuda6detail10TensorInfoIT_T0_EENS6_IKS7_S8_EEllS8_,comdat
	.protected	_ZN2at6native16triu_tril_kernelIN3c108BFloat16ElLb0ELi4ELb0EEEvNS_4cuda6detail10TensorInfoIT_T0_EENS6_IKS7_S8_EEllS8_ ; -- Begin function _ZN2at6native16triu_tril_kernelIN3c108BFloat16ElLb0ELi4ELb0EEEvNS_4cuda6detail10TensorInfoIT_T0_EENS6_IKS7_S8_EEllS8_
	.globl	_ZN2at6native16triu_tril_kernelIN3c108BFloat16ElLb0ELi4ELb0EEEvNS_4cuda6detail10TensorInfoIT_T0_EENS6_IKS7_S8_EEllS8_
	.p2align	8
	.type	_ZN2at6native16triu_tril_kernelIN3c108BFloat16ElLb0ELi4ELb0EEEvNS_4cuda6detail10TensorInfoIT_T0_EENS6_IKS7_S8_EEllS8_,@function
_ZN2at6native16triu_tril_kernelIN3c108BFloat16ElLb0ELi4ELb0EEEvNS_4cuda6detail10TensorInfoIT_T0_EENS6_IKS7_S8_EEllS8_: ; @_ZN2at6native16triu_tril_kernelIN3c108BFloat16ElLb0ELi4ELb0EEEvNS_4cuda6detail10TensorInfoIT_T0_EENS6_IKS7_S8_EEllS8_
; %bb.0:
	s_clause 0x1
	s_load_b32 s2, s[0:1], 0x364
	s_load_b128 s[4:7], s[0:1], 0x340
	v_mov_b32_e32 v2, 0
	s_delay_alu instid0(VALU_DEP_1) | instskip(SKIP_3) | instid1(VALU_DEP_1)
	v_mov_b32_e32 v1, v2
	s_wait_kmcnt 0x0
	s_and_b32 s26, s2, 0xffff
	s_mov_b32 s2, exec_lo
	v_mad_co_u64_u32 v[0:1], null, s26, ttmp9, v[0:1]
	s_delay_alu instid0(VALU_DEP_1) | instskip(NEXT) | instid1(VALU_DEP_1)
	v_lshlrev_b64_e32 v[0:1], 2, v[0:1]
	v_cmpx_gt_i64_e64 s[6:7], v[0:1]
	s_cbranch_execz .LBB47_44
; %bb.1:
	s_clause 0x2
	s_load_b32 s46, s[0:1], 0x338
	s_load_b64 s[2:3], s[0:1], 0x350
	s_load_b64 s[20:21], s[0:1], 0x1a0
	s_add_nc_u64 s[22:23], s[0:1], 0x1a0
	s_add_nc_u64 s[14:15], s[0:1], 0x358
	s_load_b64 s[24:25], s[0:1], 0x0
	s_mov_b32 s27, 0
	s_mov_b32 s71, 0
	s_wait_kmcnt 0x0
	s_ashr_i32 s47, s46, 31
	v_cvt_f32_u32_e32 v3, s2
	s_lshl_b64 s[12:13], s[46:47], 3
	s_add_co_i32 s28, s46, -3
	s_add_nc_u64 s[16:17], s[22:23], s[12:13]
	s_add_nc_u64 s[12:13], s[0:1], s[12:13]
	s_add_nc_u64 s[8:9], s[16:17], -8
	v_rcp_iflag_f32_e32 v3, v3
	s_load_b128 s[8:11], s[8:9], 0x0
	s_load_b32 s29, s[14:15], 0x0
	s_clause 0x1
	s_load_b128 s[12:15], s[12:13], 0xc0
	s_load_b128 s[16:19], s[16:17], 0xc0
	v_cmp_gt_i64_e64 s70, s[46:47], 2
	s_add_nc_u64 s[46:47], s[0:1], 0xc8
	s_delay_alu instid0(TRANS32_DEP_1) | instskip(NEXT) | instid1(VALU_DEP_1)
	v_mul_f32_e32 v3, 0x4f7ffffe, v3
	v_cvt_u32_f32_e32 v16, v3
	s_wait_kmcnt 0x0
	v_cvt_f32_u32_e32 v4, s8
	s_mul_i32 s26, s29, s26
	s_ashr_i32 s29, s28, 31
	s_wait_alu 0xfffe
	s_lshl_b32 s33, s26, 2
	s_lshl_b64 s[34:35], s[14:15], 2
	v_rcp_iflag_f32_e32 v4, v4
	s_lshl_b64 s[38:39], s[18:19], 2
	s_bitcmp0_b32 s28, 0
	s_add_nc_u64 s[30:31], s[28:29], -1
	s_cselect_b32 s68, -1, 0
	s_lshl_b64 s[44:45], s[28:29], 3
	s_cmp_lg_u32 s28, 0
	s_mul_u64 s[36:37], s[14:15], 6
	s_mul_u64 s[40:41], s[18:19], 6
	s_add_nc_u64 s[42:43], s[22:23], s[44:45]
	v_mul_f32_e32 v3, 0x4f7ffffe, v4
	s_add_nc_u64 s[44:45], s[0:1], s[44:45]
	s_cselect_b32 s69, -1, 0
	s_ashr_i32 s48, s3, 31
	s_delay_alu instid0(VALU_DEP_1)
	v_cvt_u32_f32_e32 v17, v3
	s_branch .LBB47_3
.LBB47_2:                               ;   in Loop: Header=BB47_3 Depth=1
	s_wait_alu 0xfffe
	s_or_b32 exec_lo, exec_lo, s0
	v_add_co_u32 v0, vcc_lo, v0, s33
	s_wait_alu 0xfffd
	v_add_co_ci_u32_e64 v1, null, 0, v1, vcc_lo
	s_delay_alu instid0(VALU_DEP_1) | instskip(SKIP_1) | instid1(SALU_CYCLE_1)
	v_cmp_le_i64_e32 vcc_lo, s[6:7], v[0:1]
	s_or_b32 s71, vcc_lo, s71
	s_and_not1_b32 exec_lo, exec_lo, s71
	s_cbranch_execz .LBB47_44
.LBB47_3:                               ; =>This Loop Header: Depth=1
                                        ;     Child Loop BB47_21 Depth 2
	v_or_b32_e32 v3, s3, v1
                                        ; implicit-def: $vgpr6_vgpr7
	s_mov_b32 s0, exec_lo
	s_delay_alu instid0(VALU_DEP_1)
	v_cmpx_ne_u64_e32 0, v[2:3]
	s_wait_alu 0xfffe
	s_xor_b32 s1, exec_lo, s0
	s_cbranch_execz .LBB47_5
; %bb.4:                                ;   in Loop: Header=BB47_3 Depth=1
	s_mov_b32 s49, s48
	v_ashrrev_i32_e32 v9, 31, v1
	s_wait_alu 0xfffe
	s_add_nc_u64 s[50:51], s[2:3], s[48:49]
	s_wait_alu 0xfffe
	s_xor_b64 s[50:51], s[50:51], s[48:49]
	v_add_co_u32 v3, vcc_lo, v0, v9
	s_wait_alu 0xfffe
	s_cvt_f32_u32 s0, s50
	s_cvt_f32_u32 s26, s51
	s_sub_nc_u64 s[54:55], 0, s[50:51]
	s_wait_alu 0xfffd
	v_add_co_ci_u32_e64 v4, null, v1, v9, vcc_lo
	s_wait_alu 0xfffe
	s_fmamk_f32 s0, s26, 0x4f800000, s0
	v_xor_b32_e32 v10, v3, v9
	s_delay_alu instid0(VALU_DEP_2) | instskip(SKIP_2) | instid1(TRANS32_DEP_1)
	v_xor_b32_e32 v11, v4, v9
	s_wait_alu 0xfffe
	v_s_rcp_f32 s0, s0
	s_mul_f32 s0, s0, 0x5f7ffffc
	s_wait_alu 0xfffe
	s_delay_alu instid0(SALU_CYCLE_2) | instskip(SKIP_1) | instid1(SALU_CYCLE_2)
	s_mul_f32 s26, s0, 0x2f800000
	s_wait_alu 0xfffe
	s_trunc_f32 s26, s26
	s_wait_alu 0xfffe
	s_delay_alu instid0(SALU_CYCLE_2) | instskip(SKIP_2) | instid1(SALU_CYCLE_1)
	s_fmamk_f32 s0, s26, 0xcf800000, s0
	s_cvt_u32_f32 s53, s26
	s_wait_alu 0xfffe
	s_cvt_u32_f32 s52, s0
	s_wait_alu 0xfffe
	s_delay_alu instid0(SALU_CYCLE_2)
	s_mul_u64 s[56:57], s[54:55], s[52:53]
	s_wait_alu 0xfffe
	s_mul_hi_u32 s59, s52, s57
	s_mul_i32 s58, s52, s57
	s_mul_hi_u32 s26, s52, s56
	s_mul_i32 s49, s53, s56
	s_wait_alu 0xfffe
	s_add_nc_u64 s[58:59], s[26:27], s[58:59]
	s_mul_hi_u32 s0, s53, s56
	s_mul_hi_u32 s60, s53, s57
	s_wait_alu 0xfffe
	s_add_co_u32 s26, s58, s49
	s_add_co_ci_u32 s26, s59, s0
	s_mul_i32 s56, s53, s57
	s_add_co_ci_u32 s57, s60, 0
	s_wait_alu 0xfffe
	s_add_nc_u64 s[56:57], s[26:27], s[56:57]
	s_wait_alu 0xfffe
	s_add_co_u32 s52, s52, s56
	s_cselect_b32 s0, -1, 0
	s_wait_alu 0xfffe
	s_cmp_lg_u32 s0, 0
	s_add_co_ci_u32 s53, s53, s57
	s_wait_alu 0xfffe
	s_mul_u64 s[54:55], s[54:55], s[52:53]
	s_wait_alu 0xfffe
	s_mul_hi_u32 s57, s52, s55
	s_mul_i32 s56, s52, s55
	s_mul_hi_u32 s26, s52, s54
	s_mul_i32 s49, s53, s54
	s_wait_alu 0xfffe
	s_add_nc_u64 s[56:57], s[26:27], s[56:57]
	s_mul_hi_u32 s0, s53, s54
	s_mul_hi_u32 s58, s53, s55
	s_wait_alu 0xfffe
	s_add_co_u32 s26, s56, s49
	s_add_co_ci_u32 s26, s57, s0
	s_mul_i32 s54, s53, s55
	s_add_co_ci_u32 s55, s58, 0
	s_wait_alu 0xfffe
	s_add_nc_u64 s[54:55], s[26:27], s[54:55]
	s_wait_alu 0xfffe
	s_add_co_u32 s0, s52, s54
	s_cselect_b32 s26, -1, 0
	s_wait_alu 0xfffe
	v_mul_hi_u32 v12, v10, s0
	s_cmp_lg_u32 s26, 0
	v_mad_co_u64_u32 v[5:6], null, v11, s0, 0
	s_add_co_ci_u32 s26, s53, s55
	s_wait_alu 0xfffe
	v_mad_co_u64_u32 v[3:4], null, v10, s26, 0
	v_mad_co_u64_u32 v[7:8], null, v11, s26, 0
	s_delay_alu instid0(VALU_DEP_2) | instskip(SKIP_1) | instid1(VALU_DEP_3)
	v_add_co_u32 v3, vcc_lo, v12, v3
	s_wait_alu 0xfffd
	v_add_co_ci_u32_e64 v4, null, 0, v4, vcc_lo
	s_delay_alu instid0(VALU_DEP_2) | instskip(SKIP_1) | instid1(VALU_DEP_2)
	v_add_co_u32 v3, vcc_lo, v3, v5
	s_wait_alu 0xfffd
	v_add_co_ci_u32_e32 v3, vcc_lo, v4, v6, vcc_lo
	s_wait_alu 0xfffd
	v_add_co_ci_u32_e32 v4, vcc_lo, 0, v8, vcc_lo
	s_delay_alu instid0(VALU_DEP_2) | instskip(SKIP_1) | instid1(VALU_DEP_2)
	v_add_co_u32 v5, vcc_lo, v3, v7
	s_wait_alu 0xfffd
	v_add_co_ci_u32_e64 v6, null, 0, v4, vcc_lo
	s_delay_alu instid0(VALU_DEP_2) | instskip(SKIP_1) | instid1(VALU_DEP_3)
	v_mul_lo_u32 v7, s51, v5
	v_mad_co_u64_u32 v[3:4], null, s50, v5, 0
	v_mul_lo_u32 v8, s50, v6
	s_delay_alu instid0(VALU_DEP_2) | instskip(NEXT) | instid1(VALU_DEP_2)
	v_sub_co_u32 v3, vcc_lo, v10, v3
	v_add3_u32 v4, v4, v8, v7
	v_add_co_u32 v8, s0, v5, 2
	s_wait_alu 0xf1ff
	v_add_co_ci_u32_e64 v10, null, 0, v6, s0
	s_delay_alu instid0(VALU_DEP_3) | instskip(SKIP_3) | instid1(VALU_DEP_3)
	v_sub_nc_u32_e32 v7, v11, v4
	v_sub_co_u32 v12, s0, v3, s50
	s_wait_alu 0xfffd
	v_sub_co_ci_u32_e64 v4, null, v11, v4, vcc_lo
	v_subrev_co_ci_u32_e64 v7, null, s51, v7, vcc_lo
	s_delay_alu instid0(VALU_DEP_3) | instskip(SKIP_1) | instid1(VALU_DEP_2)
	v_cmp_le_u32_e32 vcc_lo, s50, v12
	s_wait_alu 0xf1ff
	v_subrev_co_ci_u32_e64 v7, null, 0, v7, s0
	s_wait_alu 0xfffd
	v_cndmask_b32_e64 v11, 0, -1, vcc_lo
	s_delay_alu instid0(VALU_DEP_2)
	v_cmp_le_u32_e32 vcc_lo, s51, v7
	s_wait_alu 0xfffd
	v_cndmask_b32_e64 v12, 0, -1, vcc_lo
	v_cmp_le_u32_e32 vcc_lo, s50, v3
	s_wait_alu 0xfffd
	v_cndmask_b32_e64 v3, 0, -1, vcc_lo
	;; [unrolled: 3-line block ×3, first 2 shown]
	v_cmp_eq_u32_e32 vcc_lo, s51, v7
	s_wait_alu 0xfffd
	v_cndmask_b32_e32 v7, v12, v11, vcc_lo
	v_add_co_u32 v11, vcc_lo, v5, 1
	s_wait_alu 0xfffd
	v_add_co_ci_u32_e64 v12, null, 0, v6, vcc_lo
	v_cmp_eq_u32_e32 vcc_lo, s51, v4
	s_wait_alu 0xfffd
	v_cndmask_b32_e32 v3, v13, v3, vcc_lo
	v_cmp_ne_u32_e32 vcc_lo, 0, v7
	v_xor_b32_e32 v7, s48, v9
	s_wait_alu 0xfffd
	v_cndmask_b32_e32 v4, v12, v10, vcc_lo
	v_cmp_ne_u32_e64 s0, 0, v3
	v_cndmask_b32_e32 v3, v11, v8, vcc_lo
	s_wait_alu 0xf1ff
	s_delay_alu instid0(VALU_DEP_2) | instskip(NEXT) | instid1(VALU_DEP_2)
	v_cndmask_b32_e64 v4, v6, v4, s0
	v_cndmask_b32_e64 v3, v5, v3, s0
	s_delay_alu instid0(VALU_DEP_2) | instskip(NEXT) | instid1(VALU_DEP_2)
	v_xor_b32_e32 v4, v4, v7
	v_xor_b32_e32 v3, v3, v7
	s_delay_alu instid0(VALU_DEP_1) | instskip(SKIP_1) | instid1(VALU_DEP_3)
	v_sub_co_u32 v6, vcc_lo, v3, v7
	s_wait_alu 0xfffd
	v_sub_co_ci_u32_e64 v7, null, v4, v7, vcc_lo
.LBB47_5:                               ;   in Loop: Header=BB47_3 Depth=1
	s_wait_alu 0xfffe
	s_and_not1_saveexec_b32 s0, s1
	s_cbranch_execz .LBB47_7
; %bb.6:                                ;   in Loop: Header=BB47_3 Depth=1
	s_sub_co_i32 s1, 0, s2
	v_mov_b32_e32 v7, v2
	s_wait_alu 0xfffe
	v_mul_lo_u32 v3, s1, v16
	s_delay_alu instid0(VALU_DEP_1) | instskip(NEXT) | instid1(VALU_DEP_1)
	v_mul_hi_u32 v3, v16, v3
	v_add_nc_u32_e32 v3, v16, v3
	s_delay_alu instid0(VALU_DEP_1) | instskip(NEXT) | instid1(VALU_DEP_1)
	v_mul_hi_u32 v3, v0, v3
	v_mul_lo_u32 v4, v3, s2
	s_delay_alu instid0(VALU_DEP_1) | instskip(NEXT) | instid1(VALU_DEP_1)
	v_sub_nc_u32_e32 v4, v0, v4
	v_subrev_nc_u32_e32 v6, s2, v4
	v_cmp_le_u32_e32 vcc_lo, s2, v4
	s_wait_alu 0xfffd
	s_delay_alu instid0(VALU_DEP_2) | instskip(NEXT) | instid1(VALU_DEP_1)
	v_dual_cndmask_b32 v4, v4, v6 :: v_dual_add_nc_u32 v5, 1, v3
	v_cndmask_b32_e32 v3, v3, v5, vcc_lo
	s_delay_alu instid0(VALU_DEP_2) | instskip(NEXT) | instid1(VALU_DEP_2)
	v_cmp_le_u32_e32 vcc_lo, s2, v4
	v_add_nc_u32_e32 v5, 1, v3
	s_wait_alu 0xfffd
	s_delay_alu instid0(VALU_DEP_1)
	v_cndmask_b32_e32 v6, v3, v5, vcc_lo
.LBB47_7:                               ;   in Loop: Header=BB47_3 Depth=1
	s_wait_alu 0xfffe
	s_or_b32 exec_lo, exec_lo, s0
	v_or_b32_e32 v3, s9, v7
                                        ; implicit-def: $vgpr10_vgpr11
	s_mov_b32 s0, exec_lo
	s_delay_alu instid0(VALU_DEP_1)
	v_cmpx_ne_u64_e32 0, v[2:3]
	s_wait_alu 0xfffe
	s_xor_b32 s1, exec_lo, s0
	s_cbranch_execz .LBB47_9
; %bb.8:                                ;   in Loop: Header=BB47_3 Depth=1
	s_ashr_i32 s50, s9, 31
	v_ashrrev_i32_e32 v5, 31, v7
	s_wait_alu 0xfffe
	s_mov_b32 s51, s50
	s_wait_alu 0xfffe
	s_add_nc_u64 s[52:53], s[8:9], s[50:51]
	v_add_co_u32 v3, vcc_lo, v6, v5
	s_wait_alu 0xfffe
	s_xor_b64 s[52:53], s[52:53], s[50:51]
	s_wait_alu 0xfffd
	v_add_co_ci_u32_e64 v4, null, v7, v5, vcc_lo
	s_wait_alu 0xfffe
	s_cvt_f32_u32 s0, s52
	s_cvt_f32_u32 s26, s53
	s_sub_nc_u64 s[56:57], 0, s[52:53]
	v_xor_b32_e32 v12, v3, v5
	v_xor_b32_e32 v13, v4, v5
	s_wait_alu 0xfffe
	s_fmamk_f32 s0, s26, 0x4f800000, s0
	v_xor_b32_e32 v5, s50, v5
	s_wait_alu 0xfffe
	s_delay_alu instid0(SALU_CYCLE_1) | instskip(NEXT) | instid1(TRANS32_DEP_1)
	v_s_rcp_f32 s0, s0
	s_mul_f32 s0, s0, 0x5f7ffffc
	s_wait_alu 0xfffe
	s_delay_alu instid0(SALU_CYCLE_2) | instskip(SKIP_1) | instid1(SALU_CYCLE_2)
	s_mul_f32 s26, s0, 0x2f800000
	s_wait_alu 0xfffe
	s_trunc_f32 s26, s26
	s_wait_alu 0xfffe
	s_delay_alu instid0(SALU_CYCLE_2) | instskip(SKIP_2) | instid1(SALU_CYCLE_1)
	s_fmamk_f32 s0, s26, 0xcf800000, s0
	s_cvt_u32_f32 s55, s26
	s_wait_alu 0xfffe
	s_cvt_u32_f32 s54, s0
	s_wait_alu 0xfffe
	s_delay_alu instid0(SALU_CYCLE_2)
	s_mul_u64 s[58:59], s[56:57], s[54:55]
	s_wait_alu 0xfffe
	s_mul_hi_u32 s61, s54, s59
	s_mul_i32 s60, s54, s59
	s_mul_hi_u32 s26, s54, s58
	s_mul_i32 s49, s55, s58
	s_wait_alu 0xfffe
	s_add_nc_u64 s[60:61], s[26:27], s[60:61]
	s_mul_hi_u32 s0, s55, s58
	s_mul_hi_u32 s51, s55, s59
	s_wait_alu 0xfffe
	s_add_co_u32 s26, s60, s49
	s_add_co_ci_u32 s26, s61, s0
	s_mul_i32 s58, s55, s59
	s_add_co_ci_u32 s59, s51, 0
	s_wait_alu 0xfffe
	s_add_nc_u64 s[58:59], s[26:27], s[58:59]
	s_wait_alu 0xfffe
	s_add_co_u32 s54, s54, s58
	s_cselect_b32 s0, -1, 0
	s_wait_alu 0xfffe
	s_cmp_lg_u32 s0, 0
	s_add_co_ci_u32 s55, s55, s59
	s_wait_alu 0xfffe
	s_mul_u64 s[56:57], s[56:57], s[54:55]
	s_wait_alu 0xfffe
	s_mul_hi_u32 s59, s54, s57
	s_mul_i32 s58, s54, s57
	s_mul_hi_u32 s26, s54, s56
	s_mul_i32 s49, s55, s56
	s_wait_alu 0xfffe
	s_add_nc_u64 s[58:59], s[26:27], s[58:59]
	s_mul_hi_u32 s0, s55, s56
	s_mul_hi_u32 s51, s55, s57
	s_wait_alu 0xfffe
	s_add_co_u32 s26, s58, s49
	s_add_co_ci_u32 s26, s59, s0
	s_mul_i32 s56, s55, s57
	s_add_co_ci_u32 s57, s51, 0
	s_wait_alu 0xfffe
	s_add_nc_u64 s[56:57], s[26:27], s[56:57]
	s_wait_alu 0xfffe
	s_add_co_u32 s0, s54, s56
	s_cselect_b32 s26, -1, 0
	s_wait_alu 0xfffe
	v_mul_hi_u32 v14, v12, s0
	s_cmp_lg_u32 s26, 0
	v_mad_co_u64_u32 v[8:9], null, v13, s0, 0
	s_add_co_ci_u32 s26, s55, s57
	s_wait_alu 0xfffe
	v_mad_co_u64_u32 v[3:4], null, v12, s26, 0
	v_mad_co_u64_u32 v[10:11], null, v13, s26, 0
	s_delay_alu instid0(VALU_DEP_2) | instskip(SKIP_1) | instid1(VALU_DEP_3)
	v_add_co_u32 v3, vcc_lo, v14, v3
	s_wait_alu 0xfffd
	v_add_co_ci_u32_e64 v4, null, 0, v4, vcc_lo
	s_delay_alu instid0(VALU_DEP_2) | instskip(SKIP_1) | instid1(VALU_DEP_2)
	v_add_co_u32 v3, vcc_lo, v3, v8
	s_wait_alu 0xfffd
	v_add_co_ci_u32_e32 v3, vcc_lo, v4, v9, vcc_lo
	s_wait_alu 0xfffd
	v_add_co_ci_u32_e32 v4, vcc_lo, 0, v11, vcc_lo
	s_delay_alu instid0(VALU_DEP_2) | instskip(SKIP_1) | instid1(VALU_DEP_2)
	v_add_co_u32 v8, vcc_lo, v3, v10
	s_wait_alu 0xfffd
	v_add_co_ci_u32_e64 v9, null, 0, v4, vcc_lo
	s_delay_alu instid0(VALU_DEP_2) | instskip(SKIP_1) | instid1(VALU_DEP_3)
	v_mul_lo_u32 v10, s53, v8
	v_mad_co_u64_u32 v[3:4], null, s52, v8, 0
	v_mul_lo_u32 v11, s52, v9
	s_delay_alu instid0(VALU_DEP_2) | instskip(NEXT) | instid1(VALU_DEP_2)
	v_sub_co_u32 v3, vcc_lo, v12, v3
	v_add3_u32 v4, v4, v11, v10
	v_add_co_u32 v11, s0, v8, 2
	s_wait_alu 0xf1ff
	v_add_co_ci_u32_e64 v12, null, 0, v9, s0
	s_delay_alu instid0(VALU_DEP_3) | instskip(SKIP_3) | instid1(VALU_DEP_3)
	v_sub_nc_u32_e32 v10, v13, v4
	v_sub_co_u32 v14, s0, v3, s52
	s_wait_alu 0xfffd
	v_sub_co_ci_u32_e64 v4, null, v13, v4, vcc_lo
	v_subrev_co_ci_u32_e64 v10, null, s53, v10, vcc_lo
	s_delay_alu instid0(VALU_DEP_3) | instskip(SKIP_1) | instid1(VALU_DEP_2)
	v_cmp_le_u32_e32 vcc_lo, s52, v14
	s_wait_alu 0xf1ff
	v_subrev_co_ci_u32_e64 v10, null, 0, v10, s0
	s_wait_alu 0xfffd
	v_cndmask_b32_e64 v13, 0, -1, vcc_lo
	s_delay_alu instid0(VALU_DEP_2)
	v_cmp_le_u32_e32 vcc_lo, s53, v10
	s_wait_alu 0xfffd
	v_cndmask_b32_e64 v14, 0, -1, vcc_lo
	v_cmp_le_u32_e32 vcc_lo, s52, v3
	s_wait_alu 0xfffd
	v_cndmask_b32_e64 v3, 0, -1, vcc_lo
	;; [unrolled: 3-line block ×3, first 2 shown]
	v_cmp_eq_u32_e32 vcc_lo, s53, v10
	s_wait_alu 0xfffd
	v_cndmask_b32_e32 v10, v14, v13, vcc_lo
	v_add_co_u32 v13, vcc_lo, v8, 1
	s_wait_alu 0xfffd
	v_add_co_ci_u32_e64 v14, null, 0, v9, vcc_lo
	v_cmp_eq_u32_e32 vcc_lo, s53, v4
	s_wait_alu 0xfffd
	v_cndmask_b32_e32 v3, v15, v3, vcc_lo
	v_cmp_ne_u32_e32 vcc_lo, 0, v10
	s_delay_alu instid0(VALU_DEP_2) | instskip(SKIP_3) | instid1(VALU_DEP_1)
	v_cmp_ne_u32_e64 s0, 0, v3
	s_wait_alu 0xfffd
	v_dual_cndmask_b32 v4, v14, v12 :: v_dual_cndmask_b32 v3, v13, v11
	s_wait_alu 0xf1ff
	v_cndmask_b32_e64 v4, v9, v4, s0
	s_delay_alu instid0(VALU_DEP_2) | instskip(NEXT) | instid1(VALU_DEP_2)
	v_cndmask_b32_e64 v3, v8, v3, s0
	v_xor_b32_e32 v4, v4, v5
	s_delay_alu instid0(VALU_DEP_2) | instskip(NEXT) | instid1(VALU_DEP_1)
	v_xor_b32_e32 v3, v3, v5
	v_sub_co_u32 v10, vcc_lo, v3, v5
	s_wait_alu 0xfffd
	s_delay_alu instid0(VALU_DEP_3)
	v_sub_co_ci_u32_e64 v11, null, v4, v5, vcc_lo
.LBB47_9:                               ;   in Loop: Header=BB47_3 Depth=1
	s_wait_alu 0xfffe
	s_and_not1_saveexec_b32 s0, s1
	s_cbranch_execz .LBB47_11
; %bb.10:                               ;   in Loop: Header=BB47_3 Depth=1
	s_sub_co_i32 s1, 0, s8
	v_mov_b32_e32 v11, v2
	s_wait_alu 0xfffe
	v_mul_lo_u32 v3, s1, v17
	s_delay_alu instid0(VALU_DEP_1) | instskip(NEXT) | instid1(VALU_DEP_1)
	v_mul_hi_u32 v3, v17, v3
	v_add_nc_u32_e32 v3, v17, v3
	s_delay_alu instid0(VALU_DEP_1) | instskip(NEXT) | instid1(VALU_DEP_1)
	v_mul_hi_u32 v3, v6, v3
	v_mul_lo_u32 v4, v3, s8
	v_add_nc_u32_e32 v5, 1, v3
	s_delay_alu instid0(VALU_DEP_2) | instskip(NEXT) | instid1(VALU_DEP_1)
	v_sub_nc_u32_e32 v4, v6, v4
	v_subrev_nc_u32_e32 v8, s8, v4
	v_cmp_le_u32_e32 vcc_lo, s8, v4
	s_wait_alu 0xfffd
	s_delay_alu instid0(VALU_DEP_2) | instskip(NEXT) | instid1(VALU_DEP_1)
	v_dual_cndmask_b32 v4, v4, v8 :: v_dual_cndmask_b32 v3, v3, v5
	v_cmp_le_u32_e32 vcc_lo, s8, v4
	s_delay_alu instid0(VALU_DEP_2) | instskip(SKIP_1) | instid1(VALU_DEP_1)
	v_add_nc_u32_e32 v5, 1, v3
	s_wait_alu 0xfffd
	v_cndmask_b32_e32 v10, v3, v5, vcc_lo
.LBB47_11:                              ;   in Loop: Header=BB47_3 Depth=1
	s_wait_alu 0xfffe
	s_or_b32 exec_lo, exec_lo, s0
	v_mul_lo_u32 v5, v7, s2
	v_mul_lo_u32 v12, v6, s3
	v_mad_co_u64_u32 v[3:4], null, v6, s2, 0
	v_mul_lo_u32 v13, v11, s8
	v_mul_lo_u32 v14, v10, s9
	v_mad_co_u64_u32 v[8:9], null, v10, s8, 0
	s_delay_alu instid0(VALU_DEP_4) | instskip(SKIP_1) | instid1(VALU_DEP_3)
	v_add3_u32 v5, v4, v12, v5
	v_sub_co_u32 v4, vcc_lo, v0, v3
	v_add3_u32 v3, v9, v14, v13
	s_wait_alu 0xfffd
	s_delay_alu instid0(VALU_DEP_3) | instskip(NEXT) | instid1(VALU_DEP_3)
	v_sub_co_ci_u32_e64 v5, null, v1, v5, vcc_lo
	v_mul_lo_u32 v9, s19, v4
	v_mad_co_u64_u32 v[12:13], null, s18, v4, 0
	v_mul_lo_u32 v20, s15, v4
	s_delay_alu instid0(VALU_DEP_4)
	v_mul_lo_u32 v21, s18, v5
	v_mul_lo_u32 v22, s14, v5
	v_mad_co_u64_u32 v[14:15], null, s14, v4, 0
	v_sub_co_u32 v18, vcc_lo, v6, v8
	s_wait_alu 0xfffd
	v_sub_co_ci_u32_e64 v19, null, v7, v3, vcc_lo
	v_add3_u32 v13, v13, v21, v9
	s_delay_alu instid0(VALU_DEP_3) | instskip(SKIP_1) | instid1(VALU_DEP_4)
	v_mul_lo_u32 v3, s17, v18
	v_add3_u32 v15, v15, v22, v20
	v_mul_lo_u32 v21, s16, v19
	s_and_not1_b32 vcc_lo, exec_lo, s70
	v_mad_co_u64_u32 v[8:9], null, s16, v18, v[12:13]
	v_mul_lo_u32 v12, s12, v19
	v_mul_lo_u32 v13, s13, v18
	v_mad_co_u64_u32 v[6:7], null, s12, v18, v[14:15]
	s_delay_alu instid0(VALU_DEP_4) | instskip(NEXT) | instid1(VALU_DEP_2)
	v_add3_u32 v9, v3, v9, v21
	v_add3_u32 v7, v13, v7, v12
	s_wait_alu 0xfffe
	s_cbranch_vccnz .LBB47_29
; %bb.12:                               ;   in Loop: Header=BB47_3 Depth=1
	s_and_not1_b32 vcc_lo, exec_lo, s68
	s_wait_alu 0xfffe
	s_cbranch_vccnz .LBB47_18
; %bb.13:                               ;   in Loop: Header=BB47_3 Depth=1
	s_load_b64 s[50:51], s[42:43], 0x8
                                        ; implicit-def: $vgpr12_vgpr13
	s_mov_b32 s0, exec_lo
	s_wait_kmcnt 0x0
	v_or_b32_e32 v3, s51, v11
	s_delay_alu instid0(VALU_DEP_1)
	v_cmpx_ne_u64_e32 0, v[2:3]
	s_wait_alu 0xfffe
	s_xor_b32 s1, exec_lo, s0
	s_cbranch_execz .LBB47_15
; %bb.14:                               ;   in Loop: Header=BB47_3 Depth=1
	s_ashr_i32 s52, s51, 31
	v_ashrrev_i32_e32 v3, 31, v11
	s_wait_alu 0xfffe
	s_mov_b32 s53, s52
	s_wait_alu 0xfffe
	s_add_nc_u64 s[54:55], s[50:51], s[52:53]
	v_add_co_u32 v12, vcc_lo, v10, v3
	s_wait_alu 0xfffe
	s_xor_b64 s[54:55], s[54:55], s[52:53]
	s_wait_alu 0xfffd
	v_add_co_ci_u32_e64 v13, null, v11, v3, vcc_lo
	s_wait_alu 0xfffe
	s_cvt_f32_u32 s0, s54
	s_cvt_f32_u32 s26, s55
	s_sub_nc_u64 s[58:59], 0, s[54:55]
	v_xor_b32_e32 v22, v12, v3
	v_xor_b32_e32 v23, v13, v3
	s_wait_alu 0xfffe
	s_fmamk_f32 s0, s26, 0x4f800000, s0
	v_xor_b32_e32 v3, s52, v3
	s_wait_alu 0xfffe
	s_delay_alu instid0(SALU_CYCLE_1) | instskip(NEXT) | instid1(TRANS32_DEP_1)
	v_s_rcp_f32 s0, s0
	s_mul_f32 s0, s0, 0x5f7ffffc
	s_wait_alu 0xfffe
	s_delay_alu instid0(SALU_CYCLE_2) | instskip(SKIP_1) | instid1(SALU_CYCLE_2)
	s_mul_f32 s26, s0, 0x2f800000
	s_wait_alu 0xfffe
	s_trunc_f32 s26, s26
	s_wait_alu 0xfffe
	s_delay_alu instid0(SALU_CYCLE_2) | instskip(SKIP_2) | instid1(SALU_CYCLE_1)
	s_fmamk_f32 s0, s26, 0xcf800000, s0
	s_cvt_u32_f32 s57, s26
	s_wait_alu 0xfffe
	s_cvt_u32_f32 s56, s0
	s_wait_alu 0xfffe
	s_delay_alu instid0(SALU_CYCLE_2)
	s_mul_u64 s[60:61], s[58:59], s[56:57]
	s_wait_alu 0xfffe
	s_mul_hi_u32 s63, s56, s61
	s_mul_i32 s62, s56, s61
	s_mul_hi_u32 s26, s56, s60
	s_mul_i32 s49, s57, s60
	s_wait_alu 0xfffe
	s_add_nc_u64 s[62:63], s[26:27], s[62:63]
	s_mul_hi_u32 s0, s57, s60
	s_mul_hi_u32 s53, s57, s61
	s_wait_alu 0xfffe
	s_add_co_u32 s26, s62, s49
	s_add_co_ci_u32 s26, s63, s0
	s_mul_i32 s60, s57, s61
	s_add_co_ci_u32 s61, s53, 0
	s_wait_alu 0xfffe
	s_add_nc_u64 s[60:61], s[26:27], s[60:61]
	s_wait_alu 0xfffe
	s_add_co_u32 s56, s56, s60
	s_cselect_b32 s0, -1, 0
	s_wait_alu 0xfffe
	s_cmp_lg_u32 s0, 0
	s_add_co_ci_u32 s57, s57, s61
	s_wait_alu 0xfffe
	s_mul_u64 s[58:59], s[58:59], s[56:57]
	s_wait_alu 0xfffe
	s_mul_hi_u32 s61, s56, s59
	s_mul_i32 s60, s56, s59
	s_mul_hi_u32 s26, s56, s58
	s_mul_i32 s49, s57, s58
	s_wait_alu 0xfffe
	s_add_nc_u64 s[60:61], s[26:27], s[60:61]
	s_mul_hi_u32 s0, s57, s58
	s_mul_hi_u32 s53, s57, s59
	s_wait_alu 0xfffe
	s_add_co_u32 s26, s60, s49
	s_add_co_ci_u32 s26, s61, s0
	s_mul_i32 s58, s57, s59
	s_add_co_ci_u32 s59, s53, 0
	s_wait_alu 0xfffe
	s_add_nc_u64 s[58:59], s[26:27], s[58:59]
	s_wait_alu 0xfffe
	s_add_co_u32 s0, s56, s58
	s_cselect_b32 s26, -1, 0
	s_wait_alu 0xfffe
	v_mul_hi_u32 v24, v22, s0
	s_cmp_lg_u32 s26, 0
	v_mad_co_u64_u32 v[14:15], null, v23, s0, 0
	s_add_co_ci_u32 s26, s57, s59
	s_wait_alu 0xfffe
	v_mad_co_u64_u32 v[12:13], null, v22, s26, 0
	v_mad_co_u64_u32 v[20:21], null, v23, s26, 0
	s_delay_alu instid0(VALU_DEP_2) | instskip(SKIP_1) | instid1(VALU_DEP_3)
	v_add_co_u32 v12, vcc_lo, v24, v12
	s_wait_alu 0xfffd
	v_add_co_ci_u32_e64 v13, null, 0, v13, vcc_lo
	s_delay_alu instid0(VALU_DEP_2) | instskip(SKIP_1) | instid1(VALU_DEP_2)
	v_add_co_u32 v12, vcc_lo, v12, v14
	s_wait_alu 0xfffd
	v_add_co_ci_u32_e32 v12, vcc_lo, v13, v15, vcc_lo
	s_wait_alu 0xfffd
	v_add_co_ci_u32_e32 v13, vcc_lo, 0, v21, vcc_lo
	s_delay_alu instid0(VALU_DEP_2) | instskip(SKIP_1) | instid1(VALU_DEP_2)
	v_add_co_u32 v14, vcc_lo, v12, v20
	s_wait_alu 0xfffd
	v_add_co_ci_u32_e64 v15, null, 0, v13, vcc_lo
	s_delay_alu instid0(VALU_DEP_2) | instskip(SKIP_1) | instid1(VALU_DEP_3)
	v_mul_lo_u32 v20, s55, v14
	v_mad_co_u64_u32 v[12:13], null, s54, v14, 0
	v_mul_lo_u32 v21, s54, v15
	s_delay_alu instid0(VALU_DEP_2) | instskip(NEXT) | instid1(VALU_DEP_2)
	v_sub_co_u32 v12, vcc_lo, v22, v12
	v_add3_u32 v13, v13, v21, v20
	v_add_co_u32 v21, s0, v14, 2
	s_wait_alu 0xf1ff
	v_add_co_ci_u32_e64 v22, null, 0, v15, s0
	s_delay_alu instid0(VALU_DEP_3) | instskip(SKIP_3) | instid1(VALU_DEP_3)
	v_sub_nc_u32_e32 v20, v23, v13
	v_sub_co_u32 v24, s0, v12, s54
	s_wait_alu 0xfffd
	v_sub_co_ci_u32_e64 v13, null, v23, v13, vcc_lo
	v_subrev_co_ci_u32_e64 v20, null, s55, v20, vcc_lo
	s_delay_alu instid0(VALU_DEP_3) | instskip(SKIP_1) | instid1(VALU_DEP_2)
	v_cmp_le_u32_e32 vcc_lo, s54, v24
	s_wait_alu 0xf1ff
	v_subrev_co_ci_u32_e64 v20, null, 0, v20, s0
	s_wait_alu 0xfffd
	v_cndmask_b32_e64 v23, 0, -1, vcc_lo
	s_delay_alu instid0(VALU_DEP_2)
	v_cmp_le_u32_e32 vcc_lo, s55, v20
	s_wait_alu 0xfffd
	v_cndmask_b32_e64 v24, 0, -1, vcc_lo
	v_cmp_le_u32_e32 vcc_lo, s54, v12
	s_wait_alu 0xfffd
	v_cndmask_b32_e64 v12, 0, -1, vcc_lo
	;; [unrolled: 3-line block ×3, first 2 shown]
	v_cmp_eq_u32_e32 vcc_lo, s55, v20
	s_wait_alu 0xfffd
	v_cndmask_b32_e32 v20, v24, v23, vcc_lo
	v_add_co_u32 v23, vcc_lo, v14, 1
	s_wait_alu 0xfffd
	v_add_co_ci_u32_e64 v24, null, 0, v15, vcc_lo
	v_cmp_eq_u32_e32 vcc_lo, s55, v13
	s_wait_alu 0xfffd
	v_cndmask_b32_e32 v12, v25, v12, vcc_lo
	v_cmp_ne_u32_e32 vcc_lo, 0, v20
	s_wait_alu 0xfffd
	v_cndmask_b32_e32 v13, v24, v22, vcc_lo
	s_delay_alu instid0(VALU_DEP_3) | instskip(SKIP_2) | instid1(VALU_DEP_2)
	v_cmp_ne_u32_e64 s0, 0, v12
	v_cndmask_b32_e32 v12, v23, v21, vcc_lo
	s_wait_alu 0xf1ff
	v_cndmask_b32_e64 v13, v15, v13, s0
	s_delay_alu instid0(VALU_DEP_2) | instskip(NEXT) | instid1(VALU_DEP_2)
	v_cndmask_b32_e64 v12, v14, v12, s0
	v_xor_b32_e32 v13, v13, v3
	s_delay_alu instid0(VALU_DEP_2) | instskip(NEXT) | instid1(VALU_DEP_1)
	v_xor_b32_e32 v12, v12, v3
	v_sub_co_u32 v12, vcc_lo, v12, v3
	s_wait_alu 0xfffd
	s_delay_alu instid0(VALU_DEP_3)
	v_sub_co_ci_u32_e64 v13, null, v13, v3, vcc_lo
.LBB47_15:                              ;   in Loop: Header=BB47_3 Depth=1
	s_wait_alu 0xfffe
	s_and_not1_saveexec_b32 s0, s1
	s_cbranch_execz .LBB47_17
; %bb.16:                               ;   in Loop: Header=BB47_3 Depth=1
	v_cvt_f32_u32_e32 v3, s50
	s_sub_co_i32 s1, 0, s50
	s_delay_alu instid0(VALU_DEP_1) | instskip(NEXT) | instid1(TRANS32_DEP_1)
	v_rcp_iflag_f32_e32 v3, v3
	v_mul_f32_e32 v3, 0x4f7ffffe, v3
	s_delay_alu instid0(VALU_DEP_1) | instskip(SKIP_1) | instid1(VALU_DEP_1)
	v_cvt_u32_f32_e32 v3, v3
	s_wait_alu 0xfffe
	v_mul_lo_u32 v12, s1, v3
	s_delay_alu instid0(VALU_DEP_1) | instskip(NEXT) | instid1(VALU_DEP_1)
	v_mul_hi_u32 v12, v3, v12
	v_add_nc_u32_e32 v3, v3, v12
	s_delay_alu instid0(VALU_DEP_1) | instskip(NEXT) | instid1(VALU_DEP_1)
	v_mul_hi_u32 v3, v10, v3
	v_mul_lo_u32 v12, v3, s50
	v_add_nc_u32_e32 v13, 1, v3
	s_delay_alu instid0(VALU_DEP_2) | instskip(NEXT) | instid1(VALU_DEP_1)
	v_sub_nc_u32_e32 v12, v10, v12
	v_subrev_nc_u32_e32 v14, s50, v12
	v_cmp_le_u32_e32 vcc_lo, s50, v12
	s_wait_alu 0xfffd
	s_delay_alu instid0(VALU_DEP_2) | instskip(NEXT) | instid1(VALU_DEP_1)
	v_dual_cndmask_b32 v12, v12, v14 :: v_dual_cndmask_b32 v3, v3, v13
	v_cmp_le_u32_e32 vcc_lo, s50, v12
	s_delay_alu instid0(VALU_DEP_2) | instskip(SKIP_1) | instid1(VALU_DEP_1)
	v_add_nc_u32_e32 v13, 1, v3
	s_wait_alu 0xfffd
	v_dual_cndmask_b32 v12, v3, v13 :: v_dual_mov_b32 v13, v2
.LBB47_17:                              ;   in Loop: Header=BB47_3 Depth=1
	s_wait_alu 0xfffe
	s_or_b32 exec_lo, exec_lo, s0
	s_delay_alu instid0(VALU_DEP_1) | instskip(NEXT) | instid1(VALU_DEP_2)
	v_mul_lo_u32 v3, v13, s50
	v_mul_lo_u32 v20, v12, s51
	s_load_b64 s[0:1], s[42:43], 0xd0
	v_mad_co_u64_u32 v[14:15], null, v12, s50, 0
	s_load_b64 s[50:51], s[44:45], 0xd0
	v_add3_u32 v3, v15, v20, v3
	v_sub_co_u32 v10, vcc_lo, v10, v14
	s_wait_alu 0xfffd
	s_delay_alu instid0(VALU_DEP_2) | instskip(SKIP_1) | instid1(VALU_DEP_1)
	v_sub_co_ci_u32_e64 v3, null, v11, v3, vcc_lo
	s_wait_kmcnt 0x0
	v_mul_lo_u32 v11, s0, v3
	v_mul_lo_u32 v14, s1, v10
	v_mad_co_u64_u32 v[8:9], null, s0, v10, v[8:9]
	v_mul_lo_u32 v3, s50, v3
	v_mul_lo_u32 v15, s51, v10
	v_mad_co_u64_u32 v[6:7], null, s50, v10, v[6:7]
	s_mov_b64 s[0:1], s[30:31]
	v_add3_u32 v9, v14, v9, v11
	v_dual_mov_b32 v10, v12 :: v_dual_mov_b32 v11, v13
	v_add3_u32 v7, v15, v7, v3
	s_and_not1_b32 vcc_lo, exec_lo, s69
	s_wait_alu 0xfffe
	s_cbranch_vccz .LBB47_19
	s_branch .LBB47_29
.LBB47_18:                              ;   in Loop: Header=BB47_3 Depth=1
	s_mov_b64 s[0:1], s[28:29]
	s_and_not1_b32 vcc_lo, exec_lo, s69
	s_wait_alu 0xfffe
	s_cbranch_vccnz .LBB47_29
.LBB47_19:                              ;   in Loop: Header=BB47_3 Depth=1
	s_lshl_b64 s[52:53], s[0:1], 3
	s_add_nc_u64 s[54:55], s[0:1], 1
	s_wait_alu 0xfffe
	s_add_nc_u64 s[50:51], s[46:47], s[52:53]
	s_add_nc_u64 s[52:53], s[22:23], s[52:53]
	s_branch .LBB47_21
.LBB47_20:                              ;   in Loop: Header=BB47_21 Depth=2
	s_wait_alu 0xfffe
	s_or_b32 exec_lo, exec_lo, s0
	v_mul_lo_u32 v3, v13, s56
	v_mul_lo_u32 v24, v12, s57
	v_mad_co_u64_u32 v[20:21], null, v12, s56, 0
	s_load_b64 s[0:1], s[52:53], 0xc8
	s_load_b64 s[56:57], s[50:51], 0x0
	v_mul_lo_u32 v25, v15, s62
	v_mul_lo_u32 v26, v14, s63
	v_mad_co_u64_u32 v[22:23], null, v14, s62, 0
	v_add3_u32 v3, v21, v24, v3
	v_sub_co_u32 v10, vcc_lo, v10, v20
	s_add_nc_u64 s[54:55], s[54:55], -2
	s_add_nc_u64 s[50:51], s[50:51], -16
	s_wait_alu 0xfffd
	v_sub_co_ci_u32_e64 v3, null, v11, v3, vcc_lo
	v_mul_lo_u32 v11, s61, v10
	v_mad_co_u64_u32 v[8:9], null, s60, v10, v[8:9]
	s_delay_alu instid0(VALU_DEP_3)
	v_mul_lo_u32 v20, s60, v3
	v_mul_lo_u32 v21, s59, v10
	v_mad_co_u64_u32 v[6:7], null, s58, v10, v[6:7]
	v_mul_lo_u32 v3, s58, v3
	v_add3_u32 v10, v23, v26, v25
	s_wait_alu 0xfffe
	s_cmp_eq_u64 s[54:55], 0
	s_add_nc_u64 s[52:53], s[52:53], -16
	v_add3_u32 v9, v11, v9, v20
	v_sub_co_u32 v11, vcc_lo, v12, v22
	s_wait_alu 0xfffd
	v_sub_co_ci_u32_e64 v10, null, v13, v10, vcc_lo
	v_add3_u32 v7, v21, v7, v3
	s_wait_kmcnt 0x0
	v_mad_co_u64_u32 v[8:9], null, s0, v11, v[8:9]
	s_delay_alu instid0(VALU_DEP_3) | instskip(SKIP_4) | instid1(VALU_DEP_4)
	v_mul_lo_u32 v3, s0, v10
	v_mul_lo_u32 v12, s1, v11
	;; [unrolled: 1-line block ×4, first 2 shown]
	v_mad_co_u64_u32 v[6:7], null, s56, v11, v[6:7]
	v_add3_u32 v9, v12, v9, v3
	s_delay_alu instid0(VALU_DEP_2)
	v_add3_u32 v7, v13, v7, v10
	v_dual_mov_b32 v10, v14 :: v_dual_mov_b32 v11, v15
	s_cbranch_scc1 .LBB47_29
.LBB47_21:                              ;   Parent Loop BB47_3 Depth=1
                                        ; =>  This Inner Loop Header: Depth=2
	s_load_b64 s[56:57], s[52:53], 0x8
                                        ; implicit-def: $vgpr12_vgpr13
	s_mov_b32 s0, exec_lo
	s_wait_kmcnt 0x0
	v_or_b32_e32 v3, s57, v11
	s_delay_alu instid0(VALU_DEP_1)
	v_cmpx_ne_u64_e32 0, v[2:3]
	s_wait_alu 0xfffe
	s_xor_b32 s1, exec_lo, s0
	s_cbranch_execz .LBB47_23
; %bb.22:                               ;   in Loop: Header=BB47_21 Depth=2
	s_ashr_i32 s58, s57, 31
	v_ashrrev_i32_e32 v3, 31, v11
	s_wait_alu 0xfffe
	s_mov_b32 s59, s58
	s_wait_alu 0xfffe
	s_add_nc_u64 s[60:61], s[56:57], s[58:59]
	v_add_co_u32 v12, vcc_lo, v10, v3
	s_wait_alu 0xfffe
	s_xor_b64 s[60:61], s[60:61], s[58:59]
	s_wait_alu 0xfffd
	v_add_co_ci_u32_e64 v13, null, v11, v3, vcc_lo
	s_wait_alu 0xfffe
	s_cvt_f32_u32 s0, s60
	s_cvt_f32_u32 s26, s61
	s_sub_nc_u64 s[64:65], 0, s[60:61]
	v_xor_b32_e32 v22, v12, v3
	v_xor_b32_e32 v23, v13, v3
	s_wait_alu 0xfffe
	s_fmamk_f32 s0, s26, 0x4f800000, s0
	v_xor_b32_e32 v3, s58, v3
	s_wait_alu 0xfffe
	s_delay_alu instid0(SALU_CYCLE_1) | instskip(NEXT) | instid1(TRANS32_DEP_1)
	v_s_rcp_f32 s0, s0
	s_mul_f32 s0, s0, 0x5f7ffffc
	s_wait_alu 0xfffe
	s_delay_alu instid0(SALU_CYCLE_2) | instskip(SKIP_1) | instid1(SALU_CYCLE_2)
	s_mul_f32 s26, s0, 0x2f800000
	s_wait_alu 0xfffe
	s_trunc_f32 s26, s26
	s_wait_alu 0xfffe
	s_delay_alu instid0(SALU_CYCLE_2) | instskip(SKIP_2) | instid1(SALU_CYCLE_1)
	s_fmamk_f32 s0, s26, 0xcf800000, s0
	s_cvt_u32_f32 s63, s26
	s_wait_alu 0xfffe
	s_cvt_u32_f32 s62, s0
	s_wait_alu 0xfffe
	s_delay_alu instid0(SALU_CYCLE_2)
	s_mul_u64 s[66:67], s[64:65], s[62:63]
	s_wait_alu 0xfffe
	s_mul_hi_u32 s73, s62, s67
	s_mul_i32 s72, s62, s67
	s_mul_hi_u32 s26, s62, s66
	s_mul_i32 s49, s63, s66
	s_wait_alu 0xfffe
	s_add_nc_u64 s[72:73], s[26:27], s[72:73]
	s_mul_hi_u32 s0, s63, s66
	s_mul_hi_u32 s59, s63, s67
	s_add_co_u32 s26, s72, s49
	s_wait_alu 0xfffe
	s_add_co_ci_u32 s26, s73, s0
	s_mul_i32 s66, s63, s67
	s_add_co_ci_u32 s67, s59, 0
	s_wait_alu 0xfffe
	s_add_nc_u64 s[66:67], s[26:27], s[66:67]
	s_wait_alu 0xfffe
	s_add_co_u32 s62, s62, s66
	s_cselect_b32 s0, -1, 0
	s_wait_alu 0xfffe
	s_cmp_lg_u32 s0, 0
	s_add_co_ci_u32 s63, s63, s67
	s_wait_alu 0xfffe
	s_mul_u64 s[64:65], s[64:65], s[62:63]
	s_wait_alu 0xfffe
	s_mul_hi_u32 s67, s62, s65
	s_mul_i32 s66, s62, s65
	s_mul_hi_u32 s26, s62, s64
	s_mul_i32 s49, s63, s64
	s_wait_alu 0xfffe
	s_add_nc_u64 s[66:67], s[26:27], s[66:67]
	s_mul_hi_u32 s0, s63, s64
	s_mul_hi_u32 s59, s63, s65
	s_wait_alu 0xfffe
	s_add_co_u32 s26, s66, s49
	s_add_co_ci_u32 s26, s67, s0
	s_mul_i32 s64, s63, s65
	s_add_co_ci_u32 s65, s59, 0
	s_wait_alu 0xfffe
	s_add_nc_u64 s[64:65], s[26:27], s[64:65]
	s_wait_alu 0xfffe
	s_add_co_u32 s0, s62, s64
	s_cselect_b32 s26, -1, 0
	s_wait_alu 0xfffe
	v_mul_hi_u32 v24, v22, s0
	s_cmp_lg_u32 s26, 0
	v_mad_co_u64_u32 v[14:15], null, v23, s0, 0
	s_add_co_ci_u32 s26, s63, s65
	s_wait_alu 0xfffe
	v_mad_co_u64_u32 v[12:13], null, v22, s26, 0
	v_mad_co_u64_u32 v[20:21], null, v23, s26, 0
	s_delay_alu instid0(VALU_DEP_2) | instskip(SKIP_1) | instid1(VALU_DEP_3)
	v_add_co_u32 v12, vcc_lo, v24, v12
	s_wait_alu 0xfffd
	v_add_co_ci_u32_e64 v13, null, 0, v13, vcc_lo
	s_delay_alu instid0(VALU_DEP_2) | instskip(SKIP_1) | instid1(VALU_DEP_2)
	v_add_co_u32 v12, vcc_lo, v12, v14
	s_wait_alu 0xfffd
	v_add_co_ci_u32_e32 v12, vcc_lo, v13, v15, vcc_lo
	s_wait_alu 0xfffd
	v_add_co_ci_u32_e32 v13, vcc_lo, 0, v21, vcc_lo
	s_delay_alu instid0(VALU_DEP_2) | instskip(SKIP_1) | instid1(VALU_DEP_2)
	v_add_co_u32 v14, vcc_lo, v12, v20
	s_wait_alu 0xfffd
	v_add_co_ci_u32_e64 v15, null, 0, v13, vcc_lo
	s_delay_alu instid0(VALU_DEP_2) | instskip(SKIP_1) | instid1(VALU_DEP_3)
	v_mul_lo_u32 v20, s61, v14
	v_mad_co_u64_u32 v[12:13], null, s60, v14, 0
	v_mul_lo_u32 v21, s60, v15
	s_delay_alu instid0(VALU_DEP_2) | instskip(NEXT) | instid1(VALU_DEP_2)
	v_sub_co_u32 v12, vcc_lo, v22, v12
	v_add3_u32 v13, v13, v21, v20
	v_add_co_u32 v21, s0, v14, 2
	s_wait_alu 0xf1ff
	v_add_co_ci_u32_e64 v22, null, 0, v15, s0
	s_delay_alu instid0(VALU_DEP_3) | instskip(SKIP_3) | instid1(VALU_DEP_3)
	v_sub_nc_u32_e32 v20, v23, v13
	v_sub_co_u32 v24, s0, v12, s60
	s_wait_alu 0xfffd
	v_sub_co_ci_u32_e64 v13, null, v23, v13, vcc_lo
	v_subrev_co_ci_u32_e64 v20, null, s61, v20, vcc_lo
	s_delay_alu instid0(VALU_DEP_3) | instskip(SKIP_1) | instid1(VALU_DEP_2)
	v_cmp_le_u32_e32 vcc_lo, s60, v24
	s_wait_alu 0xf1ff
	v_subrev_co_ci_u32_e64 v20, null, 0, v20, s0
	s_wait_alu 0xfffd
	v_cndmask_b32_e64 v23, 0, -1, vcc_lo
	s_delay_alu instid0(VALU_DEP_2)
	v_cmp_le_u32_e32 vcc_lo, s61, v20
	s_wait_alu 0xfffd
	v_cndmask_b32_e64 v24, 0, -1, vcc_lo
	v_cmp_le_u32_e32 vcc_lo, s60, v12
	s_wait_alu 0xfffd
	v_cndmask_b32_e64 v12, 0, -1, vcc_lo
	;; [unrolled: 3-line block ×3, first 2 shown]
	v_cmp_eq_u32_e32 vcc_lo, s61, v20
	s_wait_alu 0xfffd
	v_cndmask_b32_e32 v20, v24, v23, vcc_lo
	v_add_co_u32 v23, vcc_lo, v14, 1
	s_wait_alu 0xfffd
	v_add_co_ci_u32_e64 v24, null, 0, v15, vcc_lo
	v_cmp_eq_u32_e32 vcc_lo, s61, v13
	s_wait_alu 0xfffd
	v_cndmask_b32_e32 v12, v25, v12, vcc_lo
	v_cmp_ne_u32_e32 vcc_lo, 0, v20
	s_wait_alu 0xfffd
	v_cndmask_b32_e32 v13, v24, v22, vcc_lo
	s_delay_alu instid0(VALU_DEP_3) | instskip(SKIP_2) | instid1(VALU_DEP_2)
	v_cmp_ne_u32_e64 s0, 0, v12
	v_cndmask_b32_e32 v12, v23, v21, vcc_lo
	s_wait_alu 0xf1ff
	v_cndmask_b32_e64 v13, v15, v13, s0
	s_delay_alu instid0(VALU_DEP_2) | instskip(NEXT) | instid1(VALU_DEP_2)
	v_cndmask_b32_e64 v12, v14, v12, s0
	v_xor_b32_e32 v13, v13, v3
	s_delay_alu instid0(VALU_DEP_2) | instskip(NEXT) | instid1(VALU_DEP_1)
	v_xor_b32_e32 v12, v12, v3
	v_sub_co_u32 v12, vcc_lo, v12, v3
	s_wait_alu 0xfffd
	s_delay_alu instid0(VALU_DEP_3)
	v_sub_co_ci_u32_e64 v13, null, v13, v3, vcc_lo
.LBB47_23:                              ;   in Loop: Header=BB47_21 Depth=2
	s_wait_alu 0xfffe
	s_and_not1_saveexec_b32 s0, s1
	s_cbranch_execz .LBB47_25
; %bb.24:                               ;   in Loop: Header=BB47_21 Depth=2
	v_cvt_f32_u32_e32 v3, s56
	s_sub_co_i32 s1, 0, s56
	s_delay_alu instid0(VALU_DEP_1) | instskip(NEXT) | instid1(TRANS32_DEP_1)
	v_rcp_iflag_f32_e32 v3, v3
	v_mul_f32_e32 v3, 0x4f7ffffe, v3
	s_delay_alu instid0(VALU_DEP_1) | instskip(SKIP_1) | instid1(VALU_DEP_1)
	v_cvt_u32_f32_e32 v3, v3
	s_wait_alu 0xfffe
	v_mul_lo_u32 v12, s1, v3
	s_delay_alu instid0(VALU_DEP_1) | instskip(NEXT) | instid1(VALU_DEP_1)
	v_mul_hi_u32 v12, v3, v12
	v_add_nc_u32_e32 v3, v3, v12
	s_delay_alu instid0(VALU_DEP_1) | instskip(NEXT) | instid1(VALU_DEP_1)
	v_mul_hi_u32 v3, v10, v3
	v_mul_lo_u32 v12, v3, s56
	v_add_nc_u32_e32 v13, 1, v3
	s_delay_alu instid0(VALU_DEP_2) | instskip(NEXT) | instid1(VALU_DEP_1)
	v_sub_nc_u32_e32 v12, v10, v12
	v_subrev_nc_u32_e32 v14, s56, v12
	v_cmp_le_u32_e32 vcc_lo, s56, v12
	s_wait_alu 0xfffd
	s_delay_alu instid0(VALU_DEP_2) | instskip(NEXT) | instid1(VALU_DEP_1)
	v_dual_cndmask_b32 v12, v12, v14 :: v_dual_cndmask_b32 v3, v3, v13
	v_cmp_le_u32_e32 vcc_lo, s56, v12
	s_delay_alu instid0(VALU_DEP_2) | instskip(SKIP_1) | instid1(VALU_DEP_1)
	v_add_nc_u32_e32 v13, 1, v3
	s_wait_alu 0xfffd
	v_dual_cndmask_b32 v12, v3, v13 :: v_dual_mov_b32 v13, v2
.LBB47_25:                              ;   in Loop: Header=BB47_21 Depth=2
	s_wait_alu 0xfffe
	s_or_b32 exec_lo, exec_lo, s0
	s_clause 0x1
	s_load_b64 s[62:63], s[52:53], 0x0
	s_load_b64 s[60:61], s[52:53], 0xd0
	s_load_b64 s[58:59], s[50:51], 0x8
                                        ; implicit-def: $vgpr14_vgpr15
	s_mov_b32 s0, exec_lo
	s_wait_kmcnt 0x0
	v_or_b32_e32 v3, s63, v13
	s_delay_alu instid0(VALU_DEP_1)
	v_cmpx_ne_u64_e32 0, v[2:3]
	s_wait_alu 0xfffe
	s_xor_b32 s1, exec_lo, s0
	s_cbranch_execz .LBB47_27
; %bb.26:                               ;   in Loop: Header=BB47_21 Depth=2
	s_ashr_i32 s64, s63, 31
	v_ashrrev_i32_e32 v3, 31, v13
	s_wait_alu 0xfffe
	s_mov_b32 s65, s64
	s_wait_alu 0xfffe
	s_add_nc_u64 s[66:67], s[62:63], s[64:65]
	v_add_co_u32 v14, vcc_lo, v12, v3
	s_wait_alu 0xfffe
	s_xor_b64 s[66:67], s[66:67], s[64:65]
	s_wait_alu 0xfffd
	v_add_co_ci_u32_e64 v15, null, v13, v3, vcc_lo
	s_wait_alu 0xfffe
	s_cvt_f32_u32 s0, s66
	s_cvt_f32_u32 s26, s67
	s_sub_nc_u64 s[74:75], 0, s[66:67]
	v_xor_b32_e32 v24, v14, v3
	v_xor_b32_e32 v25, v15, v3
	s_wait_alu 0xfffe
	s_fmamk_f32 s0, s26, 0x4f800000, s0
	v_xor_b32_e32 v3, s64, v3
	s_wait_alu 0xfffe
	s_delay_alu instid0(SALU_CYCLE_1) | instskip(NEXT) | instid1(TRANS32_DEP_1)
	v_s_rcp_f32 s0, s0
	s_mul_f32 s0, s0, 0x5f7ffffc
	s_wait_alu 0xfffe
	s_delay_alu instid0(SALU_CYCLE_2) | instskip(SKIP_1) | instid1(SALU_CYCLE_2)
	s_mul_f32 s26, s0, 0x2f800000
	s_wait_alu 0xfffe
	s_trunc_f32 s26, s26
	s_wait_alu 0xfffe
	s_delay_alu instid0(SALU_CYCLE_2) | instskip(SKIP_2) | instid1(SALU_CYCLE_1)
	s_fmamk_f32 s0, s26, 0xcf800000, s0
	s_cvt_u32_f32 s73, s26
	s_wait_alu 0xfffe
	s_cvt_u32_f32 s72, s0
	s_delay_alu instid0(SALU_CYCLE_3) | instskip(NEXT) | instid1(SALU_CYCLE_1)
	s_mul_u64 s[76:77], s[74:75], s[72:73]
	s_mul_hi_u32 s79, s72, s77
	s_mul_i32 s78, s72, s77
	s_mul_hi_u32 s26, s72, s76
	s_mul_i32 s49, s73, s76
	s_wait_alu 0xfffe
	s_add_nc_u64 s[78:79], s[26:27], s[78:79]
	s_mul_hi_u32 s0, s73, s76
	s_mul_hi_u32 s65, s73, s77
	s_add_co_u32 s26, s78, s49
	s_wait_alu 0xfffe
	s_add_co_ci_u32 s26, s79, s0
	s_mul_i32 s76, s73, s77
	s_add_co_ci_u32 s77, s65, 0
	s_wait_alu 0xfffe
	s_add_nc_u64 s[76:77], s[26:27], s[76:77]
	s_delay_alu instid0(SALU_CYCLE_1) | instskip(SKIP_4) | instid1(SALU_CYCLE_1)
	s_add_co_u32 s72, s72, s76
	s_cselect_b32 s0, -1, 0
	s_wait_alu 0xfffe
	s_cmp_lg_u32 s0, 0
	s_add_co_ci_u32 s73, s73, s77
	s_mul_u64 s[74:75], s[74:75], s[72:73]
	s_delay_alu instid0(SALU_CYCLE_1)
	s_mul_hi_u32 s77, s72, s75
	s_mul_i32 s76, s72, s75
	s_mul_hi_u32 s26, s72, s74
	s_mul_i32 s49, s73, s74
	s_wait_alu 0xfffe
	s_add_nc_u64 s[76:77], s[26:27], s[76:77]
	s_mul_hi_u32 s0, s73, s74
	s_mul_hi_u32 s65, s73, s75
	s_add_co_u32 s26, s76, s49
	s_wait_alu 0xfffe
	s_add_co_ci_u32 s26, s77, s0
	s_mul_i32 s74, s73, s75
	s_add_co_ci_u32 s75, s65, 0
	s_wait_alu 0xfffe
	s_add_nc_u64 s[74:75], s[26:27], s[74:75]
	s_delay_alu instid0(SALU_CYCLE_1)
	s_add_co_u32 s0, s72, s74
	s_cselect_b32 s26, -1, 0
	s_wait_alu 0xfffe
	v_mul_hi_u32 v26, v24, s0
	s_cmp_lg_u32 s26, 0
	v_mad_co_u64_u32 v[20:21], null, v25, s0, 0
	s_add_co_ci_u32 s26, s73, s75
	s_wait_alu 0xfffe
	v_mad_co_u64_u32 v[14:15], null, v24, s26, 0
	v_mad_co_u64_u32 v[22:23], null, v25, s26, 0
	s_delay_alu instid0(VALU_DEP_2) | instskip(SKIP_1) | instid1(VALU_DEP_3)
	v_add_co_u32 v14, vcc_lo, v26, v14
	s_wait_alu 0xfffd
	v_add_co_ci_u32_e64 v15, null, 0, v15, vcc_lo
	s_delay_alu instid0(VALU_DEP_2) | instskip(SKIP_1) | instid1(VALU_DEP_2)
	v_add_co_u32 v14, vcc_lo, v14, v20
	s_wait_alu 0xfffd
	v_add_co_ci_u32_e32 v14, vcc_lo, v15, v21, vcc_lo
	s_wait_alu 0xfffd
	v_add_co_ci_u32_e32 v15, vcc_lo, 0, v23, vcc_lo
	s_delay_alu instid0(VALU_DEP_2) | instskip(SKIP_1) | instid1(VALU_DEP_2)
	v_add_co_u32 v20, vcc_lo, v14, v22
	s_wait_alu 0xfffd
	v_add_co_ci_u32_e64 v21, null, 0, v15, vcc_lo
	s_delay_alu instid0(VALU_DEP_2) | instskip(SKIP_1) | instid1(VALU_DEP_3)
	v_mul_lo_u32 v22, s67, v20
	v_mad_co_u64_u32 v[14:15], null, s66, v20, 0
	v_mul_lo_u32 v23, s66, v21
	s_delay_alu instid0(VALU_DEP_2) | instskip(NEXT) | instid1(VALU_DEP_2)
	v_sub_co_u32 v14, vcc_lo, v24, v14
	v_add3_u32 v15, v15, v23, v22
	v_add_co_u32 v23, s0, v20, 2
	s_wait_alu 0xf1ff
	v_add_co_ci_u32_e64 v24, null, 0, v21, s0
	s_delay_alu instid0(VALU_DEP_3) | instskip(SKIP_3) | instid1(VALU_DEP_3)
	v_sub_nc_u32_e32 v22, v25, v15
	v_sub_co_u32 v26, s0, v14, s66
	s_wait_alu 0xfffd
	v_sub_co_ci_u32_e64 v15, null, v25, v15, vcc_lo
	v_subrev_co_ci_u32_e64 v22, null, s67, v22, vcc_lo
	s_delay_alu instid0(VALU_DEP_3) | instskip(SKIP_1) | instid1(VALU_DEP_2)
	v_cmp_le_u32_e32 vcc_lo, s66, v26
	s_wait_alu 0xf1ff
	v_subrev_co_ci_u32_e64 v22, null, 0, v22, s0
	s_wait_alu 0xfffd
	v_cndmask_b32_e64 v25, 0, -1, vcc_lo
	s_delay_alu instid0(VALU_DEP_2)
	v_cmp_le_u32_e32 vcc_lo, s67, v22
	s_wait_alu 0xfffd
	v_cndmask_b32_e64 v26, 0, -1, vcc_lo
	v_cmp_le_u32_e32 vcc_lo, s66, v14
	s_wait_alu 0xfffd
	v_cndmask_b32_e64 v14, 0, -1, vcc_lo
	;; [unrolled: 3-line block ×3, first 2 shown]
	v_cmp_eq_u32_e32 vcc_lo, s67, v22
	s_wait_alu 0xfffd
	v_cndmask_b32_e32 v22, v26, v25, vcc_lo
	v_add_co_u32 v25, vcc_lo, v20, 1
	s_wait_alu 0xfffd
	v_add_co_ci_u32_e64 v26, null, 0, v21, vcc_lo
	v_cmp_eq_u32_e32 vcc_lo, s67, v15
	s_wait_alu 0xfffd
	v_cndmask_b32_e32 v14, v27, v14, vcc_lo
	v_cmp_ne_u32_e32 vcc_lo, 0, v22
	s_wait_alu 0xfffd
	v_cndmask_b32_e32 v15, v26, v24, vcc_lo
	s_delay_alu instid0(VALU_DEP_3) | instskip(SKIP_2) | instid1(VALU_DEP_2)
	v_cmp_ne_u32_e64 s0, 0, v14
	v_cndmask_b32_e32 v14, v25, v23, vcc_lo
	s_wait_alu 0xf1ff
	v_cndmask_b32_e64 v15, v21, v15, s0
	s_delay_alu instid0(VALU_DEP_2) | instskip(NEXT) | instid1(VALU_DEP_2)
	v_cndmask_b32_e64 v14, v20, v14, s0
	v_xor_b32_e32 v15, v15, v3
	s_delay_alu instid0(VALU_DEP_2) | instskip(NEXT) | instid1(VALU_DEP_1)
	v_xor_b32_e32 v14, v14, v3
	v_sub_co_u32 v14, vcc_lo, v14, v3
	s_wait_alu 0xfffd
	s_delay_alu instid0(VALU_DEP_3)
	v_sub_co_ci_u32_e64 v15, null, v15, v3, vcc_lo
.LBB47_27:                              ;   in Loop: Header=BB47_21 Depth=2
	s_wait_alu 0xfffe
	s_and_not1_saveexec_b32 s0, s1
	s_cbranch_execz .LBB47_20
; %bb.28:                               ;   in Loop: Header=BB47_21 Depth=2
	v_cvt_f32_u32_e32 v3, s62
	s_sub_co_i32 s1, 0, s62
	s_delay_alu instid0(VALU_DEP_1) | instskip(NEXT) | instid1(TRANS32_DEP_1)
	v_rcp_iflag_f32_e32 v3, v3
	v_mul_f32_e32 v3, 0x4f7ffffe, v3
	s_delay_alu instid0(VALU_DEP_1) | instskip(SKIP_1) | instid1(VALU_DEP_1)
	v_cvt_u32_f32_e32 v3, v3
	s_wait_alu 0xfffe
	v_mul_lo_u32 v14, s1, v3
	s_delay_alu instid0(VALU_DEP_1) | instskip(NEXT) | instid1(VALU_DEP_1)
	v_mul_hi_u32 v14, v3, v14
	v_add_nc_u32_e32 v3, v3, v14
	s_delay_alu instid0(VALU_DEP_1) | instskip(NEXT) | instid1(VALU_DEP_1)
	v_mul_hi_u32 v3, v12, v3
	v_mul_lo_u32 v14, v3, s62
	v_add_nc_u32_e32 v15, 1, v3
	s_delay_alu instid0(VALU_DEP_2) | instskip(NEXT) | instid1(VALU_DEP_1)
	v_sub_nc_u32_e32 v14, v12, v14
	v_subrev_nc_u32_e32 v20, s62, v14
	v_cmp_le_u32_e32 vcc_lo, s62, v14
	s_wait_alu 0xfffd
	s_delay_alu instid0(VALU_DEP_2) | instskip(NEXT) | instid1(VALU_DEP_1)
	v_dual_cndmask_b32 v14, v14, v20 :: v_dual_cndmask_b32 v3, v3, v15
	v_cmp_le_u32_e32 vcc_lo, s62, v14
	s_delay_alu instid0(VALU_DEP_2) | instskip(SKIP_1) | instid1(VALU_DEP_1)
	v_add_nc_u32_e32 v15, 1, v3
	s_wait_alu 0xfffd
	v_dual_cndmask_b32 v14, v3, v15 :: v_dual_mov_b32 v15, v2
	s_branch .LBB47_20
.LBB47_29:                              ;   in Loop: Header=BB47_3 Depth=1
	v_sub_co_u32 v10, vcc_lo, v4, v18
	s_wait_alu 0xfffd
	v_sub_co_ci_u32_e64 v11, null, v5, v19, vcc_lo
	v_dual_mov_b32 v3, 0 :: v_dual_mov_b32 v12, 0
	v_mov_b32_e32 v15, 0
	v_mov_b32_e32 v13, 0
	s_mov_b32 s0, exec_lo
	v_cmpx_ge_i64_e64 s[4:5], v[10:11]
	s_cbranch_execz .LBB47_39
; %bb.30:                               ;   in Loop: Header=BB47_3 Depth=1
	v_dual_mov_b32 v14, 0 :: v_dual_mov_b32 v13, 0
	v_dual_mov_b32 v12, 0 :: v_dual_mov_b32 v3, 0
	s_mov_b32 s1, exec_lo
	v_cmpx_gt_i64_e64 s[10:11], v[4:5]
	s_cbranch_execz .LBB47_38
; %bb.31:                               ;   in Loop: Header=BB47_3 Depth=1
	v_lshlrev_b64_e32 v[8:9], 1, v[8:9]
	v_mov_b32_e32 v14, 0
	s_delay_alu instid0(VALU_DEP_2) | instskip(SKIP_1) | instid1(VALU_DEP_3)
	v_add_co_u32 v8, vcc_lo, s20, v8
	s_wait_alu 0xfffd
	v_add_co_ci_u32_e64 v9, null, s21, v9, vcc_lo
	v_add_co_u32 v12, vcc_lo, v4, 1
	s_wait_alu 0xfffd
	v_add_co_ci_u32_e64 v13, null, 0, v5, vcc_lo
	global_load_u16 v3, v[8:9], off
	v_cmp_gt_i64_e32 vcc_lo, s[10:11], v[12:13]
	v_dual_mov_b32 v12, 0 :: v_dual_mov_b32 v13, 0
	s_and_saveexec_b32 s26, vcc_lo
	s_cbranch_execz .LBB47_37
; %bb.32:                               ;   in Loop: Header=BB47_3 Depth=1
	s_lshl_b64 s[50:51], s[18:19], 1
	s_wait_alu 0xfffe
	v_add_co_u32 v12, vcc_lo, v8, s50
	s_wait_alu 0xfffd
	v_add_co_ci_u32_e64 v13, null, s51, v9, vcc_lo
	global_load_u16 v12, v[12:13], off
	v_add_co_u32 v13, vcc_lo, v4, 2
	s_wait_alu 0xfffd
	v_add_co_ci_u32_e64 v14, null, 0, v5, vcc_lo
	s_delay_alu instid0(VALU_DEP_1)
	v_cmp_gt_i64_e32 vcc_lo, s[10:11], v[13:14]
	v_dual_mov_b32 v13, 0 :: v_dual_mov_b32 v14, 0
	s_and_saveexec_b32 s49, vcc_lo
	s_cbranch_execz .LBB47_36
; %bb.33:                               ;   in Loop: Header=BB47_3 Depth=1
	v_add_co_u32 v13, vcc_lo, v8, s38
	s_wait_alu 0xfffd
	v_add_co_ci_u32_e64 v14, null, s39, v9, vcc_lo
	global_load_u16 v13, v[13:14], off
	v_add_co_u32 v14, vcc_lo, v4, 3
	s_wait_alu 0xfffd
	v_add_co_ci_u32_e64 v15, null, 0, v5, vcc_lo
	s_delay_alu instid0(VALU_DEP_1)
	v_cmp_gt_i64_e32 vcc_lo, s[10:11], v[14:15]
	v_mov_b32_e32 v14, 0
	s_and_saveexec_b32 s50, vcc_lo
	s_cbranch_execz .LBB47_35
; %bb.34:                               ;   in Loop: Header=BB47_3 Depth=1
	v_add_co_u32 v8, vcc_lo, v8, s40
	s_wait_alu 0xfffd
	v_add_co_ci_u32_e64 v9, null, s41, v9, vcc_lo
	global_load_u16 v14, v[8:9], off
.LBB47_35:                              ;   in Loop: Header=BB47_3 Depth=1
	s_wait_alu 0xfffe
	s_or_b32 exec_lo, exec_lo, s50
.LBB47_36:                              ;   in Loop: Header=BB47_3 Depth=1
	s_wait_alu 0xfffe
	s_or_b32 exec_lo, exec_lo, s49
.LBB47_37:                              ;   in Loop: Header=BB47_3 Depth=1
	s_wait_alu 0xfffe
	s_or_b32 exec_lo, exec_lo, s26
.LBB47_38:                              ;   in Loop: Header=BB47_3 Depth=1
	s_wait_alu 0xfffe
	s_or_b32 exec_lo, exec_lo, s1
	v_add_co_u32 v8, vcc_lo, v10, 1
	s_wait_alu 0xfffd
	v_add_co_ci_u32_e64 v9, null, 0, v11, vcc_lo
	v_add_co_u32 v18, vcc_lo, v10, 2
	s_wait_alu 0xfffd
	v_add_co_ci_u32_e64 v19, null, 0, v11, vcc_lo
	v_add_co_u32 v10, vcc_lo, v10, 3
	s_wait_alu 0xfffd
	v_add_co_ci_u32_e64 v11, null, 0, v11, vcc_lo
	v_cmp_ge_i64_e32 vcc_lo, s[4:5], v[8:9]
	s_wait_loadcnt 0x0
	s_wait_alu 0xfffd
	v_cndmask_b32_e32 v15, 0, v12, vcc_lo
	v_cmp_ge_i64_e32 vcc_lo, s[4:5], v[18:19]
	s_wait_alu 0xfffd
	v_cndmask_b32_e32 v13, 0, v13, vcc_lo
	v_cmp_ge_i64_e32 vcc_lo, s[4:5], v[10:11]
	s_wait_alu 0xfffd
	v_cndmask_b32_e32 v12, 0, v14, vcc_lo
.LBB47_39:                              ;   in Loop: Header=BB47_3 Depth=1
	s_wait_alu 0xfffe
	s_or_b32 exec_lo, exec_lo, s0
	s_delay_alu instid0(SALU_CYCLE_1)
	s_mov_b32 s0, exec_lo
	v_cmpx_gt_i64_e64 s[10:11], v[4:5]
	s_cbranch_execz .LBB47_2
; %bb.40:                               ;   in Loop: Header=BB47_3 Depth=1
	v_lshlrev_b64_e32 v[6:7], 1, v[6:7]
	v_add_co_u32 v8, vcc_lo, v4, 1
	s_wait_alu 0xfffd
	v_add_co_ci_u32_e64 v9, null, 0, v5, vcc_lo
	s_mov_b32 s1, exec_lo
	v_add_co_u32 v6, vcc_lo, s24, v6
	s_wait_alu 0xfffd
	v_add_co_ci_u32_e64 v7, null, s25, v7, vcc_lo
	global_store_b16 v[6:7], v3, off
	v_cmpx_gt_i64_e64 s[10:11], v[8:9]
	s_wait_alu 0xfffe
	s_xor_b32 s1, exec_lo, s1
	s_cbranch_execz .LBB47_2
; %bb.41:                               ;   in Loop: Header=BB47_3 Depth=1
	s_lshl_b64 s[50:51], s[14:15], 1
	v_add_co_u32 v8, vcc_lo, v4, 2
	s_wait_alu 0xfffd
	v_add_co_ci_u32_e64 v9, null, 0, v5, vcc_lo
	s_wait_alu 0xfffe
	v_add_co_u32 v10, vcc_lo, v6, s50
	s_wait_alu 0xfffd
	v_add_co_ci_u32_e64 v11, null, s51, v7, vcc_lo
	s_mov_b32 s1, exec_lo
	global_store_b16 v[10:11], v15, off
	v_cmpx_gt_i64_e64 s[10:11], v[8:9]
	s_wait_alu 0xfffe
	s_xor_b32 s1, exec_lo, s1
	s_cbranch_execz .LBB47_2
; %bb.42:                               ;   in Loop: Header=BB47_3 Depth=1
	v_add_co_u32 v3, vcc_lo, v4, 3
	s_wait_alu 0xfffd
	v_add_co_ci_u32_e64 v4, null, 0, v5, vcc_lo
	v_add_co_u32 v8, vcc_lo, v6, s34
	s_wait_alu 0xfffd
	v_add_co_ci_u32_e64 v9, null, s35, v7, vcc_lo
	s_mov_b32 s1, exec_lo
	global_store_b16 v[8:9], v13, off
	v_cmpx_gt_i64_e64 s[10:11], v[3:4]
	s_wait_alu 0xfffe
	s_xor_b32 s1, exec_lo, s1
	s_cbranch_execz .LBB47_2
; %bb.43:                               ;   in Loop: Header=BB47_3 Depth=1
	v_add_co_u32 v3, vcc_lo, v6, s36
	s_wait_alu 0xfffd
	v_add_co_ci_u32_e64 v4, null, s37, v7, vcc_lo
	global_store_b16 v[3:4], v12, off
	s_branch .LBB47_2
.LBB47_44:
	s_endpgm
	.section	.rodata,"a",@progbits
	.p2align	6, 0x0
	.amdhsa_kernel _ZN2at6native16triu_tril_kernelIN3c108BFloat16ElLb0ELi4ELb0EEEvNS_4cuda6detail10TensorInfoIT_T0_EENS6_IKS7_S8_EEllS8_
		.amdhsa_group_segment_fixed_size 0
		.amdhsa_private_segment_fixed_size 0
		.amdhsa_kernarg_size 1112
		.amdhsa_user_sgpr_count 2
		.amdhsa_user_sgpr_dispatch_ptr 0
		.amdhsa_user_sgpr_queue_ptr 0
		.amdhsa_user_sgpr_kernarg_segment_ptr 1
		.amdhsa_user_sgpr_dispatch_id 0
		.amdhsa_user_sgpr_private_segment_size 0
		.amdhsa_wavefront_size32 1
		.amdhsa_uses_dynamic_stack 0
		.amdhsa_enable_private_segment 0
		.amdhsa_system_sgpr_workgroup_id_x 1
		.amdhsa_system_sgpr_workgroup_id_y 0
		.amdhsa_system_sgpr_workgroup_id_z 0
		.amdhsa_system_sgpr_workgroup_info 0
		.amdhsa_system_vgpr_workitem_id 0
		.amdhsa_next_free_vgpr 28
		.amdhsa_next_free_sgpr 80
		.amdhsa_reserve_vcc 1
		.amdhsa_float_round_mode_32 0
		.amdhsa_float_round_mode_16_64 0
		.amdhsa_float_denorm_mode_32 3
		.amdhsa_float_denorm_mode_16_64 3
		.amdhsa_fp16_overflow 0
		.amdhsa_workgroup_processor_mode 1
		.amdhsa_memory_ordered 1
		.amdhsa_forward_progress 1
		.amdhsa_inst_pref_size 54
		.amdhsa_round_robin_scheduling 0
		.amdhsa_exception_fp_ieee_invalid_op 0
		.amdhsa_exception_fp_denorm_src 0
		.amdhsa_exception_fp_ieee_div_zero 0
		.amdhsa_exception_fp_ieee_overflow 0
		.amdhsa_exception_fp_ieee_underflow 0
		.amdhsa_exception_fp_ieee_inexact 0
		.amdhsa_exception_int_div_zero 0
	.end_amdhsa_kernel
	.section	.text._ZN2at6native16triu_tril_kernelIN3c108BFloat16ElLb0ELi4ELb0EEEvNS_4cuda6detail10TensorInfoIT_T0_EENS6_IKS7_S8_EEllS8_,"axG",@progbits,_ZN2at6native16triu_tril_kernelIN3c108BFloat16ElLb0ELi4ELb0EEEvNS_4cuda6detail10TensorInfoIT_T0_EENS6_IKS7_S8_EEllS8_,comdat
.Lfunc_end47:
	.size	_ZN2at6native16triu_tril_kernelIN3c108BFloat16ElLb0ELi4ELb0EEEvNS_4cuda6detail10TensorInfoIT_T0_EENS6_IKS7_S8_EEllS8_, .Lfunc_end47-_ZN2at6native16triu_tril_kernelIN3c108BFloat16ElLb0ELi4ELb0EEEvNS_4cuda6detail10TensorInfoIT_T0_EENS6_IKS7_S8_EEllS8_
                                        ; -- End function
	.set _ZN2at6native16triu_tril_kernelIN3c108BFloat16ElLb0ELi4ELb0EEEvNS_4cuda6detail10TensorInfoIT_T0_EENS6_IKS7_S8_EEllS8_.num_vgpr, 28
	.set _ZN2at6native16triu_tril_kernelIN3c108BFloat16ElLb0ELi4ELb0EEEvNS_4cuda6detail10TensorInfoIT_T0_EENS6_IKS7_S8_EEllS8_.num_agpr, 0
	.set _ZN2at6native16triu_tril_kernelIN3c108BFloat16ElLb0ELi4ELb0EEEvNS_4cuda6detail10TensorInfoIT_T0_EENS6_IKS7_S8_EEllS8_.numbered_sgpr, 80
	.set _ZN2at6native16triu_tril_kernelIN3c108BFloat16ElLb0ELi4ELb0EEEvNS_4cuda6detail10TensorInfoIT_T0_EENS6_IKS7_S8_EEllS8_.num_named_barrier, 0
	.set _ZN2at6native16triu_tril_kernelIN3c108BFloat16ElLb0ELi4ELb0EEEvNS_4cuda6detail10TensorInfoIT_T0_EENS6_IKS7_S8_EEllS8_.private_seg_size, 0
	.set _ZN2at6native16triu_tril_kernelIN3c108BFloat16ElLb0ELi4ELb0EEEvNS_4cuda6detail10TensorInfoIT_T0_EENS6_IKS7_S8_EEllS8_.uses_vcc, 1
	.set _ZN2at6native16triu_tril_kernelIN3c108BFloat16ElLb0ELi4ELb0EEEvNS_4cuda6detail10TensorInfoIT_T0_EENS6_IKS7_S8_EEllS8_.uses_flat_scratch, 0
	.set _ZN2at6native16triu_tril_kernelIN3c108BFloat16ElLb0ELi4ELb0EEEvNS_4cuda6detail10TensorInfoIT_T0_EENS6_IKS7_S8_EEllS8_.has_dyn_sized_stack, 0
	.set _ZN2at6native16triu_tril_kernelIN3c108BFloat16ElLb0ELi4ELb0EEEvNS_4cuda6detail10TensorInfoIT_T0_EENS6_IKS7_S8_EEllS8_.has_recursion, 0
	.set _ZN2at6native16triu_tril_kernelIN3c108BFloat16ElLb0ELi4ELb0EEEvNS_4cuda6detail10TensorInfoIT_T0_EENS6_IKS7_S8_EEllS8_.has_indirect_call, 0
	.section	.AMDGPU.csdata,"",@progbits
; Kernel info:
; codeLenInByte = 6872
; TotalNumSgprs: 82
; NumVgprs: 28
; ScratchSize: 0
; MemoryBound: 0
; FloatMode: 240
; IeeeMode: 1
; LDSByteSize: 0 bytes/workgroup (compile time only)
; SGPRBlocks: 0
; VGPRBlocks: 3
; NumSGPRsForWavesPerEU: 82
; NumVGPRsForWavesPerEU: 28
; Occupancy: 16
; WaveLimiterHint : 0
; COMPUTE_PGM_RSRC2:SCRATCH_EN: 0
; COMPUTE_PGM_RSRC2:USER_SGPR: 2
; COMPUTE_PGM_RSRC2:TRAP_HANDLER: 0
; COMPUTE_PGM_RSRC2:TGID_X_EN: 1
; COMPUTE_PGM_RSRC2:TGID_Y_EN: 0
; COMPUTE_PGM_RSRC2:TGID_Z_EN: 0
; COMPUTE_PGM_RSRC2:TIDIG_COMP_CNT: 0
	.section	.text._ZN2at6native16triu_tril_kernelIbiLb0ELi4ELb1EEEvNS_4cuda6detail10TensorInfoIT_T0_EENS4_IKS5_S6_EEllS6_,"axG",@progbits,_ZN2at6native16triu_tril_kernelIbiLb0ELi4ELb1EEEvNS_4cuda6detail10TensorInfoIT_T0_EENS4_IKS5_S6_EEllS6_,comdat
	.protected	_ZN2at6native16triu_tril_kernelIbiLb0ELi4ELb1EEEvNS_4cuda6detail10TensorInfoIT_T0_EENS4_IKS5_S6_EEllS6_ ; -- Begin function _ZN2at6native16triu_tril_kernelIbiLb0ELi4ELb1EEEvNS_4cuda6detail10TensorInfoIT_T0_EENS4_IKS5_S6_EEllS6_
	.globl	_ZN2at6native16triu_tril_kernelIbiLb0ELi4ELb1EEEvNS_4cuda6detail10TensorInfoIT_T0_EENS4_IKS5_S6_EEllS6_
	.p2align	8
	.type	_ZN2at6native16triu_tril_kernelIbiLb0ELi4ELb1EEEvNS_4cuda6detail10TensorInfoIT_T0_EENS4_IKS5_S6_EEllS6_,@function
_ZN2at6native16triu_tril_kernelIbiLb0ELi4ELb1EEEvNS_4cuda6detail10TensorInfoIT_T0_EENS4_IKS5_S6_EEllS6_: ; @_ZN2at6native16triu_tril_kernelIbiLb0ELi4ELb1EEEvNS_4cuda6detail10TensorInfoIT_T0_EENS4_IKS5_S6_EEllS6_
; %bb.0:
	s_clause 0x1
	s_load_b32 s2, s[0:1], 0x1d4
	s_load_b128 s[4:7], s[0:1], 0x1b0
	v_mov_b32_e32 v2, 0
	s_mov_b32 s3, exec_lo
	s_delay_alu instid0(VALU_DEP_1)
	v_mov_b32_e32 v1, v2
	s_wait_kmcnt 0x0
	s_and_b32 s2, s2, 0xffff
	s_delay_alu instid0(VALU_DEP_1) | instid1(SALU_CYCLE_1)
	v_mad_co_u64_u32 v[0:1], null, s2, ttmp9, v[0:1]
	s_delay_alu instid0(VALU_DEP_1) | instskip(NEXT) | instid1(VALU_DEP_1)
	v_lshlrev_b64_e32 v[0:1], 2, v[0:1]
	v_cmpx_gt_i64_e64 s[6:7], v[0:1]
	s_cbranch_execz .LBB48_68
; %bb.1:
	s_clause 0x1
	s_load_b32 s20, s[0:1], 0x1a8
	s_load_b32 s8, s[0:1], 0x1c0
	s_add_nc_u64 s[12:13], s[0:1], 0x1c8
	s_add_nc_u64 s[10:11], s[0:1], 0xd8
	s_load_b32 s3, s[12:13], 0x0
	s_mov_b32 s19, 0
	s_mov_b32 s57, 0
	s_wait_kmcnt 0x0
	s_ashr_i32 s21, s20, 31
	v_cvt_f32_u32_e32 v3, s8
	s_lshl_b64 s[22:23], s[20:21], 2
	s_add_co_i32 s9, s20, 6
	s_add_nc_u64 s[12:13], s[10:11], s[22:23]
	s_mul_i32 s3, s3, s2
	s_clause 0x1
	s_load_b32 s14, s[12:13], 0x0
	s_load_b64 s[16:17], s[0:1], 0x0
	v_rcp_iflag_f32_e32 v3, v3
	s_and_b32 s18, s20, 7
	s_add_co_i32 s33, s20, -3
	s_and_b32 s52, s9, 7
	s_lshl_b32 s53, s3, 2
	s_ashr_i32 s9, s8, 31
	v_cmp_gt_i64_e64 s56, s[20:21], 2
	s_add_nc_u64 s[20:21], s[0:1], s[22:23]
	s_wait_kmcnt 0x0
	v_cvt_f32_u32_e32 v4, s14
	s_ashr_i32 s15, s14, 31
	s_cmp_lg_u32 s18, 2
	s_cselect_b32 s54, -1, 0
	s_delay_alu instid0(VALU_DEP_1)
	v_rcp_iflag_f32_e32 v4, v4
	v_mul_f32_e32 v3, 0x4f7ffffe, v3
	s_cmp_gt_u32 s33, 6
	s_cselect_b32 s55, -1, 0
	s_sub_co_i32 s2, 0, s8
	s_wait_alu 0xfffe
	s_ashr_i32 s22, s9, 31
	s_ashr_i32 s24, s15, 31
	s_delay_alu instid0(TRANS32_DEP_1) | instskip(SKIP_1) | instid1(VALU_DEP_2)
	v_mul_f32_e32 v4, 0x4f7ffffe, v4
	v_cvt_u32_f32_e32 v3, v3
	v_cvt_u32_f32_e32 v25, v4
	s_delay_alu instid0(VALU_DEP_2) | instskip(NEXT) | instid1(VALU_DEP_1)
	v_mul_lo_u32 v5, s2, v3
	v_mul_hi_u32 v5, v3, v5
	s_delay_alu instid0(VALU_DEP_1)
	v_add_nc_u32_e32 v26, v3, v5
	s_branch .LBB48_3
.LBB48_2:                               ;   in Loop: Header=BB48_3 Depth=1
	s_wait_alu 0xfffe
	s_or_b32 exec_lo, exec_lo, s23
	v_add_co_u32 v0, vcc_lo, v0, s53
	s_wait_alu 0xfffd
	v_add_co_ci_u32_e64 v1, null, 0, v1, vcc_lo
	s_delay_alu instid0(VALU_DEP_1) | instskip(SKIP_1) | instid1(SALU_CYCLE_1)
	v_cmp_le_i64_e32 vcc_lo, s[6:7], v[0:1]
	s_or_b32 s57, vcc_lo, s57
	s_and_not1_b32 exec_lo, exec_lo, s57
	s_cbranch_execz .LBB48_68
.LBB48_3:                               ; =>This Loop Header: Depth=1
                                        ;     Child Loop BB48_16 Depth 2
                                        ;     Child Loop BB48_22 Depth 2
	v_or_b32_e32 v3, s9, v1
                                        ; implicit-def: $vgpr4_vgpr5
	s_mov_b32 s2, exec_lo
	s_delay_alu instid0(VALU_DEP_1)
	v_cmpx_ne_u64_e32 0, v[2:3]
	s_wait_alu 0xfffe
	s_xor_b32 s3, exec_lo, s2
	s_cbranch_execz .LBB48_5
; %bb.4:                                ;   in Loop: Header=BB48_3 Depth=1
	s_mov_b32 s23, s22
	v_ashrrev_i32_e32 v9, 31, v1
	s_wait_alu 0xfffe
	s_add_nc_u64 s[26:27], s[8:9], s[22:23]
	s_wait_alu 0xfffe
	s_xor_b64 s[26:27], s[26:27], s[22:23]
	v_add_co_u32 v3, vcc_lo, v0, v9
	s_wait_alu 0xfffe
	s_cvt_f32_u32 s2, s26
	s_cvt_f32_u32 s18, s27
	s_sub_nc_u64 s[30:31], 0, s[26:27]
	s_wait_alu 0xfffd
	v_add_co_ci_u32_e64 v4, null, v1, v9, vcc_lo
	s_wait_alu 0xfffe
	s_fmamk_f32 s2, s18, 0x4f800000, s2
	v_xor_b32_e32 v10, v3, v9
	s_delay_alu instid0(VALU_DEP_2) | instskip(SKIP_2) | instid1(TRANS32_DEP_1)
	v_xor_b32_e32 v11, v4, v9
	s_wait_alu 0xfffe
	v_s_rcp_f32 s2, s2
	s_mul_f32 s2, s2, 0x5f7ffffc
	s_wait_alu 0xfffe
	s_delay_alu instid0(SALU_CYCLE_2) | instskip(SKIP_1) | instid1(SALU_CYCLE_2)
	s_mul_f32 s18, s2, 0x2f800000
	s_wait_alu 0xfffe
	s_trunc_f32 s18, s18
	s_wait_alu 0xfffe
	s_delay_alu instid0(SALU_CYCLE_2) | instskip(SKIP_2) | instid1(SALU_CYCLE_1)
	s_fmamk_f32 s2, s18, 0xcf800000, s2
	s_cvt_u32_f32 s29, s18
	s_wait_alu 0xfffe
	s_cvt_u32_f32 s28, s2
	s_wait_alu 0xfffe
	s_delay_alu instid0(SALU_CYCLE_2)
	s_mul_u64 s[34:35], s[30:31], s[28:29]
	s_wait_alu 0xfffe
	s_mul_hi_u32 s37, s28, s35
	s_mul_i32 s36, s28, s35
	s_mul_hi_u32 s18, s28, s34
	s_mul_i32 s23, s29, s34
	s_wait_alu 0xfffe
	s_add_nc_u64 s[36:37], s[18:19], s[36:37]
	s_mul_hi_u32 s2, s29, s34
	s_mul_hi_u32 s25, s29, s35
	s_wait_alu 0xfffe
	s_add_co_u32 s18, s36, s23
	s_add_co_ci_u32 s18, s37, s2
	s_mul_i32 s34, s29, s35
	s_add_co_ci_u32 s35, s25, 0
	s_wait_alu 0xfffe
	s_add_nc_u64 s[34:35], s[18:19], s[34:35]
	s_wait_alu 0xfffe
	s_add_co_u32 s28, s28, s34
	s_cselect_b32 s2, -1, 0
	s_wait_alu 0xfffe
	s_cmp_lg_u32 s2, 0
	s_add_co_ci_u32 s29, s29, s35
	s_wait_alu 0xfffe
	s_mul_u64 s[30:31], s[30:31], s[28:29]
	s_wait_alu 0xfffe
	s_mul_hi_u32 s35, s28, s31
	s_mul_i32 s34, s28, s31
	s_mul_hi_u32 s18, s28, s30
	s_mul_i32 s23, s29, s30
	s_wait_alu 0xfffe
	s_add_nc_u64 s[34:35], s[18:19], s[34:35]
	s_mul_hi_u32 s2, s29, s30
	s_mul_hi_u32 s25, s29, s31
	s_wait_alu 0xfffe
	s_add_co_u32 s18, s34, s23
	s_add_co_ci_u32 s18, s35, s2
	s_mul_i32 s30, s29, s31
	s_add_co_ci_u32 s31, s25, 0
	s_wait_alu 0xfffe
	s_add_nc_u64 s[30:31], s[18:19], s[30:31]
	s_wait_alu 0xfffe
	s_add_co_u32 s2, s28, s30
	s_cselect_b32 s18, -1, 0
	s_wait_alu 0xfffe
	v_mul_hi_u32 v12, v10, s2
	s_cmp_lg_u32 s18, 0
	v_mad_co_u64_u32 v[5:6], null, v11, s2, 0
	s_add_co_ci_u32 s18, s29, s31
	s_wait_alu 0xfffe
	v_mad_co_u64_u32 v[3:4], null, v10, s18, 0
	v_mad_co_u64_u32 v[7:8], null, v11, s18, 0
	s_delay_alu instid0(VALU_DEP_2) | instskip(SKIP_1) | instid1(VALU_DEP_3)
	v_add_co_u32 v3, vcc_lo, v12, v3
	s_wait_alu 0xfffd
	v_add_co_ci_u32_e64 v4, null, 0, v4, vcc_lo
	s_delay_alu instid0(VALU_DEP_2) | instskip(SKIP_1) | instid1(VALU_DEP_2)
	v_add_co_u32 v3, vcc_lo, v3, v5
	s_wait_alu 0xfffd
	v_add_co_ci_u32_e32 v3, vcc_lo, v4, v6, vcc_lo
	s_wait_alu 0xfffd
	v_add_co_ci_u32_e32 v4, vcc_lo, 0, v8, vcc_lo
	s_delay_alu instid0(VALU_DEP_2) | instskip(SKIP_1) | instid1(VALU_DEP_2)
	v_add_co_u32 v5, vcc_lo, v3, v7
	s_wait_alu 0xfffd
	v_add_co_ci_u32_e64 v6, null, 0, v4, vcc_lo
	s_delay_alu instid0(VALU_DEP_2) | instskip(SKIP_1) | instid1(VALU_DEP_3)
	v_mul_lo_u32 v7, s27, v5
	v_mad_co_u64_u32 v[3:4], null, s26, v5, 0
	v_mul_lo_u32 v8, s26, v6
	s_delay_alu instid0(VALU_DEP_2) | instskip(NEXT) | instid1(VALU_DEP_2)
	v_sub_co_u32 v3, vcc_lo, v10, v3
	v_add3_u32 v4, v4, v8, v7
	v_add_co_u32 v8, s2, v5, 2
	s_wait_alu 0xf1ff
	v_add_co_ci_u32_e64 v10, null, 0, v6, s2
	s_delay_alu instid0(VALU_DEP_3) | instskip(SKIP_3) | instid1(VALU_DEP_3)
	v_sub_nc_u32_e32 v7, v11, v4
	v_sub_co_u32 v12, s2, v3, s26
	s_wait_alu 0xfffd
	v_sub_co_ci_u32_e64 v4, null, v11, v4, vcc_lo
	v_subrev_co_ci_u32_e64 v7, null, s27, v7, vcc_lo
	s_delay_alu instid0(VALU_DEP_3) | instskip(SKIP_1) | instid1(VALU_DEP_2)
	v_cmp_le_u32_e32 vcc_lo, s26, v12
	s_wait_alu 0xf1ff
	v_subrev_co_ci_u32_e64 v7, null, 0, v7, s2
	s_wait_alu 0xfffd
	v_cndmask_b32_e64 v11, 0, -1, vcc_lo
	s_delay_alu instid0(VALU_DEP_2)
	v_cmp_le_u32_e32 vcc_lo, s27, v7
	s_wait_alu 0xfffd
	v_cndmask_b32_e64 v12, 0, -1, vcc_lo
	v_cmp_le_u32_e32 vcc_lo, s26, v3
	s_wait_alu 0xfffd
	v_cndmask_b32_e64 v3, 0, -1, vcc_lo
	;; [unrolled: 3-line block ×3, first 2 shown]
	v_cmp_eq_u32_e32 vcc_lo, s27, v7
	s_wait_alu 0xfffd
	v_cndmask_b32_e32 v7, v12, v11, vcc_lo
	v_add_co_u32 v11, vcc_lo, v5, 1
	s_wait_alu 0xfffd
	v_add_co_ci_u32_e64 v12, null, 0, v6, vcc_lo
	v_cmp_eq_u32_e32 vcc_lo, s27, v4
	s_wait_alu 0xfffd
	v_cndmask_b32_e32 v3, v13, v3, vcc_lo
	v_cmp_ne_u32_e32 vcc_lo, 0, v7
	v_xor_b32_e32 v7, s22, v9
	s_wait_alu 0xfffd
	v_cndmask_b32_e32 v4, v12, v10, vcc_lo
	v_cmp_ne_u32_e64 s2, 0, v3
	v_cndmask_b32_e32 v3, v11, v8, vcc_lo
	s_wait_alu 0xf1ff
	s_delay_alu instid0(VALU_DEP_2) | instskip(NEXT) | instid1(VALU_DEP_2)
	v_cndmask_b32_e64 v4, v6, v4, s2
	v_cndmask_b32_e64 v3, v5, v3, s2
	s_delay_alu instid0(VALU_DEP_2) | instskip(NEXT) | instid1(VALU_DEP_2)
	v_xor_b32_e32 v5, v4, v7
	v_xor_b32_e32 v3, v3, v7
	s_delay_alu instid0(VALU_DEP_1) | instskip(SKIP_1) | instid1(VALU_DEP_3)
	v_sub_co_u32 v4, vcc_lo, v3, v7
	s_wait_alu 0xfffd
	v_sub_co_ci_u32_e64 v5, null, v5, v7, vcc_lo
.LBB48_5:                               ;   in Loop: Header=BB48_3 Depth=1
	s_wait_alu 0xfffe
	s_and_not1_saveexec_b32 s2, s3
	s_cbranch_execz .LBB48_7
; %bb.6:                                ;   in Loop: Header=BB48_3 Depth=1
	v_mul_hi_u32 v3, v0, v26
	s_delay_alu instid0(VALU_DEP_1) | instskip(NEXT) | instid1(VALU_DEP_1)
	v_mul_lo_u32 v4, v3, s8
	v_sub_nc_u32_e32 v4, v0, v4
	s_delay_alu instid0(VALU_DEP_1) | instskip(SKIP_2) | instid1(VALU_DEP_2)
	v_subrev_nc_u32_e32 v6, s8, v4
	v_cmp_le_u32_e32 vcc_lo, s8, v4
	s_wait_alu 0xfffd
	v_dual_cndmask_b32 v4, v4, v6 :: v_dual_add_nc_u32 v5, 1, v3
	s_delay_alu instid0(VALU_DEP_1) | instskip(NEXT) | instid1(VALU_DEP_2)
	v_cndmask_b32_e32 v3, v3, v5, vcc_lo
	v_cmp_le_u32_e32 vcc_lo, s8, v4
	s_delay_alu instid0(VALU_DEP_2) | instskip(SKIP_1) | instid1(VALU_DEP_1)
	v_add_nc_u32_e32 v5, 1, v3
	s_wait_alu 0xfffd
	v_dual_cndmask_b32 v4, v3, v5 :: v_dual_mov_b32 v5, v2
.LBB48_7:                               ;   in Loop: Header=BB48_3 Depth=1
	s_wait_alu 0xfffe
	s_or_b32 exec_lo, exec_lo, s2
	s_delay_alu instid0(VALU_DEP_1) | instskip(SKIP_1) | instid1(VALU_DEP_1)
	v_or_b32_e32 v3, s15, v5
                                        ; implicit-def: $vgpr7_vgpr8
	s_mov_b32 s2, exec_lo
	v_cmpx_ne_u64_e32 0, v[2:3]
	s_wait_alu 0xfffe
	s_xor_b32 s3, exec_lo, s2
	s_cbranch_execz .LBB48_9
; %bb.8:                                ;   in Loop: Header=BB48_3 Depth=1
	s_mov_b32 s25, s24
	v_ashrrev_i32_e32 v3, 31, v5
	s_wait_alu 0xfffe
	s_add_nc_u64 s[26:27], s[14:15], s[24:25]
	s_wait_alu 0xfffe
	s_xor_b64 s[26:27], s[26:27], s[24:25]
	v_add_co_u32 v6, vcc_lo, v4, v3
	s_wait_alu 0xfffe
	s_cvt_f32_u32 s2, s26
	s_cvt_f32_u32 s18, s27
	s_sub_nc_u64 s[30:31], 0, s[26:27]
	s_wait_alu 0xfffd
	v_add_co_ci_u32_e64 v5, null, v5, v3, vcc_lo
	s_wait_alu 0xfffe
	s_fmamk_f32 s2, s18, 0x4f800000, s2
	v_xor_b32_e32 v11, v6, v3
	s_delay_alu instid0(VALU_DEP_2) | instskip(SKIP_3) | instid1(TRANS32_DEP_1)
	v_xor_b32_e32 v12, v5, v3
	s_wait_alu 0xfffe
	v_s_rcp_f32 s2, s2
	v_xor_b32_e32 v3, s24, v3
	s_mul_f32 s2, s2, 0x5f7ffffc
	s_wait_alu 0xfffe
	s_delay_alu instid0(SALU_CYCLE_2) | instskip(SKIP_1) | instid1(SALU_CYCLE_2)
	s_mul_f32 s18, s2, 0x2f800000
	s_wait_alu 0xfffe
	s_trunc_f32 s18, s18
	s_wait_alu 0xfffe
	s_delay_alu instid0(SALU_CYCLE_2) | instskip(SKIP_2) | instid1(SALU_CYCLE_1)
	s_fmamk_f32 s2, s18, 0xcf800000, s2
	s_cvt_u32_f32 s29, s18
	s_wait_alu 0xfffe
	s_cvt_u32_f32 s28, s2
	s_wait_alu 0xfffe
	s_delay_alu instid0(SALU_CYCLE_2)
	s_mul_u64 s[34:35], s[30:31], s[28:29]
	s_wait_alu 0xfffe
	s_mul_hi_u32 s37, s28, s35
	s_mul_i32 s36, s28, s35
	s_mul_hi_u32 s18, s28, s34
	s_mul_i32 s23, s29, s34
	s_wait_alu 0xfffe
	s_add_nc_u64 s[36:37], s[18:19], s[36:37]
	s_mul_hi_u32 s2, s29, s34
	s_mul_hi_u32 s25, s29, s35
	s_wait_alu 0xfffe
	s_add_co_u32 s18, s36, s23
	s_add_co_ci_u32 s18, s37, s2
	s_mul_i32 s34, s29, s35
	s_add_co_ci_u32 s35, s25, 0
	s_wait_alu 0xfffe
	s_add_nc_u64 s[34:35], s[18:19], s[34:35]
	s_wait_alu 0xfffe
	s_add_co_u32 s28, s28, s34
	s_cselect_b32 s2, -1, 0
	s_wait_alu 0xfffe
	s_cmp_lg_u32 s2, 0
	s_add_co_ci_u32 s29, s29, s35
	s_wait_alu 0xfffe
	s_mul_u64 s[30:31], s[30:31], s[28:29]
	s_wait_alu 0xfffe
	s_mul_hi_u32 s35, s28, s31
	s_mul_i32 s34, s28, s31
	s_mul_hi_u32 s18, s28, s30
	s_mul_i32 s23, s29, s30
	s_wait_alu 0xfffe
	s_add_nc_u64 s[34:35], s[18:19], s[34:35]
	s_mul_hi_u32 s2, s29, s30
	s_mul_hi_u32 s25, s29, s31
	s_wait_alu 0xfffe
	s_add_co_u32 s18, s34, s23
	s_add_co_ci_u32 s18, s35, s2
	s_mul_i32 s30, s29, s31
	s_add_co_ci_u32 s31, s25, 0
	s_wait_alu 0xfffe
	s_add_nc_u64 s[30:31], s[18:19], s[30:31]
	s_wait_alu 0xfffe
	s_add_co_u32 s2, s28, s30
	s_cselect_b32 s18, -1, 0
	s_wait_alu 0xfffe
	v_mul_hi_u32 v13, v11, s2
	s_cmp_lg_u32 s18, 0
	v_mad_co_u64_u32 v[7:8], null, v12, s2, 0
	s_add_co_ci_u32 s18, s29, s31
	s_wait_alu 0xfffe
	v_mad_co_u64_u32 v[5:6], null, v11, s18, 0
	v_mad_co_u64_u32 v[9:10], null, v12, s18, 0
	s_delay_alu instid0(VALU_DEP_2) | instskip(SKIP_1) | instid1(VALU_DEP_3)
	v_add_co_u32 v5, vcc_lo, v13, v5
	s_wait_alu 0xfffd
	v_add_co_ci_u32_e64 v6, null, 0, v6, vcc_lo
	s_delay_alu instid0(VALU_DEP_2) | instskip(SKIP_1) | instid1(VALU_DEP_2)
	v_add_co_u32 v5, vcc_lo, v5, v7
	s_wait_alu 0xfffd
	v_add_co_ci_u32_e32 v5, vcc_lo, v6, v8, vcc_lo
	s_wait_alu 0xfffd
	v_add_co_ci_u32_e32 v6, vcc_lo, 0, v10, vcc_lo
	s_delay_alu instid0(VALU_DEP_2) | instskip(SKIP_1) | instid1(VALU_DEP_2)
	v_add_co_u32 v7, vcc_lo, v5, v9
	s_wait_alu 0xfffd
	v_add_co_ci_u32_e64 v8, null, 0, v6, vcc_lo
	s_delay_alu instid0(VALU_DEP_2) | instskip(SKIP_1) | instid1(VALU_DEP_3)
	v_mul_lo_u32 v9, s27, v7
	v_mad_co_u64_u32 v[5:6], null, s26, v7, 0
	v_mul_lo_u32 v10, s26, v8
	s_delay_alu instid0(VALU_DEP_2) | instskip(NEXT) | instid1(VALU_DEP_2)
	v_sub_co_u32 v5, vcc_lo, v11, v5
	v_add3_u32 v6, v6, v10, v9
	v_add_co_u32 v10, s2, v7, 2
	s_wait_alu 0xf1ff
	v_add_co_ci_u32_e64 v11, null, 0, v8, s2
	s_delay_alu instid0(VALU_DEP_3) | instskip(SKIP_3) | instid1(VALU_DEP_3)
	v_sub_nc_u32_e32 v9, v12, v6
	v_sub_co_u32 v13, s2, v5, s26
	s_wait_alu 0xfffd
	v_sub_co_ci_u32_e64 v6, null, v12, v6, vcc_lo
	v_subrev_co_ci_u32_e64 v9, null, s27, v9, vcc_lo
	s_delay_alu instid0(VALU_DEP_3) | instskip(SKIP_1) | instid1(VALU_DEP_2)
	v_cmp_le_u32_e32 vcc_lo, s26, v13
	s_wait_alu 0xf1ff
	v_subrev_co_ci_u32_e64 v9, null, 0, v9, s2
	s_wait_alu 0xfffd
	v_cndmask_b32_e64 v12, 0, -1, vcc_lo
	s_delay_alu instid0(VALU_DEP_2)
	v_cmp_le_u32_e32 vcc_lo, s27, v9
	s_wait_alu 0xfffd
	v_cndmask_b32_e64 v13, 0, -1, vcc_lo
	v_cmp_le_u32_e32 vcc_lo, s26, v5
	s_wait_alu 0xfffd
	v_cndmask_b32_e64 v5, 0, -1, vcc_lo
	;; [unrolled: 3-line block ×3, first 2 shown]
	v_cmp_eq_u32_e32 vcc_lo, s27, v9
	s_wait_alu 0xfffd
	v_cndmask_b32_e32 v9, v13, v12, vcc_lo
	v_add_co_u32 v12, vcc_lo, v7, 1
	s_wait_alu 0xfffd
	v_add_co_ci_u32_e64 v13, null, 0, v8, vcc_lo
	v_cmp_eq_u32_e32 vcc_lo, s27, v6
	s_wait_alu 0xfffd
	v_cndmask_b32_e32 v5, v14, v5, vcc_lo
	v_cmp_ne_u32_e32 vcc_lo, 0, v9
	s_wait_alu 0xfffd
	v_cndmask_b32_e32 v6, v13, v11, vcc_lo
	s_delay_alu instid0(VALU_DEP_3) | instskip(SKIP_2) | instid1(VALU_DEP_2)
	v_cmp_ne_u32_e64 s2, 0, v5
	v_cndmask_b32_e32 v5, v12, v10, vcc_lo
	s_wait_alu 0xf1ff
	v_cndmask_b32_e64 v6, v8, v6, s2
	s_delay_alu instid0(VALU_DEP_2) | instskip(NEXT) | instid1(VALU_DEP_2)
	v_cndmask_b32_e64 v5, v7, v5, s2
	v_xor_b32_e32 v6, v6, v3
	s_delay_alu instid0(VALU_DEP_2) | instskip(NEXT) | instid1(VALU_DEP_1)
	v_xor_b32_e32 v5, v5, v3
	v_sub_co_u32 v7, vcc_lo, v5, v3
	s_wait_alu 0xfffd
	s_delay_alu instid0(VALU_DEP_3)
	v_sub_co_ci_u32_e64 v8, null, v6, v3, vcc_lo
.LBB48_9:                               ;   in Loop: Header=BB48_3 Depth=1
	s_wait_alu 0xfffe
	s_and_not1_saveexec_b32 s2, s3
	s_cbranch_execz .LBB48_11
; %bb.10:                               ;   in Loop: Header=BB48_3 Depth=1
	s_sub_co_i32 s3, 0, s14
	v_mov_b32_e32 v8, v2
	s_wait_alu 0xfffe
	v_mul_lo_u32 v3, s3, v25
	s_delay_alu instid0(VALU_DEP_1) | instskip(NEXT) | instid1(VALU_DEP_1)
	v_mul_hi_u32 v3, v25, v3
	v_add_nc_u32_e32 v3, v25, v3
	s_delay_alu instid0(VALU_DEP_1) | instskip(NEXT) | instid1(VALU_DEP_1)
	v_mul_hi_u32 v3, v4, v3
	v_mul_lo_u32 v5, v3, s14
	v_add_nc_u32_e32 v6, 1, v3
	s_delay_alu instid0(VALU_DEP_2) | instskip(NEXT) | instid1(VALU_DEP_1)
	v_sub_nc_u32_e32 v5, v4, v5
	v_subrev_nc_u32_e32 v7, s14, v5
	v_cmp_le_u32_e32 vcc_lo, s14, v5
	s_wait_alu 0xfffd
	s_delay_alu instid0(VALU_DEP_2) | instskip(SKIP_1) | instid1(VALU_DEP_2)
	v_cndmask_b32_e32 v5, v5, v7, vcc_lo
	v_cndmask_b32_e32 v3, v3, v6, vcc_lo
	v_cmp_le_u32_e32 vcc_lo, s14, v5
	s_delay_alu instid0(VALU_DEP_2) | instskip(SKIP_1) | instid1(VALU_DEP_1)
	v_add_nc_u32_e32 v6, 1, v3
	s_wait_alu 0xfffd
	v_cndmask_b32_e32 v7, v3, v6, vcc_lo
.LBB48_11:                              ;   in Loop: Header=BB48_3 Depth=1
	s_wait_alu 0xfffe
	s_or_b32 exec_lo, exec_lo, s2
	v_mad_co_u64_u32 v[5:6], null, v4, s8, 0
	s_delay_alu instid0(VALU_DEP_2) | instskip(SKIP_3) | instid1(VALU_DEP_1)
	v_mad_co_u64_u32 v[9:10], null, v7, s14, 0
	s_mov_b32 s23, exec_lo
	v_sub_co_u32 v28, null, v0, v5
	v_sub_co_u32 v27, null, v4, v9
	v_sub_nc_u32_e32 v6, v28, v27
	s_delay_alu instid0(VALU_DEP_1) | instskip(NEXT) | instid1(VALU_DEP_1)
	v_add_nc_u32_e32 v3, 4, v6
	v_ashrrev_i32_e32 v4, 31, v3
	s_delay_alu instid0(VALU_DEP_1)
	v_cmpx_lt_i64_e64 s[4:5], v[3:4]
	s_cbranch_execz .LBB48_2
; %bb.12:                               ;   in Loop: Header=BB48_3 Depth=1
	s_load_b64 s[2:3], s[20:21], 0x64
	s_and_not1_b32 vcc_lo, exec_lo, s56
	s_wait_kmcnt 0x0
	v_mul_lo_u32 v3, s3, v28
	s_delay_alu instid0(VALU_DEP_1)
	v_mad_co_u64_u32 v[4:5], null, s2, v27, v[3:4]
	s_wait_alu 0xfffe
	s_cbranch_vccnz .LBB48_56
; %bb.13:                               ;   in Loop: Header=BB48_3 Depth=1
	s_mov_b32 s25, s52
	s_and_not1_b32 vcc_lo, exec_lo, s54
	s_mov_b32 s18, s33
	s_mov_b32 s2, s33
	s_wait_alu 0xfffe
	s_cbranch_vccz .LBB48_16
; %bb.14:                               ;   in Loop: Header=BB48_3 Depth=1
	s_and_not1_b32 vcc_lo, exec_lo, s55
	s_wait_alu 0xfffe
	s_cbranch_vccz .LBB48_21
	s_branch .LBB48_56
.LBB48_15:                              ;   in Loop: Header=BB48_16 Depth=2
	s_wait_alu 0xfffe
	s_or_b32 exec_lo, exec_lo, s2
	s_add_nc_u64 s[26:27], s[0:1], s[26:27]
	v_mul_lo_u32 v3, v9, s28
	s_load_b32 s2, s[26:27], 0x6c
	s_add_co_i32 s25, s25, -1
	s_add_co_i32 s18, s18, -1
	s_wait_alu 0xfffe
	s_cmp_lg_u32 s25, 0
	s_delay_alu instid0(VALU_DEP_1) | instskip(SKIP_2) | instid1(VALU_DEP_2)
	v_sub_nc_u32_e32 v3, v7, v3
	v_dual_mov_b32 v7, v9 :: v_dual_mov_b32 v8, v10
	s_wait_kmcnt 0x0
	v_mad_co_u64_u32 v[4:5], null, s2, v3, v[4:5]
	s_cbranch_scc0 .LBB48_20
.LBB48_16:                              ;   Parent Loop BB48_3 Depth=1
                                        ; =>  This Inner Loop Header: Depth=2
	s_lshl_b64 s[26:27], s[18:19], 2
                                        ; implicit-def: $vgpr9_vgpr10
	s_mov_b32 s2, exec_lo
	s_wait_alu 0xfffe
	s_add_nc_u64 s[28:29], s[10:11], s[26:27]
	s_load_b32 s28, s[28:29], 0x8
	s_wait_kmcnt 0x0
	s_ashr_i32 s29, s28, 31
	s_wait_alu 0xfffe
	v_or_b32_e32 v3, s29, v8
	s_delay_alu instid0(VALU_DEP_1)
	v_cmpx_ne_u64_e32 0, v[2:3]
	s_xor_b32 s36, exec_lo, s2
	s_cbranch_execz .LBB48_18
; %bb.17:                               ;   in Loop: Header=BB48_16 Depth=2
	s_ashr_i32 s30, s29, 31
	s_mov_b32 s43, s19
	s_wait_alu 0xfffe
	s_mov_b32 s31, s30
	s_mov_b32 s47, s19
	s_wait_alu 0xfffe
	s_add_nc_u64 s[34:35], s[28:29], s[30:31]
	v_ashrrev_i32_e32 v3, 31, v8
	s_wait_alu 0xfffe
	s_xor_b64 s[34:35], s[34:35], s[30:31]
	s_wait_alu 0xfffe
	s_cvt_f32_u32 s2, s34
	s_cvt_f32_u32 s29, s35
	s_sub_nc_u64 s[40:41], 0, s[34:35]
	v_add_co_u32 v5, vcc_lo, v7, v3
	s_wait_alu 0xfffe
	s_fmamk_f32 s2, s29, 0x4f800000, s2
	s_wait_alu 0xfffd
	v_add_co_ci_u32_e64 v8, null, v8, v3, vcc_lo
	v_xor_b32_e32 v5, v5, v3
	s_wait_alu 0xfffe
	v_s_rcp_f32 s2, s2
	s_delay_alu instid0(VALU_DEP_2) | instskip(SKIP_1) | instid1(TRANS32_DEP_1)
	v_xor_b32_e32 v14, v8, v3
	v_xor_b32_e32 v3, s30, v3
	s_mul_f32 s2, s2, 0x5f7ffffc
	s_wait_alu 0xfffe
	s_delay_alu instid0(SALU_CYCLE_2) | instskip(SKIP_1) | instid1(SALU_CYCLE_2)
	s_mul_f32 s29, s2, 0x2f800000
	s_wait_alu 0xfffe
	s_trunc_f32 s29, s29
	s_wait_alu 0xfffe
	s_delay_alu instid0(SALU_CYCLE_2) | instskip(SKIP_2) | instid1(SALU_CYCLE_1)
	s_fmamk_f32 s2, s29, 0xcf800000, s2
	s_cvt_u32_f32 s39, s29
	s_wait_alu 0xfffe
	s_cvt_u32_f32 s38, s2
	s_wait_alu 0xfffe
	s_delay_alu instid0(SALU_CYCLE_2)
	s_mul_u64 s[44:45], s[40:41], s[38:39]
	s_wait_alu 0xfffe
	s_mul_hi_u32 s49, s38, s45
	s_mul_i32 s48, s38, s45
	s_mul_hi_u32 s42, s38, s44
	s_mul_i32 s29, s39, s44
	s_wait_alu 0xfffe
	s_add_nc_u64 s[42:43], s[42:43], s[48:49]
	s_mul_hi_u32 s2, s39, s44
	s_mul_hi_u32 s31, s39, s45
	s_wait_alu 0xfffe
	s_add_co_u32 s29, s42, s29
	s_add_co_ci_u32 s46, s43, s2
	s_mul_i32 s44, s39, s45
	s_add_co_ci_u32 s45, s31, 0
	s_wait_alu 0xfffe
	s_add_nc_u64 s[42:43], s[46:47], s[44:45]
	s_mov_b32 s45, s19
	s_wait_alu 0xfffe
	s_add_co_u32 s38, s38, s42
	s_cselect_b32 s2, -1, 0
	s_wait_alu 0xfffe
	s_cmp_lg_u32 s2, 0
	s_add_co_ci_u32 s39, s39, s43
	s_mov_b32 s43, s19
	s_wait_alu 0xfffe
	s_mul_u64 s[40:41], s[40:41], s[38:39]
	s_wait_alu 0xfffe
	s_mul_hi_u32 s47, s38, s41
	s_mul_i32 s46, s38, s41
	s_mul_hi_u32 s44, s38, s40
	s_mul_i32 s29, s39, s40
	s_wait_alu 0xfffe
	s_add_nc_u64 s[44:45], s[44:45], s[46:47]
	s_mul_hi_u32 s2, s39, s40
	s_mul_hi_u32 s31, s39, s41
	s_wait_alu 0xfffe
	s_add_co_u32 s29, s44, s29
	s_add_co_ci_u32 s42, s45, s2
	s_mul_i32 s40, s39, s41
	s_add_co_ci_u32 s41, s31, 0
	s_wait_alu 0xfffe
	s_add_nc_u64 s[40:41], s[42:43], s[40:41]
	s_wait_alu 0xfffe
	s_add_co_u32 s2, s38, s40
	s_cselect_b32 s29, -1, 0
	s_wait_alu 0xfffe
	v_mul_hi_u32 v15, v5, s2
	s_cmp_lg_u32 s29, 0
	v_mad_co_u64_u32 v[10:11], null, v14, s2, 0
	s_add_co_ci_u32 s29, s39, s41
	s_wait_alu 0xfffe
	v_mad_co_u64_u32 v[8:9], null, v5, s29, 0
	v_mad_co_u64_u32 v[12:13], null, v14, s29, 0
	s_delay_alu instid0(VALU_DEP_2) | instskip(SKIP_1) | instid1(VALU_DEP_3)
	v_add_co_u32 v8, vcc_lo, v15, v8
	s_wait_alu 0xfffd
	v_add_co_ci_u32_e64 v9, null, 0, v9, vcc_lo
	s_delay_alu instid0(VALU_DEP_2) | instskip(SKIP_1) | instid1(VALU_DEP_2)
	v_add_co_u32 v8, vcc_lo, v8, v10
	s_wait_alu 0xfffd
	v_add_co_ci_u32_e32 v8, vcc_lo, v9, v11, vcc_lo
	s_wait_alu 0xfffd
	v_add_co_ci_u32_e32 v9, vcc_lo, 0, v13, vcc_lo
	s_delay_alu instid0(VALU_DEP_2) | instskip(SKIP_1) | instid1(VALU_DEP_2)
	v_add_co_u32 v10, vcc_lo, v8, v12
	s_wait_alu 0xfffd
	v_add_co_ci_u32_e64 v11, null, 0, v9, vcc_lo
	s_delay_alu instid0(VALU_DEP_2) | instskip(SKIP_1) | instid1(VALU_DEP_3)
	v_mul_lo_u32 v12, s35, v10
	v_mad_co_u64_u32 v[8:9], null, s34, v10, 0
	v_mul_lo_u32 v13, s34, v11
	s_delay_alu instid0(VALU_DEP_2) | instskip(NEXT) | instid1(VALU_DEP_2)
	v_sub_co_u32 v5, vcc_lo, v5, v8
	v_add3_u32 v9, v9, v13, v12
	s_delay_alu instid0(VALU_DEP_1) | instskip(SKIP_2) | instid1(VALU_DEP_2)
	v_sub_nc_u32_e32 v12, v14, v9
	s_wait_alu 0xfffd
	v_sub_co_ci_u32_e64 v9, null, v14, v9, vcc_lo
	v_subrev_co_ci_u32_e64 v8, null, s35, v12, vcc_lo
	v_add_co_u32 v12, s2, v10, 2
	s_wait_alu 0xf1ff
	v_add_co_ci_u32_e64 v13, null, 0, v11, s2
	v_sub_co_u32 v15, s2, v5, s34
	s_wait_alu 0xf1ff
	v_subrev_co_ci_u32_e64 v8, null, 0, v8, s2
	s_delay_alu instid0(VALU_DEP_2) | instskip(SKIP_2) | instid1(VALU_DEP_3)
	v_cmp_le_u32_e32 vcc_lo, s34, v15
	s_wait_alu 0xfffd
	v_cndmask_b32_e64 v14, 0, -1, vcc_lo
	v_cmp_le_u32_e32 vcc_lo, s35, v8
	s_wait_alu 0xfffd
	v_cndmask_b32_e64 v15, 0, -1, vcc_lo
	;; [unrolled: 3-line block ×4, first 2 shown]
	v_cmp_eq_u32_e32 vcc_lo, s35, v8
	s_wait_alu 0xfffd
	v_cndmask_b32_e32 v8, v15, v14, vcc_lo
	v_add_co_u32 v14, vcc_lo, v10, 1
	s_wait_alu 0xfffd
	v_add_co_ci_u32_e64 v15, null, 0, v11, vcc_lo
	v_cmp_eq_u32_e32 vcc_lo, s35, v9
	s_wait_alu 0xfffd
	v_cndmask_b32_e32 v5, v16, v5, vcc_lo
	v_cmp_ne_u32_e32 vcc_lo, 0, v8
	s_delay_alu instid0(VALU_DEP_2) | instskip(SKIP_3) | instid1(VALU_DEP_1)
	v_cmp_ne_u32_e64 s2, 0, v5
	s_wait_alu 0xfffd
	v_dual_cndmask_b32 v8, v15, v13 :: v_dual_cndmask_b32 v5, v14, v12
	s_wait_alu 0xf1ff
	v_cndmask_b32_e64 v8, v11, v8, s2
	s_delay_alu instid0(VALU_DEP_2) | instskip(NEXT) | instid1(VALU_DEP_2)
	v_cndmask_b32_e64 v5, v10, v5, s2
	v_xor_b32_e32 v8, v8, v3
	s_delay_alu instid0(VALU_DEP_2) | instskip(NEXT) | instid1(VALU_DEP_1)
	v_xor_b32_e32 v5, v5, v3
	v_sub_co_u32 v9, vcc_lo, v5, v3
	s_wait_alu 0xfffd
	s_delay_alu instid0(VALU_DEP_3)
	v_sub_co_ci_u32_e64 v10, null, v8, v3, vcc_lo
.LBB48_18:                              ;   in Loop: Header=BB48_16 Depth=2
	s_wait_alu 0xfffe
	s_and_not1_saveexec_b32 s2, s36
	s_cbranch_execz .LBB48_15
; %bb.19:                               ;   in Loop: Header=BB48_16 Depth=2
	v_cvt_f32_u32_e32 v3, s28
	s_sub_co_i32 s29, 0, s28
	v_mov_b32_e32 v10, v2
	s_delay_alu instid0(VALU_DEP_2) | instskip(NEXT) | instid1(TRANS32_DEP_1)
	v_rcp_iflag_f32_e32 v3, v3
	v_mul_f32_e32 v3, 0x4f7ffffe, v3
	s_delay_alu instid0(VALU_DEP_1) | instskip(SKIP_1) | instid1(VALU_DEP_1)
	v_cvt_u32_f32_e32 v3, v3
	s_wait_alu 0xfffe
	v_mul_lo_u32 v5, s29, v3
	s_delay_alu instid0(VALU_DEP_1) | instskip(NEXT) | instid1(VALU_DEP_1)
	v_mul_hi_u32 v5, v3, v5
	v_add_nc_u32_e32 v3, v3, v5
	s_delay_alu instid0(VALU_DEP_1) | instskip(NEXT) | instid1(VALU_DEP_1)
	v_mul_hi_u32 v3, v7, v3
	v_mul_lo_u32 v5, v3, s28
	s_delay_alu instid0(VALU_DEP_1) | instskip(NEXT) | instid1(VALU_DEP_1)
	v_sub_nc_u32_e32 v5, v7, v5
	v_subrev_nc_u32_e32 v9, s28, v5
	v_cmp_le_u32_e32 vcc_lo, s28, v5
	s_wait_alu 0xfffd
	s_delay_alu instid0(VALU_DEP_2) | instskip(NEXT) | instid1(VALU_DEP_1)
	v_dual_cndmask_b32 v5, v5, v9 :: v_dual_add_nc_u32 v8, 1, v3
	v_cndmask_b32_e32 v3, v3, v8, vcc_lo
	s_delay_alu instid0(VALU_DEP_2) | instskip(NEXT) | instid1(VALU_DEP_2)
	v_cmp_le_u32_e32 vcc_lo, s28, v5
	v_add_nc_u32_e32 v8, 1, v3
	s_wait_alu 0xfffd
	s_delay_alu instid0(VALU_DEP_1)
	v_cndmask_b32_e32 v9, v3, v8, vcc_lo
	s_branch .LBB48_15
.LBB48_20:                              ;   in Loop: Header=BB48_3 Depth=1
	s_mov_b32 s2, s18
	s_and_not1_b32 vcc_lo, exec_lo, s55
	s_wait_alu 0xfffe
	s_cbranch_vccnz .LBB48_56
.LBB48_21:                              ;   in Loop: Header=BB48_3 Depth=1
	s_add_co_i32 s26, s2, -7
.LBB48_22:                              ;   Parent Loop BB48_3 Depth=1
                                        ; =>  This Inner Loop Header: Depth=2
	s_wait_alu 0xfffe
	s_add_co_i32 s18, s26, 7
                                        ; implicit-def: $vgpr9_vgpr10
	s_mov_b32 s2, exec_lo
	s_wait_alu 0xfffe
	s_lshl_b64 s[34:35], s[18:19], 2
	s_wait_alu 0xfffe
	s_add_nc_u64 s[28:29], s[10:11], s[34:35]
	s_load_b32 s28, s[28:29], 0x8
	s_wait_kmcnt 0x0
	s_ashr_i32 s29, s28, 31
	s_wait_alu 0xfffe
	v_or_b32_e32 v3, s29, v8
	s_delay_alu instid0(VALU_DEP_1)
	v_cmpx_ne_u64_e32 0, v[2:3]
	s_xor_b32 s25, exec_lo, s2
	s_cbranch_execz .LBB48_24
; %bb.23:                               ;   in Loop: Header=BB48_22 Depth=2
	s_ashr_i32 s30, s29, 31
	v_ashrrev_i32_e32 v3, 31, v8
	s_wait_alu 0xfffe
	s_mov_b32 s31, s30
	s_wait_alu 0xfffe
	s_add_nc_u64 s[36:37], s[28:29], s[30:31]
	v_add_co_u32 v5, vcc_lo, v7, v3
	s_wait_alu 0xfffe
	s_xor_b64 s[36:37], s[36:37], s[30:31]
	s_wait_alu 0xfffd
	v_add_co_ci_u32_e64 v8, null, v8, v3, vcc_lo
	s_wait_alu 0xfffe
	s_cvt_f32_u32 s2, s36
	s_cvt_f32_u32 s18, s37
	s_sub_nc_u64 s[40:41], 0, s[36:37]
	v_xor_b32_e32 v5, v5, v3
	v_xor_b32_e32 v14, v8, v3
	s_wait_alu 0xfffe
	s_fmamk_f32 s2, s18, 0x4f800000, s2
	v_xor_b32_e32 v3, s30, v3
	s_wait_alu 0xfffe
	s_delay_alu instid0(SALU_CYCLE_1) | instskip(NEXT) | instid1(TRANS32_DEP_1)
	v_s_rcp_f32 s2, s2
	s_mul_f32 s2, s2, 0x5f7ffffc
	s_wait_alu 0xfffe
	s_delay_alu instid0(SALU_CYCLE_2) | instskip(SKIP_1) | instid1(SALU_CYCLE_2)
	s_mul_f32 s18, s2, 0x2f800000
	s_wait_alu 0xfffe
	s_trunc_f32 s18, s18
	s_wait_alu 0xfffe
	s_delay_alu instid0(SALU_CYCLE_2) | instskip(SKIP_2) | instid1(SALU_CYCLE_1)
	s_fmamk_f32 s2, s18, 0xcf800000, s2
	s_cvt_u32_f32 s39, s18
	s_wait_alu 0xfffe
	s_cvt_u32_f32 s38, s2
	s_wait_alu 0xfffe
	s_delay_alu instid0(SALU_CYCLE_2)
	s_mul_u64 s[42:43], s[40:41], s[38:39]
	s_wait_alu 0xfffe
	s_mul_hi_u32 s45, s38, s43
	s_mul_i32 s44, s38, s43
	s_mul_hi_u32 s18, s38, s42
	s_mul_i32 s27, s39, s42
	s_wait_alu 0xfffe
	s_add_nc_u64 s[44:45], s[18:19], s[44:45]
	s_mul_hi_u32 s2, s39, s42
	s_mul_hi_u32 s29, s39, s43
	s_wait_alu 0xfffe
	s_add_co_u32 s18, s44, s27
	s_add_co_ci_u32 s18, s45, s2
	s_mul_i32 s42, s39, s43
	s_add_co_ci_u32 s43, s29, 0
	s_wait_alu 0xfffe
	s_add_nc_u64 s[42:43], s[18:19], s[42:43]
	s_wait_alu 0xfffe
	s_add_co_u32 s38, s38, s42
	s_cselect_b32 s2, -1, 0
	s_wait_alu 0xfffe
	s_cmp_lg_u32 s2, 0
	s_add_co_ci_u32 s39, s39, s43
	s_wait_alu 0xfffe
	s_mul_u64 s[40:41], s[40:41], s[38:39]
	s_wait_alu 0xfffe
	s_mul_hi_u32 s43, s38, s41
	s_mul_i32 s42, s38, s41
	s_mul_hi_u32 s18, s38, s40
	s_mul_i32 s27, s39, s40
	s_wait_alu 0xfffe
	s_add_nc_u64 s[42:43], s[18:19], s[42:43]
	s_mul_hi_u32 s2, s39, s40
	s_mul_hi_u32 s29, s39, s41
	s_wait_alu 0xfffe
	s_add_co_u32 s18, s42, s27
	s_add_co_ci_u32 s18, s43, s2
	s_mul_i32 s40, s39, s41
	s_add_co_ci_u32 s41, s29, 0
	s_wait_alu 0xfffe
	s_add_nc_u64 s[40:41], s[18:19], s[40:41]
	s_wait_alu 0xfffe
	s_add_co_u32 s2, s38, s40
	s_cselect_b32 s18, -1, 0
	s_wait_alu 0xfffe
	v_mul_hi_u32 v15, v5, s2
	s_cmp_lg_u32 s18, 0
	v_mad_co_u64_u32 v[10:11], null, v14, s2, 0
	s_add_co_ci_u32 s18, s39, s41
	s_wait_alu 0xfffe
	v_mad_co_u64_u32 v[8:9], null, v5, s18, 0
	v_mad_co_u64_u32 v[12:13], null, v14, s18, 0
	s_delay_alu instid0(VALU_DEP_2) | instskip(SKIP_1) | instid1(VALU_DEP_3)
	v_add_co_u32 v8, vcc_lo, v15, v8
	s_wait_alu 0xfffd
	v_add_co_ci_u32_e64 v9, null, 0, v9, vcc_lo
	s_delay_alu instid0(VALU_DEP_2) | instskip(SKIP_1) | instid1(VALU_DEP_2)
	v_add_co_u32 v8, vcc_lo, v8, v10
	s_wait_alu 0xfffd
	v_add_co_ci_u32_e32 v8, vcc_lo, v9, v11, vcc_lo
	s_wait_alu 0xfffd
	v_add_co_ci_u32_e32 v9, vcc_lo, 0, v13, vcc_lo
	s_delay_alu instid0(VALU_DEP_2) | instskip(SKIP_1) | instid1(VALU_DEP_2)
	v_add_co_u32 v10, vcc_lo, v8, v12
	s_wait_alu 0xfffd
	v_add_co_ci_u32_e64 v11, null, 0, v9, vcc_lo
	s_delay_alu instid0(VALU_DEP_2) | instskip(SKIP_1) | instid1(VALU_DEP_3)
	v_mul_lo_u32 v12, s37, v10
	v_mad_co_u64_u32 v[8:9], null, s36, v10, 0
	v_mul_lo_u32 v13, s36, v11
	s_delay_alu instid0(VALU_DEP_2) | instskip(NEXT) | instid1(VALU_DEP_2)
	v_sub_co_u32 v5, vcc_lo, v5, v8
	v_add3_u32 v9, v9, v13, v12
	s_delay_alu instid0(VALU_DEP_1) | instskip(SKIP_2) | instid1(VALU_DEP_2)
	v_sub_nc_u32_e32 v12, v14, v9
	s_wait_alu 0xfffd
	v_sub_co_ci_u32_e64 v9, null, v14, v9, vcc_lo
	v_subrev_co_ci_u32_e64 v8, null, s37, v12, vcc_lo
	v_add_co_u32 v12, s2, v10, 2
	s_wait_alu 0xf1ff
	v_add_co_ci_u32_e64 v13, null, 0, v11, s2
	v_sub_co_u32 v15, s2, v5, s36
	s_wait_alu 0xf1ff
	v_subrev_co_ci_u32_e64 v8, null, 0, v8, s2
	s_delay_alu instid0(VALU_DEP_2) | instskip(SKIP_2) | instid1(VALU_DEP_3)
	v_cmp_le_u32_e32 vcc_lo, s36, v15
	s_wait_alu 0xfffd
	v_cndmask_b32_e64 v14, 0, -1, vcc_lo
	v_cmp_le_u32_e32 vcc_lo, s37, v8
	s_wait_alu 0xfffd
	v_cndmask_b32_e64 v15, 0, -1, vcc_lo
	v_cmp_le_u32_e32 vcc_lo, s36, v5
	s_wait_alu 0xfffd
	v_cndmask_b32_e64 v5, 0, -1, vcc_lo
	v_cmp_le_u32_e32 vcc_lo, s37, v9
	s_wait_alu 0xfffd
	v_cndmask_b32_e64 v16, 0, -1, vcc_lo
	v_cmp_eq_u32_e32 vcc_lo, s37, v8
	s_wait_alu 0xfffd
	v_cndmask_b32_e32 v8, v15, v14, vcc_lo
	v_add_co_u32 v14, vcc_lo, v10, 1
	s_wait_alu 0xfffd
	v_add_co_ci_u32_e64 v15, null, 0, v11, vcc_lo
	v_cmp_eq_u32_e32 vcc_lo, s37, v9
	s_wait_alu 0xfffd
	v_cndmask_b32_e32 v5, v16, v5, vcc_lo
	v_cmp_ne_u32_e32 vcc_lo, 0, v8
	s_delay_alu instid0(VALU_DEP_2) | instskip(SKIP_3) | instid1(VALU_DEP_1)
	v_cmp_ne_u32_e64 s2, 0, v5
	s_wait_alu 0xfffd
	v_dual_cndmask_b32 v8, v15, v13 :: v_dual_cndmask_b32 v5, v14, v12
	s_wait_alu 0xf1ff
	v_cndmask_b32_e64 v8, v11, v8, s2
	s_delay_alu instid0(VALU_DEP_2) | instskip(NEXT) | instid1(VALU_DEP_2)
	v_cndmask_b32_e64 v5, v10, v5, s2
	v_xor_b32_e32 v8, v8, v3
	s_delay_alu instid0(VALU_DEP_2) | instskip(NEXT) | instid1(VALU_DEP_1)
	v_xor_b32_e32 v5, v5, v3
	v_sub_co_u32 v9, vcc_lo, v5, v3
	s_wait_alu 0xfffd
	s_delay_alu instid0(VALU_DEP_3)
	v_sub_co_ci_u32_e64 v10, null, v8, v3, vcc_lo
.LBB48_24:                              ;   in Loop: Header=BB48_22 Depth=2
	s_wait_alu 0xfffe
	s_and_not1_saveexec_b32 s2, s25
	s_cbranch_execz .LBB48_26
; %bb.25:                               ;   in Loop: Header=BB48_22 Depth=2
	v_cvt_f32_u32_e32 v3, s28
	s_sub_co_i32 s18, 0, s28
	v_mov_b32_e32 v10, v2
	s_delay_alu instid0(VALU_DEP_2) | instskip(NEXT) | instid1(TRANS32_DEP_1)
	v_rcp_iflag_f32_e32 v3, v3
	v_mul_f32_e32 v3, 0x4f7ffffe, v3
	s_delay_alu instid0(VALU_DEP_1) | instskip(SKIP_1) | instid1(VALU_DEP_1)
	v_cvt_u32_f32_e32 v3, v3
	s_wait_alu 0xfffe
	v_mul_lo_u32 v5, s18, v3
	s_delay_alu instid0(VALU_DEP_1) | instskip(NEXT) | instid1(VALU_DEP_1)
	v_mul_hi_u32 v5, v3, v5
	v_add_nc_u32_e32 v3, v3, v5
	s_delay_alu instid0(VALU_DEP_1) | instskip(NEXT) | instid1(VALU_DEP_1)
	v_mul_hi_u32 v3, v7, v3
	v_mul_lo_u32 v5, v3, s28
	s_delay_alu instid0(VALU_DEP_1) | instskip(NEXT) | instid1(VALU_DEP_1)
	v_sub_nc_u32_e32 v5, v7, v5
	v_subrev_nc_u32_e32 v9, s28, v5
	v_cmp_le_u32_e32 vcc_lo, s28, v5
	s_wait_alu 0xfffd
	s_delay_alu instid0(VALU_DEP_2) | instskip(NEXT) | instid1(VALU_DEP_1)
	v_dual_cndmask_b32 v5, v5, v9 :: v_dual_add_nc_u32 v8, 1, v3
	v_cndmask_b32_e32 v3, v3, v8, vcc_lo
	s_delay_alu instid0(VALU_DEP_2) | instskip(NEXT) | instid1(VALU_DEP_2)
	v_cmp_le_u32_e32 vcc_lo, s28, v5
	v_add_nc_u32_e32 v8, 1, v3
	s_wait_alu 0xfffd
	s_delay_alu instid0(VALU_DEP_1)
	v_cndmask_b32_e32 v9, v3, v8, vcc_lo
.LBB48_26:                              ;   in Loop: Header=BB48_22 Depth=2
	s_wait_alu 0xfffe
	s_or_b32 exec_lo, exec_lo, s2
	s_add_co_i32 s18, s26, 6
	s_add_nc_u64 s[34:35], s[0:1], s[34:35]
	s_wait_alu 0xfffe
	s_lshl_b64 s[36:37], s[18:19], 2
                                        ; implicit-def: $vgpr11_vgpr12
	s_mov_b32 s2, exec_lo
	s_wait_alu 0xfffe
	s_add_nc_u64 s[30:31], s[10:11], s[36:37]
	s_clause 0x1
	s_load_b32 s25, s[34:35], 0x6c
	s_load_b32 s30, s[30:31], 0x8
	s_wait_kmcnt 0x0
	s_ashr_i32 s31, s30, 31
	s_wait_alu 0xfffe
	v_or_b32_e32 v3, s31, v10
	s_delay_alu instid0(VALU_DEP_1)
	v_cmpx_ne_u64_e32 0, v[2:3]
	s_xor_b32 s27, exec_lo, s2
	s_cbranch_execz .LBB48_28
; %bb.27:                               ;   in Loop: Header=BB48_22 Depth=2
	s_ashr_i32 s34, s31, 31
	v_ashrrev_i32_e32 v3, 31, v10
	s_wait_alu 0xfffe
	s_mov_b32 s35, s34
	s_wait_alu 0xfffe
	s_add_nc_u64 s[38:39], s[30:31], s[34:35]
	v_add_co_u32 v5, vcc_lo, v9, v3
	s_wait_alu 0xfffe
	s_xor_b64 s[38:39], s[38:39], s[34:35]
	s_wait_alu 0xfffd
	v_add_co_ci_u32_e64 v8, null, v10, v3, vcc_lo
	s_wait_alu 0xfffe
	s_cvt_f32_u32 s2, s38
	s_cvt_f32_u32 s18, s39
	s_sub_nc_u64 s[42:43], 0, s[38:39]
	v_xor_b32_e32 v5, v5, v3
	v_xor_b32_e32 v8, v8, v3
	s_wait_alu 0xfffe
	s_fmamk_f32 s2, s18, 0x4f800000, s2
	v_xor_b32_e32 v3, s34, v3
	s_wait_alu 0xfffe
	s_delay_alu instid0(SALU_CYCLE_1) | instskip(NEXT) | instid1(TRANS32_DEP_1)
	v_s_rcp_f32 s2, s2
	s_mul_f32 s2, s2, 0x5f7ffffc
	s_wait_alu 0xfffe
	s_delay_alu instid0(SALU_CYCLE_2) | instskip(SKIP_1) | instid1(SALU_CYCLE_2)
	s_mul_f32 s18, s2, 0x2f800000
	s_wait_alu 0xfffe
	s_trunc_f32 s18, s18
	s_wait_alu 0xfffe
	s_delay_alu instid0(SALU_CYCLE_2) | instskip(SKIP_2) | instid1(SALU_CYCLE_1)
	s_fmamk_f32 s2, s18, 0xcf800000, s2
	s_cvt_u32_f32 s41, s18
	s_wait_alu 0xfffe
	s_cvt_u32_f32 s40, s2
	s_wait_alu 0xfffe
	s_delay_alu instid0(SALU_CYCLE_2)
	s_mul_u64 s[44:45], s[42:43], s[40:41]
	s_wait_alu 0xfffe
	s_mul_hi_u32 s47, s40, s45
	s_mul_i32 s46, s40, s45
	s_mul_hi_u32 s18, s40, s44
	s_mul_i32 s29, s41, s44
	s_wait_alu 0xfffe
	s_add_nc_u64 s[46:47], s[18:19], s[46:47]
	s_mul_hi_u32 s2, s41, s44
	s_mul_hi_u32 s31, s41, s45
	s_wait_alu 0xfffe
	s_add_co_u32 s18, s46, s29
	s_add_co_ci_u32 s18, s47, s2
	s_mul_i32 s44, s41, s45
	s_add_co_ci_u32 s45, s31, 0
	s_wait_alu 0xfffe
	s_add_nc_u64 s[44:45], s[18:19], s[44:45]
	s_wait_alu 0xfffe
	s_add_co_u32 s40, s40, s44
	s_cselect_b32 s2, -1, 0
	s_wait_alu 0xfffe
	s_cmp_lg_u32 s2, 0
	s_add_co_ci_u32 s41, s41, s45
	s_wait_alu 0xfffe
	s_mul_u64 s[42:43], s[42:43], s[40:41]
	s_wait_alu 0xfffe
	s_mul_hi_u32 s45, s40, s43
	s_mul_i32 s44, s40, s43
	s_mul_hi_u32 s18, s40, s42
	s_mul_i32 s29, s41, s42
	s_wait_alu 0xfffe
	s_add_nc_u64 s[44:45], s[18:19], s[44:45]
	s_mul_hi_u32 s2, s41, s42
	s_mul_hi_u32 s31, s41, s43
	s_wait_alu 0xfffe
	s_add_co_u32 s18, s44, s29
	s_add_co_ci_u32 s18, s45, s2
	s_mul_i32 s42, s41, s43
	s_add_co_ci_u32 s43, s31, 0
	s_wait_alu 0xfffe
	s_add_nc_u64 s[42:43], s[18:19], s[42:43]
	s_wait_alu 0xfffe
	s_add_co_u32 s2, s40, s42
	s_cselect_b32 s18, -1, 0
	s_wait_alu 0xfffe
	v_mul_hi_u32 v16, v5, s2
	s_cmp_lg_u32 s18, 0
	v_mad_co_u64_u32 v[12:13], null, v8, s2, 0
	s_add_co_ci_u32 s18, s41, s43
	s_wait_alu 0xfffe
	v_mad_co_u64_u32 v[10:11], null, v5, s18, 0
	v_mad_co_u64_u32 v[14:15], null, v8, s18, 0
	s_delay_alu instid0(VALU_DEP_2) | instskip(SKIP_1) | instid1(VALU_DEP_3)
	v_add_co_u32 v10, vcc_lo, v16, v10
	s_wait_alu 0xfffd
	v_add_co_ci_u32_e64 v11, null, 0, v11, vcc_lo
	s_delay_alu instid0(VALU_DEP_2) | instskip(SKIP_1) | instid1(VALU_DEP_2)
	v_add_co_u32 v10, vcc_lo, v10, v12
	s_wait_alu 0xfffd
	v_add_co_ci_u32_e32 v10, vcc_lo, v11, v13, vcc_lo
	s_wait_alu 0xfffd
	v_add_co_ci_u32_e32 v11, vcc_lo, 0, v15, vcc_lo
	s_delay_alu instid0(VALU_DEP_2) | instskip(SKIP_1) | instid1(VALU_DEP_2)
	v_add_co_u32 v12, vcc_lo, v10, v14
	s_wait_alu 0xfffd
	v_add_co_ci_u32_e64 v13, null, 0, v11, vcc_lo
	s_delay_alu instid0(VALU_DEP_2) | instskip(SKIP_1) | instid1(VALU_DEP_3)
	v_mul_lo_u32 v14, s39, v12
	v_mad_co_u64_u32 v[10:11], null, s38, v12, 0
	v_mul_lo_u32 v15, s38, v13
	s_delay_alu instid0(VALU_DEP_2) | instskip(NEXT) | instid1(VALU_DEP_2)
	v_sub_co_u32 v5, vcc_lo, v5, v10
	v_add3_u32 v11, v11, v15, v14
	s_delay_alu instid0(VALU_DEP_1) | instskip(SKIP_2) | instid1(VALU_DEP_2)
	v_sub_nc_u32_e32 v14, v8, v11
	s_wait_alu 0xfffd
	v_sub_co_ci_u32_e64 v8, null, v8, v11, vcc_lo
	v_subrev_co_ci_u32_e64 v10, null, s39, v14, vcc_lo
	v_add_co_u32 v14, s2, v12, 2
	s_wait_alu 0xf1ff
	v_add_co_ci_u32_e64 v15, null, 0, v13, s2
	v_sub_co_u32 v16, s2, v5, s38
	s_wait_alu 0xf1ff
	v_subrev_co_ci_u32_e64 v10, null, 0, v10, s2
	s_delay_alu instid0(VALU_DEP_2) | instskip(SKIP_2) | instid1(VALU_DEP_3)
	v_cmp_le_u32_e32 vcc_lo, s38, v16
	s_wait_alu 0xfffd
	v_cndmask_b32_e64 v11, 0, -1, vcc_lo
	v_cmp_le_u32_e32 vcc_lo, s39, v10
	s_wait_alu 0xfffd
	v_cndmask_b32_e64 v16, 0, -1, vcc_lo
	;; [unrolled: 3-line block ×4, first 2 shown]
	v_cmp_eq_u32_e32 vcc_lo, s39, v10
	s_wait_alu 0xfffd
	v_cndmask_b32_e32 v10, v16, v11, vcc_lo
	v_add_co_u32 v11, vcc_lo, v12, 1
	s_wait_alu 0xfffd
	v_add_co_ci_u32_e64 v16, null, 0, v13, vcc_lo
	v_cmp_eq_u32_e32 vcc_lo, s39, v8
	s_wait_alu 0xfffd
	v_cndmask_b32_e32 v5, v17, v5, vcc_lo
	v_cmp_ne_u32_e32 vcc_lo, 0, v10
	s_delay_alu instid0(VALU_DEP_2) | instskip(SKIP_3) | instid1(VALU_DEP_1)
	v_cmp_ne_u32_e64 s2, 0, v5
	s_wait_alu 0xfffd
	v_dual_cndmask_b32 v8, v16, v15 :: v_dual_cndmask_b32 v5, v11, v14
	s_wait_alu 0xf1ff
	v_cndmask_b32_e64 v8, v13, v8, s2
	s_delay_alu instid0(VALU_DEP_2) | instskip(NEXT) | instid1(VALU_DEP_2)
	v_cndmask_b32_e64 v5, v12, v5, s2
	v_xor_b32_e32 v8, v8, v3
	s_delay_alu instid0(VALU_DEP_2) | instskip(NEXT) | instid1(VALU_DEP_1)
	v_xor_b32_e32 v5, v5, v3
	v_sub_co_u32 v11, vcc_lo, v5, v3
	s_wait_alu 0xfffd
	s_delay_alu instid0(VALU_DEP_3)
	v_sub_co_ci_u32_e64 v12, null, v8, v3, vcc_lo
.LBB48_28:                              ;   in Loop: Header=BB48_22 Depth=2
	s_wait_alu 0xfffe
	s_and_not1_saveexec_b32 s2, s27
	s_cbranch_execz .LBB48_30
; %bb.29:                               ;   in Loop: Header=BB48_22 Depth=2
	v_cvt_f32_u32_e32 v3, s30
	s_sub_co_i32 s18, 0, s30
	v_mov_b32_e32 v12, v2
	s_delay_alu instid0(VALU_DEP_2) | instskip(NEXT) | instid1(TRANS32_DEP_1)
	v_rcp_iflag_f32_e32 v3, v3
	v_mul_f32_e32 v3, 0x4f7ffffe, v3
	s_delay_alu instid0(VALU_DEP_1) | instskip(SKIP_1) | instid1(VALU_DEP_1)
	v_cvt_u32_f32_e32 v3, v3
	s_wait_alu 0xfffe
	v_mul_lo_u32 v5, s18, v3
	s_delay_alu instid0(VALU_DEP_1) | instskip(NEXT) | instid1(VALU_DEP_1)
	v_mul_hi_u32 v5, v3, v5
	v_add_nc_u32_e32 v3, v3, v5
	s_delay_alu instid0(VALU_DEP_1) | instskip(NEXT) | instid1(VALU_DEP_1)
	v_mul_hi_u32 v3, v9, v3
	v_mul_lo_u32 v5, v3, s30
	s_delay_alu instid0(VALU_DEP_1) | instskip(NEXT) | instid1(VALU_DEP_1)
	v_sub_nc_u32_e32 v5, v9, v5
	v_subrev_nc_u32_e32 v10, s30, v5
	v_cmp_le_u32_e32 vcc_lo, s30, v5
	s_wait_alu 0xfffd
	s_delay_alu instid0(VALU_DEP_2) | instskip(NEXT) | instid1(VALU_DEP_1)
	v_dual_cndmask_b32 v5, v5, v10 :: v_dual_add_nc_u32 v8, 1, v3
	v_cndmask_b32_e32 v3, v3, v8, vcc_lo
	s_delay_alu instid0(VALU_DEP_2) | instskip(NEXT) | instid1(VALU_DEP_2)
	v_cmp_le_u32_e32 vcc_lo, s30, v5
	v_add_nc_u32_e32 v8, 1, v3
	s_wait_alu 0xfffd
	s_delay_alu instid0(VALU_DEP_1)
	v_cndmask_b32_e32 v11, v3, v8, vcc_lo
.LBB48_30:                              ;   in Loop: Header=BB48_22 Depth=2
	s_wait_alu 0xfffe
	s_or_b32 exec_lo, exec_lo, s2
	s_add_co_i32 s18, s26, 5
	s_add_nc_u64 s[36:37], s[0:1], s[36:37]
	s_wait_alu 0xfffe
	s_lshl_b64 s[38:39], s[18:19], 2
                                        ; implicit-def: $vgpr13_vgpr14
	s_mov_b32 s2, exec_lo
	s_wait_alu 0xfffe
	s_add_nc_u64 s[34:35], s[10:11], s[38:39]
	s_clause 0x1
	s_load_b32 s29, s[36:37], 0x6c
	s_load_b32 s34, s[34:35], 0x8
	s_wait_kmcnt 0x0
	s_ashr_i32 s35, s34, 31
	s_wait_alu 0xfffe
	v_or_b32_e32 v3, s35, v12
	s_delay_alu instid0(VALU_DEP_1)
	v_cmpx_ne_u64_e32 0, v[2:3]
	s_xor_b32 s27, exec_lo, s2
	s_cbranch_execz .LBB48_32
; %bb.31:                               ;   in Loop: Header=BB48_22 Depth=2
	s_ashr_i32 s36, s35, 31
	v_ashrrev_i32_e32 v3, 31, v12
	s_wait_alu 0xfffe
	s_mov_b32 s37, s36
	s_wait_alu 0xfffe
	s_add_nc_u64 s[40:41], s[34:35], s[36:37]
	v_add_co_u32 v5, vcc_lo, v11, v3
	s_wait_alu 0xfffe
	s_xor_b64 s[40:41], s[40:41], s[36:37]
	s_wait_alu 0xfffd
	v_add_co_ci_u32_e64 v8, null, v12, v3, vcc_lo
	s_wait_alu 0xfffe
	s_cvt_f32_u32 s2, s40
	s_cvt_f32_u32 s18, s41
	s_sub_nc_u64 s[44:45], 0, s[40:41]
	v_xor_b32_e32 v5, v5, v3
	v_xor_b32_e32 v8, v8, v3
	s_wait_alu 0xfffe
	s_fmamk_f32 s2, s18, 0x4f800000, s2
	v_xor_b32_e32 v3, s36, v3
	s_wait_alu 0xfffe
	s_delay_alu instid0(SALU_CYCLE_1) | instskip(NEXT) | instid1(TRANS32_DEP_1)
	v_s_rcp_f32 s2, s2
	s_mul_f32 s2, s2, 0x5f7ffffc
	s_wait_alu 0xfffe
	s_delay_alu instid0(SALU_CYCLE_2) | instskip(SKIP_1) | instid1(SALU_CYCLE_2)
	s_mul_f32 s18, s2, 0x2f800000
	s_wait_alu 0xfffe
	s_trunc_f32 s18, s18
	s_wait_alu 0xfffe
	s_delay_alu instid0(SALU_CYCLE_2) | instskip(SKIP_2) | instid1(SALU_CYCLE_1)
	s_fmamk_f32 s2, s18, 0xcf800000, s2
	s_cvt_u32_f32 s43, s18
	s_wait_alu 0xfffe
	s_cvt_u32_f32 s42, s2
	s_wait_alu 0xfffe
	s_delay_alu instid0(SALU_CYCLE_2)
	s_mul_u64 s[46:47], s[44:45], s[42:43]
	s_wait_alu 0xfffe
	s_mul_hi_u32 s49, s42, s47
	s_mul_i32 s48, s42, s47
	s_mul_hi_u32 s18, s42, s46
	s_mul_i32 s31, s43, s46
	s_wait_alu 0xfffe
	s_add_nc_u64 s[48:49], s[18:19], s[48:49]
	s_mul_hi_u32 s2, s43, s46
	s_mul_hi_u32 s35, s43, s47
	s_wait_alu 0xfffe
	s_add_co_u32 s18, s48, s31
	s_add_co_ci_u32 s18, s49, s2
	s_mul_i32 s46, s43, s47
	s_add_co_ci_u32 s47, s35, 0
	s_wait_alu 0xfffe
	s_add_nc_u64 s[46:47], s[18:19], s[46:47]
	s_wait_alu 0xfffe
	s_add_co_u32 s42, s42, s46
	s_cselect_b32 s2, -1, 0
	s_wait_alu 0xfffe
	s_cmp_lg_u32 s2, 0
	s_add_co_ci_u32 s43, s43, s47
	s_wait_alu 0xfffe
	s_mul_u64 s[44:45], s[44:45], s[42:43]
	s_wait_alu 0xfffe
	s_mul_hi_u32 s47, s42, s45
	s_mul_i32 s46, s42, s45
	s_mul_hi_u32 s18, s42, s44
	s_mul_i32 s31, s43, s44
	s_wait_alu 0xfffe
	s_add_nc_u64 s[46:47], s[18:19], s[46:47]
	s_mul_hi_u32 s2, s43, s44
	s_mul_hi_u32 s35, s43, s45
	s_wait_alu 0xfffe
	s_add_co_u32 s18, s46, s31
	s_add_co_ci_u32 s18, s47, s2
	s_mul_i32 s44, s43, s45
	s_add_co_ci_u32 s45, s35, 0
	s_wait_alu 0xfffe
	s_add_nc_u64 s[44:45], s[18:19], s[44:45]
	s_wait_alu 0xfffe
	s_add_co_u32 s2, s42, s44
	s_cselect_b32 s18, -1, 0
	s_wait_alu 0xfffe
	v_mul_hi_u32 v10, v5, s2
	s_cmp_lg_u32 s18, 0
	v_mad_co_u64_u32 v[14:15], null, v8, s2, 0
	s_add_co_ci_u32 s18, s43, s45
	s_wait_alu 0xfffe
	v_mad_co_u64_u32 v[12:13], null, v5, s18, 0
	v_mad_co_u64_u32 v[16:17], null, v8, s18, 0
	s_delay_alu instid0(VALU_DEP_2) | instskip(SKIP_1) | instid1(VALU_DEP_3)
	v_add_co_u32 v10, vcc_lo, v10, v12
	s_wait_alu 0xfffd
	v_add_co_ci_u32_e64 v12, null, 0, v13, vcc_lo
	s_delay_alu instid0(VALU_DEP_2) | instskip(SKIP_1) | instid1(VALU_DEP_2)
	v_add_co_u32 v10, vcc_lo, v10, v14
	s_wait_alu 0xfffd
	v_add_co_ci_u32_e32 v10, vcc_lo, v12, v15, vcc_lo
	s_wait_alu 0xfffd
	v_add_co_ci_u32_e32 v12, vcc_lo, 0, v17, vcc_lo
	s_delay_alu instid0(VALU_DEP_2) | instskip(SKIP_1) | instid1(VALU_DEP_2)
	v_add_co_u32 v10, vcc_lo, v10, v16
	s_wait_alu 0xfffd
	v_add_co_ci_u32_e64 v14, null, 0, v12, vcc_lo
	s_delay_alu instid0(VALU_DEP_2) | instskip(SKIP_1) | instid1(VALU_DEP_3)
	v_mul_lo_u32 v15, s41, v10
	v_mad_co_u64_u32 v[12:13], null, s40, v10, 0
	v_mul_lo_u32 v16, s40, v14
	s_delay_alu instid0(VALU_DEP_2) | instskip(NEXT) | instid1(VALU_DEP_2)
	v_sub_co_u32 v5, vcc_lo, v5, v12
	v_add3_u32 v13, v13, v16, v15
	s_delay_alu instid0(VALU_DEP_1) | instskip(SKIP_2) | instid1(VALU_DEP_2)
	v_sub_nc_u32_e32 v15, v8, v13
	s_wait_alu 0xfffd
	v_sub_co_ci_u32_e64 v8, null, v8, v13, vcc_lo
	v_subrev_co_ci_u32_e64 v12, null, s41, v15, vcc_lo
	v_add_co_u32 v15, s2, v10, 2
	s_wait_alu 0xf1ff
	v_add_co_ci_u32_e64 v16, null, 0, v14, s2
	v_sub_co_u32 v17, s2, v5, s40
	s_wait_alu 0xf1ff
	v_subrev_co_ci_u32_e64 v12, null, 0, v12, s2
	s_delay_alu instid0(VALU_DEP_2) | instskip(SKIP_2) | instid1(VALU_DEP_3)
	v_cmp_le_u32_e32 vcc_lo, s40, v17
	s_wait_alu 0xfffd
	v_cndmask_b32_e64 v13, 0, -1, vcc_lo
	v_cmp_le_u32_e32 vcc_lo, s41, v12
	s_wait_alu 0xfffd
	v_cndmask_b32_e64 v17, 0, -1, vcc_lo
	;; [unrolled: 3-line block ×4, first 2 shown]
	v_cmp_eq_u32_e32 vcc_lo, s41, v12
	s_wait_alu 0xfffd
	v_cndmask_b32_e32 v12, v17, v13, vcc_lo
	v_add_co_u32 v13, vcc_lo, v10, 1
	s_wait_alu 0xfffd
	v_add_co_ci_u32_e64 v17, null, 0, v14, vcc_lo
	v_cmp_eq_u32_e32 vcc_lo, s41, v8
	s_wait_alu 0xfffd
	v_cndmask_b32_e32 v5, v18, v5, vcc_lo
	v_cmp_ne_u32_e32 vcc_lo, 0, v12
	s_wait_alu 0xfffd
	v_cndmask_b32_e32 v8, v17, v16, vcc_lo
	s_delay_alu instid0(VALU_DEP_3) | instskip(SKIP_2) | instid1(VALU_DEP_2)
	v_cmp_ne_u32_e64 s2, 0, v5
	v_cndmask_b32_e32 v5, v13, v15, vcc_lo
	s_wait_alu 0xf1ff
	v_cndmask_b32_e64 v8, v14, v8, s2
	s_delay_alu instid0(VALU_DEP_2) | instskip(NEXT) | instid1(VALU_DEP_2)
	v_cndmask_b32_e64 v5, v10, v5, s2
	v_xor_b32_e32 v8, v8, v3
	s_delay_alu instid0(VALU_DEP_2) | instskip(NEXT) | instid1(VALU_DEP_1)
	v_xor_b32_e32 v5, v5, v3
	v_sub_co_u32 v13, vcc_lo, v5, v3
	s_wait_alu 0xfffd
	s_delay_alu instid0(VALU_DEP_3)
	v_sub_co_ci_u32_e64 v14, null, v8, v3, vcc_lo
.LBB48_32:                              ;   in Loop: Header=BB48_22 Depth=2
	s_wait_alu 0xfffe
	s_and_not1_saveexec_b32 s2, s27
	s_cbranch_execz .LBB48_34
; %bb.33:                               ;   in Loop: Header=BB48_22 Depth=2
	v_cvt_f32_u32_e32 v3, s34
	s_sub_co_i32 s18, 0, s34
	v_mov_b32_e32 v14, v2
	s_delay_alu instid0(VALU_DEP_2) | instskip(NEXT) | instid1(TRANS32_DEP_1)
	v_rcp_iflag_f32_e32 v3, v3
	v_mul_f32_e32 v3, 0x4f7ffffe, v3
	s_delay_alu instid0(VALU_DEP_1) | instskip(SKIP_1) | instid1(VALU_DEP_1)
	v_cvt_u32_f32_e32 v3, v3
	s_wait_alu 0xfffe
	v_mul_lo_u32 v5, s18, v3
	s_delay_alu instid0(VALU_DEP_1) | instskip(NEXT) | instid1(VALU_DEP_1)
	v_mul_hi_u32 v5, v3, v5
	v_add_nc_u32_e32 v3, v3, v5
	s_delay_alu instid0(VALU_DEP_1) | instskip(NEXT) | instid1(VALU_DEP_1)
	v_mul_hi_u32 v3, v11, v3
	v_mul_lo_u32 v5, v3, s34
	s_delay_alu instid0(VALU_DEP_1) | instskip(NEXT) | instid1(VALU_DEP_1)
	v_sub_nc_u32_e32 v5, v11, v5
	v_subrev_nc_u32_e32 v10, s34, v5
	v_cmp_le_u32_e32 vcc_lo, s34, v5
	s_wait_alu 0xfffd
	s_delay_alu instid0(VALU_DEP_2) | instskip(NEXT) | instid1(VALU_DEP_1)
	v_dual_cndmask_b32 v5, v5, v10 :: v_dual_add_nc_u32 v8, 1, v3
	v_cndmask_b32_e32 v3, v3, v8, vcc_lo
	s_delay_alu instid0(VALU_DEP_2) | instskip(NEXT) | instid1(VALU_DEP_2)
	v_cmp_le_u32_e32 vcc_lo, s34, v5
	v_add_nc_u32_e32 v8, 1, v3
	s_wait_alu 0xfffd
	s_delay_alu instid0(VALU_DEP_1)
	v_cndmask_b32_e32 v13, v3, v8, vcc_lo
.LBB48_34:                              ;   in Loop: Header=BB48_22 Depth=2
	s_wait_alu 0xfffe
	s_or_b32 exec_lo, exec_lo, s2
	s_add_co_i32 s18, s26, 4
	s_add_nc_u64 s[38:39], s[0:1], s[38:39]
	s_wait_alu 0xfffe
	s_lshl_b64 s[40:41], s[18:19], 2
                                        ; implicit-def: $vgpr15_vgpr16
	s_mov_b32 s2, exec_lo
	s_wait_alu 0xfffe
	s_add_nc_u64 s[36:37], s[10:11], s[40:41]
	s_clause 0x1
	s_load_b32 s31, s[38:39], 0x6c
	s_load_b32 s36, s[36:37], 0x8
	s_wait_kmcnt 0x0
	s_ashr_i32 s37, s36, 31
	s_wait_alu 0xfffe
	v_or_b32_e32 v3, s37, v14
	s_delay_alu instid0(VALU_DEP_1)
	v_cmpx_ne_u64_e32 0, v[2:3]
	s_xor_b32 s27, exec_lo, s2
	s_cbranch_execz .LBB48_36
; %bb.35:                               ;   in Loop: Header=BB48_22 Depth=2
	s_ashr_i32 s38, s37, 31
	v_ashrrev_i32_e32 v3, 31, v14
	s_wait_alu 0xfffe
	s_mov_b32 s39, s38
	s_wait_alu 0xfffe
	s_add_nc_u64 s[42:43], s[36:37], s[38:39]
	v_add_co_u32 v5, vcc_lo, v13, v3
	s_wait_alu 0xfffe
	s_xor_b64 s[42:43], s[42:43], s[38:39]
	s_wait_alu 0xfffd
	v_add_co_ci_u32_e64 v8, null, v14, v3, vcc_lo
	s_wait_alu 0xfffe
	s_cvt_f32_u32 s2, s42
	s_cvt_f32_u32 s18, s43
	s_sub_nc_u64 s[46:47], 0, s[42:43]
	v_xor_b32_e32 v5, v5, v3
	v_xor_b32_e32 v8, v8, v3
	s_wait_alu 0xfffe
	s_fmamk_f32 s2, s18, 0x4f800000, s2
	v_xor_b32_e32 v3, s38, v3
	s_wait_alu 0xfffe
	s_delay_alu instid0(SALU_CYCLE_1) | instskip(NEXT) | instid1(TRANS32_DEP_1)
	v_s_rcp_f32 s2, s2
	s_mul_f32 s2, s2, 0x5f7ffffc
	s_wait_alu 0xfffe
	s_delay_alu instid0(SALU_CYCLE_2) | instskip(SKIP_1) | instid1(SALU_CYCLE_2)
	s_mul_f32 s18, s2, 0x2f800000
	s_wait_alu 0xfffe
	s_trunc_f32 s18, s18
	s_wait_alu 0xfffe
	s_delay_alu instid0(SALU_CYCLE_2) | instskip(SKIP_2) | instid1(SALU_CYCLE_1)
	s_fmamk_f32 s2, s18, 0xcf800000, s2
	s_cvt_u32_f32 s45, s18
	s_wait_alu 0xfffe
	s_cvt_u32_f32 s44, s2
	s_wait_alu 0xfffe
	s_delay_alu instid0(SALU_CYCLE_2)
	s_mul_u64 s[48:49], s[46:47], s[44:45]
	s_wait_alu 0xfffe
	s_mul_hi_u32 s51, s44, s49
	s_mul_i32 s50, s44, s49
	s_mul_hi_u32 s18, s44, s48
	s_mul_i32 s35, s45, s48
	s_wait_alu 0xfffe
	s_add_nc_u64 s[50:51], s[18:19], s[50:51]
	s_mul_hi_u32 s2, s45, s48
	s_mul_hi_u32 s37, s45, s49
	s_wait_alu 0xfffe
	s_add_co_u32 s18, s50, s35
	s_add_co_ci_u32 s18, s51, s2
	s_mul_i32 s48, s45, s49
	s_add_co_ci_u32 s49, s37, 0
	s_wait_alu 0xfffe
	s_add_nc_u64 s[48:49], s[18:19], s[48:49]
	s_wait_alu 0xfffe
	s_add_co_u32 s44, s44, s48
	s_cselect_b32 s2, -1, 0
	s_wait_alu 0xfffe
	s_cmp_lg_u32 s2, 0
	s_add_co_ci_u32 s45, s45, s49
	s_wait_alu 0xfffe
	s_mul_u64 s[46:47], s[46:47], s[44:45]
	s_wait_alu 0xfffe
	s_mul_hi_u32 s49, s44, s47
	s_mul_i32 s48, s44, s47
	s_mul_hi_u32 s18, s44, s46
	s_mul_i32 s35, s45, s46
	s_wait_alu 0xfffe
	s_add_nc_u64 s[48:49], s[18:19], s[48:49]
	s_mul_hi_u32 s2, s45, s46
	s_mul_hi_u32 s37, s45, s47
	s_wait_alu 0xfffe
	s_add_co_u32 s18, s48, s35
	s_add_co_ci_u32 s18, s49, s2
	s_mul_i32 s46, s45, s47
	s_add_co_ci_u32 s47, s37, 0
	s_wait_alu 0xfffe
	s_add_nc_u64 s[46:47], s[18:19], s[46:47]
	s_wait_alu 0xfffe
	s_add_co_u32 s2, s44, s46
	s_cselect_b32 s18, -1, 0
	s_wait_alu 0xfffe
	v_mul_hi_u32 v10, v5, s2
	s_cmp_lg_u32 s18, 0
	v_mad_co_u64_u32 v[16:17], null, v8, s2, 0
	s_add_co_ci_u32 s18, s45, s47
	s_wait_alu 0xfffe
	v_mad_co_u64_u32 v[14:15], null, v5, s18, 0
	v_mad_co_u64_u32 v[18:19], null, v8, s18, 0
	s_delay_alu instid0(VALU_DEP_2) | instskip(SKIP_1) | instid1(VALU_DEP_3)
	v_add_co_u32 v10, vcc_lo, v10, v14
	s_wait_alu 0xfffd
	v_add_co_ci_u32_e64 v12, null, 0, v15, vcc_lo
	s_delay_alu instid0(VALU_DEP_2) | instskip(SKIP_1) | instid1(VALU_DEP_2)
	v_add_co_u32 v10, vcc_lo, v10, v16
	s_wait_alu 0xfffd
	v_add_co_ci_u32_e32 v10, vcc_lo, v12, v17, vcc_lo
	s_wait_alu 0xfffd
	v_add_co_ci_u32_e32 v12, vcc_lo, 0, v19, vcc_lo
	s_delay_alu instid0(VALU_DEP_2) | instskip(SKIP_1) | instid1(VALU_DEP_2)
	v_add_co_u32 v10, vcc_lo, v10, v18
	s_wait_alu 0xfffd
	v_add_co_ci_u32_e64 v12, null, 0, v12, vcc_lo
	s_delay_alu instid0(VALU_DEP_2) | instskip(SKIP_1) | instid1(VALU_DEP_3)
	v_mul_lo_u32 v16, s43, v10
	v_mad_co_u64_u32 v[14:15], null, s42, v10, 0
	v_mul_lo_u32 v17, s42, v12
	s_delay_alu instid0(VALU_DEP_2) | instskip(NEXT) | instid1(VALU_DEP_2)
	v_sub_co_u32 v5, vcc_lo, v5, v14
	v_add3_u32 v15, v15, v17, v16
	s_delay_alu instid0(VALU_DEP_1) | instskip(SKIP_2) | instid1(VALU_DEP_2)
	v_sub_nc_u32_e32 v16, v8, v15
	s_wait_alu 0xfffd
	v_sub_co_ci_u32_e64 v8, null, v8, v15, vcc_lo
	v_subrev_co_ci_u32_e64 v14, null, s43, v16, vcc_lo
	v_add_co_u32 v16, s2, v10, 2
	s_wait_alu 0xf1ff
	v_add_co_ci_u32_e64 v17, null, 0, v12, s2
	v_sub_co_u32 v18, s2, v5, s42
	s_wait_alu 0xf1ff
	v_subrev_co_ci_u32_e64 v14, null, 0, v14, s2
	s_delay_alu instid0(VALU_DEP_2) | instskip(SKIP_2) | instid1(VALU_DEP_3)
	v_cmp_le_u32_e32 vcc_lo, s42, v18
	s_wait_alu 0xfffd
	v_cndmask_b32_e64 v15, 0, -1, vcc_lo
	v_cmp_le_u32_e32 vcc_lo, s43, v14
	s_wait_alu 0xfffd
	v_cndmask_b32_e64 v18, 0, -1, vcc_lo
	;; [unrolled: 3-line block ×4, first 2 shown]
	v_cmp_eq_u32_e32 vcc_lo, s43, v14
	s_wait_alu 0xfffd
	v_cndmask_b32_e32 v14, v18, v15, vcc_lo
	v_add_co_u32 v15, vcc_lo, v10, 1
	s_wait_alu 0xfffd
	v_add_co_ci_u32_e64 v18, null, 0, v12, vcc_lo
	v_cmp_eq_u32_e32 vcc_lo, s43, v8
	s_wait_alu 0xfffd
	v_cndmask_b32_e32 v5, v19, v5, vcc_lo
	v_cmp_ne_u32_e32 vcc_lo, 0, v14
	s_delay_alu instid0(VALU_DEP_2) | instskip(SKIP_3) | instid1(VALU_DEP_1)
	v_cmp_ne_u32_e64 s2, 0, v5
	s_wait_alu 0xfffd
	v_dual_cndmask_b32 v8, v18, v17 :: v_dual_cndmask_b32 v5, v15, v16
	s_wait_alu 0xf1ff
	v_cndmask_b32_e64 v8, v12, v8, s2
	s_delay_alu instid0(VALU_DEP_2) | instskip(NEXT) | instid1(VALU_DEP_2)
	v_cndmask_b32_e64 v5, v10, v5, s2
	v_xor_b32_e32 v8, v8, v3
	s_delay_alu instid0(VALU_DEP_2) | instskip(NEXT) | instid1(VALU_DEP_1)
	v_xor_b32_e32 v5, v5, v3
	v_sub_co_u32 v15, vcc_lo, v5, v3
	s_wait_alu 0xfffd
	s_delay_alu instid0(VALU_DEP_3)
	v_sub_co_ci_u32_e64 v16, null, v8, v3, vcc_lo
.LBB48_36:                              ;   in Loop: Header=BB48_22 Depth=2
	s_wait_alu 0xfffe
	s_and_not1_saveexec_b32 s2, s27
	s_cbranch_execz .LBB48_38
; %bb.37:                               ;   in Loop: Header=BB48_22 Depth=2
	v_cvt_f32_u32_e32 v3, s36
	s_sub_co_i32 s18, 0, s36
	v_mov_b32_e32 v16, v2
	s_delay_alu instid0(VALU_DEP_2) | instskip(NEXT) | instid1(TRANS32_DEP_1)
	v_rcp_iflag_f32_e32 v3, v3
	v_mul_f32_e32 v3, 0x4f7ffffe, v3
	s_delay_alu instid0(VALU_DEP_1) | instskip(SKIP_1) | instid1(VALU_DEP_1)
	v_cvt_u32_f32_e32 v3, v3
	s_wait_alu 0xfffe
	v_mul_lo_u32 v5, s18, v3
	s_delay_alu instid0(VALU_DEP_1) | instskip(NEXT) | instid1(VALU_DEP_1)
	v_mul_hi_u32 v5, v3, v5
	v_add_nc_u32_e32 v3, v3, v5
	s_delay_alu instid0(VALU_DEP_1) | instskip(NEXT) | instid1(VALU_DEP_1)
	v_mul_hi_u32 v3, v13, v3
	v_mul_lo_u32 v5, v3, s36
	s_delay_alu instid0(VALU_DEP_1) | instskip(NEXT) | instid1(VALU_DEP_1)
	v_sub_nc_u32_e32 v5, v13, v5
	v_subrev_nc_u32_e32 v10, s36, v5
	v_cmp_le_u32_e32 vcc_lo, s36, v5
	s_wait_alu 0xfffd
	s_delay_alu instid0(VALU_DEP_2) | instskip(NEXT) | instid1(VALU_DEP_1)
	v_dual_cndmask_b32 v5, v5, v10 :: v_dual_add_nc_u32 v8, 1, v3
	v_cndmask_b32_e32 v3, v3, v8, vcc_lo
	s_delay_alu instid0(VALU_DEP_2) | instskip(NEXT) | instid1(VALU_DEP_2)
	v_cmp_le_u32_e32 vcc_lo, s36, v5
	v_add_nc_u32_e32 v8, 1, v3
	s_wait_alu 0xfffd
	s_delay_alu instid0(VALU_DEP_1)
	v_cndmask_b32_e32 v15, v3, v8, vcc_lo
.LBB48_38:                              ;   in Loop: Header=BB48_22 Depth=2
	s_wait_alu 0xfffe
	s_or_b32 exec_lo, exec_lo, s2
	s_add_co_i32 s18, s26, 3
	s_add_nc_u64 s[40:41], s[0:1], s[40:41]
	s_wait_alu 0xfffe
	s_lshl_b64 s[42:43], s[18:19], 2
                                        ; implicit-def: $vgpr17_vgpr18
	s_mov_b32 s2, exec_lo
	s_wait_alu 0xfffe
	s_add_nc_u64 s[38:39], s[10:11], s[42:43]
	s_clause 0x1
	s_load_b32 s35, s[40:41], 0x6c
	s_load_b32 s38, s[38:39], 0x8
	s_wait_kmcnt 0x0
	s_ashr_i32 s39, s38, 31
	s_wait_alu 0xfffe
	v_or_b32_e32 v3, s39, v16
	s_delay_alu instid0(VALU_DEP_1)
	v_cmpx_ne_u64_e32 0, v[2:3]
	s_xor_b32 s27, exec_lo, s2
	s_cbranch_execz .LBB48_40
; %bb.39:                               ;   in Loop: Header=BB48_22 Depth=2
	s_ashr_i32 s40, s39, 31
	v_ashrrev_i32_e32 v3, 31, v16
	s_wait_alu 0xfffe
	s_mov_b32 s41, s40
	s_wait_alu 0xfffe
	s_add_nc_u64 s[44:45], s[38:39], s[40:41]
	v_add_co_u32 v5, vcc_lo, v15, v3
	s_wait_alu 0xfffe
	s_xor_b64 s[44:45], s[44:45], s[40:41]
	s_wait_alu 0xfffd
	v_add_co_ci_u32_e64 v8, null, v16, v3, vcc_lo
	s_wait_alu 0xfffe
	s_cvt_f32_u32 s2, s44
	s_cvt_f32_u32 s18, s45
	s_sub_nc_u64 s[48:49], 0, s[44:45]
	v_xor_b32_e32 v5, v5, v3
	v_xor_b32_e32 v8, v8, v3
	s_wait_alu 0xfffe
	s_fmamk_f32 s2, s18, 0x4f800000, s2
	v_xor_b32_e32 v3, s40, v3
	s_wait_alu 0xfffe
	s_delay_alu instid0(SALU_CYCLE_1) | instskip(NEXT) | instid1(TRANS32_DEP_1)
	v_s_rcp_f32 s2, s2
	s_mul_f32 s2, s2, 0x5f7ffffc
	s_wait_alu 0xfffe
	s_delay_alu instid0(SALU_CYCLE_2) | instskip(SKIP_1) | instid1(SALU_CYCLE_2)
	s_mul_f32 s18, s2, 0x2f800000
	s_wait_alu 0xfffe
	s_trunc_f32 s18, s18
	s_wait_alu 0xfffe
	s_delay_alu instid0(SALU_CYCLE_2) | instskip(SKIP_2) | instid1(SALU_CYCLE_1)
	s_fmamk_f32 s2, s18, 0xcf800000, s2
	s_cvt_u32_f32 s47, s18
	s_wait_alu 0xfffe
	s_cvt_u32_f32 s46, s2
	s_wait_alu 0xfffe
	s_delay_alu instid0(SALU_CYCLE_2)
	s_mul_u64 s[50:51], s[48:49], s[46:47]
	s_wait_alu 0xfffe
	s_mul_hi_u32 s59, s46, s51
	s_mul_i32 s58, s46, s51
	s_mul_hi_u32 s18, s46, s50
	s_mul_i32 s37, s47, s50
	s_wait_alu 0xfffe
	s_add_nc_u64 s[58:59], s[18:19], s[58:59]
	s_mul_hi_u32 s2, s47, s50
	s_mul_hi_u32 s39, s47, s51
	s_add_co_u32 s18, s58, s37
	s_wait_alu 0xfffe
	s_add_co_ci_u32 s18, s59, s2
	s_mul_i32 s50, s47, s51
	s_add_co_ci_u32 s51, s39, 0
	s_wait_alu 0xfffe
	s_add_nc_u64 s[50:51], s[18:19], s[50:51]
	s_wait_alu 0xfffe
	s_add_co_u32 s46, s46, s50
	s_cselect_b32 s2, -1, 0
	s_wait_alu 0xfffe
	s_cmp_lg_u32 s2, 0
	s_add_co_ci_u32 s47, s47, s51
	s_wait_alu 0xfffe
	s_mul_u64 s[48:49], s[48:49], s[46:47]
	s_wait_alu 0xfffe
	s_mul_hi_u32 s51, s46, s49
	s_mul_i32 s50, s46, s49
	s_mul_hi_u32 s18, s46, s48
	s_mul_i32 s37, s47, s48
	s_wait_alu 0xfffe
	s_add_nc_u64 s[50:51], s[18:19], s[50:51]
	s_mul_hi_u32 s2, s47, s48
	s_mul_hi_u32 s39, s47, s49
	s_wait_alu 0xfffe
	s_add_co_u32 s18, s50, s37
	s_add_co_ci_u32 s18, s51, s2
	s_mul_i32 s48, s47, s49
	s_add_co_ci_u32 s49, s39, 0
	s_wait_alu 0xfffe
	s_add_nc_u64 s[48:49], s[18:19], s[48:49]
	s_wait_alu 0xfffe
	s_add_co_u32 s2, s46, s48
	s_cselect_b32 s18, -1, 0
	s_wait_alu 0xfffe
	v_mul_hi_u32 v10, v5, s2
	s_cmp_lg_u32 s18, 0
	v_mad_co_u64_u32 v[18:19], null, v8, s2, 0
	s_add_co_ci_u32 s18, s47, s49
	s_wait_alu 0xfffe
	v_mad_co_u64_u32 v[16:17], null, v5, s18, 0
	v_mad_co_u64_u32 v[20:21], null, v8, s18, 0
	s_delay_alu instid0(VALU_DEP_2) | instskip(SKIP_1) | instid1(VALU_DEP_3)
	v_add_co_u32 v10, vcc_lo, v10, v16
	s_wait_alu 0xfffd
	v_add_co_ci_u32_e64 v12, null, 0, v17, vcc_lo
	s_delay_alu instid0(VALU_DEP_2) | instskip(SKIP_1) | instid1(VALU_DEP_2)
	v_add_co_u32 v10, vcc_lo, v10, v18
	s_wait_alu 0xfffd
	v_add_co_ci_u32_e32 v10, vcc_lo, v12, v19, vcc_lo
	s_wait_alu 0xfffd
	v_add_co_ci_u32_e32 v12, vcc_lo, 0, v21, vcc_lo
	s_delay_alu instid0(VALU_DEP_2) | instskip(SKIP_1) | instid1(VALU_DEP_2)
	v_add_co_u32 v10, vcc_lo, v10, v20
	s_wait_alu 0xfffd
	v_add_co_ci_u32_e64 v12, null, 0, v12, vcc_lo
	s_delay_alu instid0(VALU_DEP_2) | instskip(SKIP_1) | instid1(VALU_DEP_3)
	v_mul_lo_u32 v14, s45, v10
	v_mad_co_u64_u32 v[16:17], null, s44, v10, 0
	v_mul_lo_u32 v18, s44, v12
	s_delay_alu instid0(VALU_DEP_2) | instskip(NEXT) | instid1(VALU_DEP_2)
	v_sub_co_u32 v5, vcc_lo, v5, v16
	v_add3_u32 v14, v17, v18, v14
	s_delay_alu instid0(VALU_DEP_1) | instskip(SKIP_2) | instid1(VALU_DEP_2)
	v_sub_nc_u32_e32 v17, v8, v14
	s_wait_alu 0xfffd
	v_sub_co_ci_u32_e64 v8, null, v8, v14, vcc_lo
	v_subrev_co_ci_u32_e64 v16, null, s45, v17, vcc_lo
	v_add_co_u32 v17, s2, v10, 2
	s_wait_alu 0xf1ff
	v_add_co_ci_u32_e64 v18, null, 0, v12, s2
	v_sub_co_u32 v19, s2, v5, s44
	s_wait_alu 0xf1ff
	v_subrev_co_ci_u32_e64 v16, null, 0, v16, s2
	s_delay_alu instid0(VALU_DEP_2) | instskip(SKIP_2) | instid1(VALU_DEP_3)
	v_cmp_le_u32_e32 vcc_lo, s44, v19
	s_wait_alu 0xfffd
	v_cndmask_b32_e64 v14, 0, -1, vcc_lo
	v_cmp_le_u32_e32 vcc_lo, s45, v16
	s_wait_alu 0xfffd
	v_cndmask_b32_e64 v19, 0, -1, vcc_lo
	;; [unrolled: 3-line block ×4, first 2 shown]
	v_cmp_eq_u32_e32 vcc_lo, s45, v16
	s_wait_alu 0xfffd
	v_cndmask_b32_e32 v14, v19, v14, vcc_lo
	v_add_co_u32 v16, vcc_lo, v10, 1
	s_wait_alu 0xfffd
	v_add_co_ci_u32_e64 v19, null, 0, v12, vcc_lo
	v_cmp_eq_u32_e32 vcc_lo, s45, v8
	s_wait_alu 0xfffd
	v_cndmask_b32_e32 v5, v20, v5, vcc_lo
	v_cmp_ne_u32_e32 vcc_lo, 0, v14
	s_delay_alu instid0(VALU_DEP_2) | instskip(SKIP_3) | instid1(VALU_DEP_1)
	v_cmp_ne_u32_e64 s2, 0, v5
	s_wait_alu 0xfffd
	v_dual_cndmask_b32 v8, v19, v18 :: v_dual_cndmask_b32 v5, v16, v17
	s_wait_alu 0xf1ff
	v_cndmask_b32_e64 v8, v12, v8, s2
	s_delay_alu instid0(VALU_DEP_2) | instskip(NEXT) | instid1(VALU_DEP_2)
	v_cndmask_b32_e64 v5, v10, v5, s2
	v_xor_b32_e32 v8, v8, v3
	s_delay_alu instid0(VALU_DEP_2) | instskip(NEXT) | instid1(VALU_DEP_1)
	v_xor_b32_e32 v5, v5, v3
	v_sub_co_u32 v17, vcc_lo, v5, v3
	s_wait_alu 0xfffd
	s_delay_alu instid0(VALU_DEP_3)
	v_sub_co_ci_u32_e64 v18, null, v8, v3, vcc_lo
.LBB48_40:                              ;   in Loop: Header=BB48_22 Depth=2
	s_wait_alu 0xfffe
	s_and_not1_saveexec_b32 s2, s27
	s_cbranch_execz .LBB48_42
; %bb.41:                               ;   in Loop: Header=BB48_22 Depth=2
	v_cvt_f32_u32_e32 v3, s38
	s_sub_co_i32 s18, 0, s38
	v_mov_b32_e32 v18, v2
	s_delay_alu instid0(VALU_DEP_2) | instskip(NEXT) | instid1(TRANS32_DEP_1)
	v_rcp_iflag_f32_e32 v3, v3
	v_mul_f32_e32 v3, 0x4f7ffffe, v3
	s_delay_alu instid0(VALU_DEP_1) | instskip(SKIP_1) | instid1(VALU_DEP_1)
	v_cvt_u32_f32_e32 v3, v3
	s_wait_alu 0xfffe
	v_mul_lo_u32 v5, s18, v3
	s_delay_alu instid0(VALU_DEP_1) | instskip(NEXT) | instid1(VALU_DEP_1)
	v_mul_hi_u32 v5, v3, v5
	v_add_nc_u32_e32 v3, v3, v5
	s_delay_alu instid0(VALU_DEP_1) | instskip(NEXT) | instid1(VALU_DEP_1)
	v_mul_hi_u32 v3, v15, v3
	v_mul_lo_u32 v5, v3, s38
	s_delay_alu instid0(VALU_DEP_1) | instskip(NEXT) | instid1(VALU_DEP_1)
	v_sub_nc_u32_e32 v5, v15, v5
	v_subrev_nc_u32_e32 v10, s38, v5
	v_cmp_le_u32_e32 vcc_lo, s38, v5
	s_wait_alu 0xfffd
	s_delay_alu instid0(VALU_DEP_2) | instskip(NEXT) | instid1(VALU_DEP_1)
	v_dual_cndmask_b32 v5, v5, v10 :: v_dual_add_nc_u32 v8, 1, v3
	v_cndmask_b32_e32 v3, v3, v8, vcc_lo
	s_delay_alu instid0(VALU_DEP_2) | instskip(NEXT) | instid1(VALU_DEP_2)
	v_cmp_le_u32_e32 vcc_lo, s38, v5
	v_add_nc_u32_e32 v8, 1, v3
	s_wait_alu 0xfffd
	s_delay_alu instid0(VALU_DEP_1)
	v_cndmask_b32_e32 v17, v3, v8, vcc_lo
.LBB48_42:                              ;   in Loop: Header=BB48_22 Depth=2
	s_wait_alu 0xfffe
	s_or_b32 exec_lo, exec_lo, s2
	s_add_co_i32 s18, s26, 2
	s_add_nc_u64 s[42:43], s[0:1], s[42:43]
	s_wait_alu 0xfffe
	s_lshl_b64 s[44:45], s[18:19], 2
                                        ; implicit-def: $vgpr19_vgpr20
	s_mov_b32 s2, exec_lo
	s_wait_alu 0xfffe
	s_add_nc_u64 s[40:41], s[10:11], s[44:45]
	s_clause 0x1
	s_load_b32 s37, s[42:43], 0x6c
	s_load_b32 s40, s[40:41], 0x8
	s_wait_kmcnt 0x0
	s_ashr_i32 s41, s40, 31
	s_wait_alu 0xfffe
	v_or_b32_e32 v3, s41, v18
	s_delay_alu instid0(VALU_DEP_1)
	v_cmpx_ne_u64_e32 0, v[2:3]
	s_xor_b32 s27, exec_lo, s2
	s_cbranch_execz .LBB48_44
; %bb.43:                               ;   in Loop: Header=BB48_22 Depth=2
	s_ashr_i32 s42, s41, 31
	v_ashrrev_i32_e32 v3, 31, v18
	s_wait_alu 0xfffe
	s_mov_b32 s43, s42
	s_wait_alu 0xfffe
	s_add_nc_u64 s[46:47], s[40:41], s[42:43]
	v_add_co_u32 v5, vcc_lo, v17, v3
	s_wait_alu 0xfffe
	s_xor_b64 s[46:47], s[46:47], s[42:43]
	s_wait_alu 0xfffd
	v_add_co_ci_u32_e64 v8, null, v18, v3, vcc_lo
	s_wait_alu 0xfffe
	s_cvt_f32_u32 s2, s46
	s_cvt_f32_u32 s18, s47
	s_sub_nc_u64 s[50:51], 0, s[46:47]
	v_xor_b32_e32 v5, v5, v3
	v_xor_b32_e32 v8, v8, v3
	s_wait_alu 0xfffe
	s_fmamk_f32 s2, s18, 0x4f800000, s2
	v_xor_b32_e32 v3, s42, v3
	s_wait_alu 0xfffe
	s_delay_alu instid0(SALU_CYCLE_1) | instskip(NEXT) | instid1(TRANS32_DEP_1)
	v_s_rcp_f32 s2, s2
	s_mul_f32 s2, s2, 0x5f7ffffc
	s_wait_alu 0xfffe
	s_delay_alu instid0(SALU_CYCLE_2) | instskip(SKIP_1) | instid1(SALU_CYCLE_2)
	s_mul_f32 s18, s2, 0x2f800000
	s_wait_alu 0xfffe
	s_trunc_f32 s18, s18
	s_wait_alu 0xfffe
	s_delay_alu instid0(SALU_CYCLE_2) | instskip(SKIP_2) | instid1(SALU_CYCLE_1)
	s_fmamk_f32 s2, s18, 0xcf800000, s2
	s_cvt_u32_f32 s49, s18
	s_wait_alu 0xfffe
	s_cvt_u32_f32 s48, s2
	s_wait_alu 0xfffe
	s_delay_alu instid0(SALU_CYCLE_2) | instskip(NEXT) | instid1(SALU_CYCLE_1)
	s_mul_u64 s[58:59], s[50:51], s[48:49]
	s_mul_hi_u32 s61, s48, s59
	s_mul_i32 s60, s48, s59
	s_mul_hi_u32 s18, s48, s58
	s_mul_i32 s39, s49, s58
	s_wait_alu 0xfffe
	s_add_nc_u64 s[60:61], s[18:19], s[60:61]
	s_mul_hi_u32 s2, s49, s58
	s_mul_hi_u32 s41, s49, s59
	s_add_co_u32 s18, s60, s39
	s_wait_alu 0xfffe
	s_add_co_ci_u32 s18, s61, s2
	s_mul_i32 s58, s49, s59
	s_add_co_ci_u32 s59, s41, 0
	s_wait_alu 0xfffe
	s_add_nc_u64 s[58:59], s[18:19], s[58:59]
	s_delay_alu instid0(SALU_CYCLE_1)
	s_add_co_u32 s48, s48, s58
	s_cselect_b32 s2, -1, 0
	s_wait_alu 0xfffe
	s_cmp_lg_u32 s2, 0
	s_add_co_ci_u32 s49, s49, s59
	s_wait_alu 0xfffe
	s_mul_u64 s[50:51], s[50:51], s[48:49]
	s_wait_alu 0xfffe
	s_mul_hi_u32 s59, s48, s51
	s_mul_i32 s58, s48, s51
	s_mul_hi_u32 s18, s48, s50
	s_mul_i32 s39, s49, s50
	s_wait_alu 0xfffe
	s_add_nc_u64 s[58:59], s[18:19], s[58:59]
	s_mul_hi_u32 s2, s49, s50
	s_mul_hi_u32 s41, s49, s51
	s_add_co_u32 s18, s58, s39
	s_wait_alu 0xfffe
	s_add_co_ci_u32 s18, s59, s2
	s_mul_i32 s50, s49, s51
	s_add_co_ci_u32 s51, s41, 0
	s_wait_alu 0xfffe
	s_add_nc_u64 s[50:51], s[18:19], s[50:51]
	s_wait_alu 0xfffe
	s_add_co_u32 s2, s48, s50
	s_cselect_b32 s18, -1, 0
	s_wait_alu 0xfffe
	v_mul_hi_u32 v10, v5, s2
	s_cmp_lg_u32 s18, 0
	v_mad_co_u64_u32 v[20:21], null, v8, s2, 0
	s_add_co_ci_u32 s18, s49, s51
	s_wait_alu 0xfffe
	v_mad_co_u64_u32 v[18:19], null, v5, s18, 0
	v_mad_co_u64_u32 v[22:23], null, v8, s18, 0
	s_delay_alu instid0(VALU_DEP_2) | instskip(SKIP_1) | instid1(VALU_DEP_3)
	v_add_co_u32 v10, vcc_lo, v10, v18
	s_wait_alu 0xfffd
	v_add_co_ci_u32_e64 v12, null, 0, v19, vcc_lo
	s_delay_alu instid0(VALU_DEP_2) | instskip(SKIP_1) | instid1(VALU_DEP_2)
	v_add_co_u32 v10, vcc_lo, v10, v20
	s_wait_alu 0xfffd
	v_add_co_ci_u32_e32 v10, vcc_lo, v12, v21, vcc_lo
	s_wait_alu 0xfffd
	v_add_co_ci_u32_e32 v12, vcc_lo, 0, v23, vcc_lo
	s_delay_alu instid0(VALU_DEP_2) | instskip(SKIP_1) | instid1(VALU_DEP_2)
	v_add_co_u32 v10, vcc_lo, v10, v22
	s_wait_alu 0xfffd
	v_add_co_ci_u32_e64 v12, null, 0, v12, vcc_lo
	s_delay_alu instid0(VALU_DEP_2) | instskip(SKIP_1) | instid1(VALU_DEP_3)
	v_mul_lo_u32 v14, s47, v10
	v_mad_co_u64_u32 v[18:19], null, s46, v10, 0
	v_mul_lo_u32 v16, s46, v12
	s_delay_alu instid0(VALU_DEP_2) | instskip(NEXT) | instid1(VALU_DEP_2)
	v_sub_co_u32 v5, vcc_lo, v5, v18
	v_add3_u32 v14, v19, v16, v14
	v_add_co_u32 v18, s2, v10, 2
	s_wait_alu 0xf1ff
	v_add_co_ci_u32_e64 v19, null, 0, v12, s2
	s_delay_alu instid0(VALU_DEP_3) | instskip(SKIP_3) | instid1(VALU_DEP_3)
	v_sub_nc_u32_e32 v16, v8, v14
	v_sub_co_u32 v20, s2, v5, s46
	s_wait_alu 0xfffd
	v_sub_co_ci_u32_e64 v8, null, v8, v14, vcc_lo
	v_subrev_co_ci_u32_e64 v16, null, s47, v16, vcc_lo
	s_delay_alu instid0(VALU_DEP_3) | instskip(SKIP_1) | instid1(VALU_DEP_2)
	v_cmp_le_u32_e32 vcc_lo, s46, v20
	s_wait_alu 0xf1ff
	v_subrev_co_ci_u32_e64 v16, null, 0, v16, s2
	s_wait_alu 0xfffd
	v_cndmask_b32_e64 v14, 0, -1, vcc_lo
	s_delay_alu instid0(VALU_DEP_2)
	v_cmp_le_u32_e32 vcc_lo, s47, v16
	s_wait_alu 0xfffd
	v_cndmask_b32_e64 v20, 0, -1, vcc_lo
	v_cmp_le_u32_e32 vcc_lo, s46, v5
	s_wait_alu 0xfffd
	v_cndmask_b32_e64 v5, 0, -1, vcc_lo
	;; [unrolled: 3-line block ×3, first 2 shown]
	v_cmp_eq_u32_e32 vcc_lo, s47, v16
	s_wait_alu 0xfffd
	v_cndmask_b32_e32 v14, v20, v14, vcc_lo
	v_add_co_u32 v16, vcc_lo, v10, 1
	s_wait_alu 0xfffd
	v_add_co_ci_u32_e64 v20, null, 0, v12, vcc_lo
	v_cmp_eq_u32_e32 vcc_lo, s47, v8
	s_wait_alu 0xfffd
	v_cndmask_b32_e32 v5, v21, v5, vcc_lo
	v_cmp_ne_u32_e32 vcc_lo, 0, v14
	s_delay_alu instid0(VALU_DEP_2) | instskip(SKIP_4) | instid1(VALU_DEP_2)
	v_cmp_ne_u32_e64 s2, 0, v5
	s_wait_alu 0xfffd
	v_cndmask_b32_e32 v5, v16, v18, vcc_lo
	v_cndmask_b32_e32 v8, v20, v19, vcc_lo
	s_wait_alu 0xf1ff
	v_cndmask_b32_e64 v5, v10, v5, s2
	s_delay_alu instid0(VALU_DEP_2) | instskip(NEXT) | instid1(VALU_DEP_2)
	v_cndmask_b32_e64 v8, v12, v8, s2
	v_xor_b32_e32 v5, v5, v3
	s_delay_alu instid0(VALU_DEP_2) | instskip(NEXT) | instid1(VALU_DEP_2)
	v_xor_b32_e32 v8, v8, v3
	v_sub_co_u32 v19, vcc_lo, v5, v3
	s_wait_alu 0xfffd
	s_delay_alu instid0(VALU_DEP_2)
	v_sub_co_ci_u32_e64 v20, null, v8, v3, vcc_lo
.LBB48_44:                              ;   in Loop: Header=BB48_22 Depth=2
	s_wait_alu 0xfffe
	s_and_not1_saveexec_b32 s2, s27
	s_cbranch_execz .LBB48_46
; %bb.45:                               ;   in Loop: Header=BB48_22 Depth=2
	v_cvt_f32_u32_e32 v3, s40
	s_sub_co_i32 s18, 0, s40
	v_mov_b32_e32 v20, v2
	s_delay_alu instid0(VALU_DEP_2) | instskip(NEXT) | instid1(TRANS32_DEP_1)
	v_rcp_iflag_f32_e32 v3, v3
	v_mul_f32_e32 v3, 0x4f7ffffe, v3
	s_delay_alu instid0(VALU_DEP_1) | instskip(SKIP_1) | instid1(VALU_DEP_1)
	v_cvt_u32_f32_e32 v3, v3
	s_wait_alu 0xfffe
	v_mul_lo_u32 v5, s18, v3
	s_delay_alu instid0(VALU_DEP_1) | instskip(NEXT) | instid1(VALU_DEP_1)
	v_mul_hi_u32 v5, v3, v5
	v_add_nc_u32_e32 v3, v3, v5
	s_delay_alu instid0(VALU_DEP_1) | instskip(NEXT) | instid1(VALU_DEP_1)
	v_mul_hi_u32 v3, v17, v3
	v_mul_lo_u32 v5, v3, s40
	s_delay_alu instid0(VALU_DEP_1) | instskip(NEXT) | instid1(VALU_DEP_1)
	v_sub_nc_u32_e32 v5, v17, v5
	v_subrev_nc_u32_e32 v10, s40, v5
	v_cmp_le_u32_e32 vcc_lo, s40, v5
	s_wait_alu 0xfffd
	s_delay_alu instid0(VALU_DEP_2) | instskip(NEXT) | instid1(VALU_DEP_1)
	v_dual_cndmask_b32 v5, v5, v10 :: v_dual_add_nc_u32 v8, 1, v3
	v_cndmask_b32_e32 v3, v3, v8, vcc_lo
	s_delay_alu instid0(VALU_DEP_2) | instskip(NEXT) | instid1(VALU_DEP_2)
	v_cmp_le_u32_e32 vcc_lo, s40, v5
	v_add_nc_u32_e32 v8, 1, v3
	s_wait_alu 0xfffd
	s_delay_alu instid0(VALU_DEP_1)
	v_cndmask_b32_e32 v19, v3, v8, vcc_lo
.LBB48_46:                              ;   in Loop: Header=BB48_22 Depth=2
	s_wait_alu 0xfffe
	s_or_b32 exec_lo, exec_lo, s2
	s_add_co_i32 s18, s26, 1
	s_add_nc_u64 s[44:45], s[0:1], s[44:45]
	s_wait_alu 0xfffe
	s_lshl_b64 s[48:49], s[18:19], 2
                                        ; implicit-def: $vgpr21_vgpr22
	s_mov_b32 s2, exec_lo
	s_wait_alu 0xfffe
	s_add_nc_u64 s[42:43], s[10:11], s[48:49]
	s_clause 0x1
	s_load_b32 s39, s[44:45], 0x6c
	s_load_b32 s42, s[42:43], 0x8
	s_wait_kmcnt 0x0
	s_ashr_i32 s43, s42, 31
	s_wait_alu 0xfffe
	v_or_b32_e32 v3, s43, v20
	s_delay_alu instid0(VALU_DEP_1)
	v_cmpx_ne_u64_e32 0, v[2:3]
	s_xor_b32 s27, exec_lo, s2
	s_cbranch_execz .LBB48_48
; %bb.47:                               ;   in Loop: Header=BB48_22 Depth=2
	s_ashr_i32 s44, s43, 31
	v_ashrrev_i32_e32 v3, 31, v20
	s_wait_alu 0xfffe
	s_mov_b32 s45, s44
	s_wait_alu 0xfffe
	s_add_nc_u64 s[46:47], s[42:43], s[44:45]
	v_add_co_u32 v5, vcc_lo, v19, v3
	s_wait_alu 0xfffe
	s_xor_b64 s[46:47], s[46:47], s[44:45]
	s_wait_alu 0xfffd
	v_add_co_ci_u32_e64 v8, null, v20, v3, vcc_lo
	s_wait_alu 0xfffe
	s_cvt_f32_u32 s2, s46
	s_cvt_f32_u32 s18, s47
	s_sub_nc_u64 s[58:59], 0, s[46:47]
	v_xor_b32_e32 v5, v5, v3
	v_xor_b32_e32 v8, v8, v3
	s_wait_alu 0xfffe
	s_fmamk_f32 s2, s18, 0x4f800000, s2
	v_xor_b32_e32 v3, s44, v3
	s_wait_alu 0xfffe
	s_delay_alu instid0(SALU_CYCLE_1) | instskip(NEXT) | instid1(TRANS32_DEP_1)
	v_s_rcp_f32 s2, s2
	s_mul_f32 s2, s2, 0x5f7ffffc
	s_wait_alu 0xfffe
	s_delay_alu instid0(SALU_CYCLE_2) | instskip(SKIP_1) | instid1(SALU_CYCLE_2)
	s_mul_f32 s18, s2, 0x2f800000
	s_wait_alu 0xfffe
	s_trunc_f32 s18, s18
	s_wait_alu 0xfffe
	s_delay_alu instid0(SALU_CYCLE_2) | instskip(SKIP_2) | instid1(SALU_CYCLE_1)
	s_fmamk_f32 s2, s18, 0xcf800000, s2
	s_cvt_u32_f32 s51, s18
	s_wait_alu 0xfffe
	s_cvt_u32_f32 s50, s2
	s_wait_alu 0xfffe
	s_delay_alu instid0(SALU_CYCLE_2) | instskip(NEXT) | instid1(SALU_CYCLE_1)
	s_mul_u64 s[60:61], s[58:59], s[50:51]
	s_mul_hi_u32 s63, s50, s61
	s_mul_i32 s62, s50, s61
	s_mul_hi_u32 s18, s50, s60
	s_mul_i32 s41, s51, s60
	s_wait_alu 0xfffe
	s_add_nc_u64 s[62:63], s[18:19], s[62:63]
	s_mul_hi_u32 s2, s51, s60
	s_mul_hi_u32 s43, s51, s61
	s_add_co_u32 s18, s62, s41
	s_wait_alu 0xfffe
	s_add_co_ci_u32 s18, s63, s2
	s_mul_i32 s60, s51, s61
	s_add_co_ci_u32 s61, s43, 0
	s_wait_alu 0xfffe
	s_add_nc_u64 s[60:61], s[18:19], s[60:61]
	s_delay_alu instid0(SALU_CYCLE_1)
	s_add_co_u32 s50, s50, s60
	s_cselect_b32 s2, -1, 0
	s_wait_alu 0xfffe
	s_cmp_lg_u32 s2, 0
	s_add_co_ci_u32 s51, s51, s61
	s_wait_alu 0xfffe
	s_mul_u64 s[58:59], s[58:59], s[50:51]
	s_delay_alu instid0(SALU_CYCLE_1)
	s_mul_hi_u32 s61, s50, s59
	s_mul_i32 s60, s50, s59
	s_mul_hi_u32 s18, s50, s58
	s_mul_i32 s41, s51, s58
	s_wait_alu 0xfffe
	s_add_nc_u64 s[60:61], s[18:19], s[60:61]
	s_mul_hi_u32 s2, s51, s58
	s_mul_hi_u32 s43, s51, s59
	s_add_co_u32 s18, s60, s41
	s_wait_alu 0xfffe
	s_add_co_ci_u32 s18, s61, s2
	s_mul_i32 s58, s51, s59
	s_add_co_ci_u32 s59, s43, 0
	s_wait_alu 0xfffe
	s_add_nc_u64 s[58:59], s[18:19], s[58:59]
	s_delay_alu instid0(SALU_CYCLE_1)
	s_add_co_u32 s2, s50, s58
	s_cselect_b32 s18, -1, 0
	s_wait_alu 0xfffe
	v_mul_hi_u32 v10, v5, s2
	s_cmp_lg_u32 s18, 0
	v_mad_co_u64_u32 v[22:23], null, v8, s2, 0
	s_add_co_ci_u32 s18, s51, s59
	s_wait_alu 0xfffe
	v_mad_co_u64_u32 v[20:21], null, v5, s18, 0
	v_mad_co_u64_u32 v[29:30], null, v8, s18, 0
	s_delay_alu instid0(VALU_DEP_2) | instskip(SKIP_1) | instid1(VALU_DEP_3)
	v_add_co_u32 v10, vcc_lo, v10, v20
	s_wait_alu 0xfffd
	v_add_co_ci_u32_e64 v12, null, 0, v21, vcc_lo
	s_delay_alu instid0(VALU_DEP_2) | instskip(SKIP_1) | instid1(VALU_DEP_2)
	v_add_co_u32 v10, vcc_lo, v10, v22
	s_wait_alu 0xfffd
	v_add_co_ci_u32_e32 v10, vcc_lo, v12, v23, vcc_lo
	s_wait_alu 0xfffd
	v_add_co_ci_u32_e32 v12, vcc_lo, 0, v30, vcc_lo
	s_delay_alu instid0(VALU_DEP_2) | instskip(SKIP_1) | instid1(VALU_DEP_2)
	v_add_co_u32 v10, vcc_lo, v10, v29
	s_wait_alu 0xfffd
	v_add_co_ci_u32_e64 v12, null, 0, v12, vcc_lo
	s_delay_alu instid0(VALU_DEP_2) | instskip(SKIP_1) | instid1(VALU_DEP_3)
	v_mul_lo_u32 v14, s47, v10
	v_mad_co_u64_u32 v[20:21], null, s46, v10, 0
	v_mul_lo_u32 v16, s46, v12
	v_add_co_u32 v18, s2, v10, 2
	s_delay_alu instid0(VALU_DEP_3) | instskip(NEXT) | instid1(VALU_DEP_3)
	v_sub_co_u32 v5, vcc_lo, v5, v20
	v_add3_u32 v14, v21, v16, v14
	s_wait_alu 0xf1ff
	v_add_co_ci_u32_e64 v20, null, 0, v12, s2
	s_delay_alu instid0(VALU_DEP_3) | instskip(NEXT) | instid1(VALU_DEP_3)
	v_sub_co_u32 v21, s2, v5, s46
	v_sub_nc_u32_e32 v16, v8, v14
	s_wait_alu 0xfffd
	v_sub_co_ci_u32_e64 v8, null, v8, v14, vcc_lo
	s_delay_alu instid0(VALU_DEP_2) | instskip(SKIP_2) | instid1(VALU_DEP_2)
	v_subrev_co_ci_u32_e64 v16, null, s47, v16, vcc_lo
	v_cmp_le_u32_e32 vcc_lo, s46, v21
	s_wait_alu 0xf1ff
	v_subrev_co_ci_u32_e64 v16, null, 0, v16, s2
	s_wait_alu 0xfffd
	v_cndmask_b32_e64 v14, 0, -1, vcc_lo
	s_delay_alu instid0(VALU_DEP_2)
	v_cmp_le_u32_e32 vcc_lo, s47, v16
	s_wait_alu 0xfffd
	v_cndmask_b32_e64 v21, 0, -1, vcc_lo
	v_cmp_le_u32_e32 vcc_lo, s46, v5
	s_wait_alu 0xfffd
	v_cndmask_b32_e64 v5, 0, -1, vcc_lo
	v_cmp_le_u32_e32 vcc_lo, s47, v8
	s_wait_alu 0xfffd
	v_cndmask_b32_e64 v22, 0, -1, vcc_lo
	v_cmp_eq_u32_e32 vcc_lo, s47, v16
	s_wait_alu 0xfffd
	v_cndmask_b32_e32 v14, v21, v14, vcc_lo
	v_add_co_u32 v16, vcc_lo, v10, 1
	s_wait_alu 0xfffd
	v_add_co_ci_u32_e64 v21, null, 0, v12, vcc_lo
	v_cmp_eq_u32_e32 vcc_lo, s47, v8
	s_wait_alu 0xfffd
	v_cndmask_b32_e32 v5, v22, v5, vcc_lo
	v_cmp_ne_u32_e32 vcc_lo, 0, v14
	s_delay_alu instid0(VALU_DEP_2) | instskip(SKIP_3) | instid1(VALU_DEP_1)
	v_cmp_ne_u32_e64 s2, 0, v5
	s_wait_alu 0xfffd
	v_dual_cndmask_b32 v8, v21, v20 :: v_dual_cndmask_b32 v5, v16, v18
	s_wait_alu 0xf1ff
	v_cndmask_b32_e64 v8, v12, v8, s2
	s_delay_alu instid0(VALU_DEP_2) | instskip(NEXT) | instid1(VALU_DEP_2)
	v_cndmask_b32_e64 v5, v10, v5, s2
	v_xor_b32_e32 v8, v8, v3
	s_delay_alu instid0(VALU_DEP_2) | instskip(NEXT) | instid1(VALU_DEP_1)
	v_xor_b32_e32 v5, v5, v3
	v_sub_co_u32 v21, vcc_lo, v5, v3
	s_wait_alu 0xfffd
	s_delay_alu instid0(VALU_DEP_3)
	v_sub_co_ci_u32_e64 v22, null, v8, v3, vcc_lo
.LBB48_48:                              ;   in Loop: Header=BB48_22 Depth=2
	s_wait_alu 0xfffe
	s_and_not1_saveexec_b32 s2, s27
	s_cbranch_execz .LBB48_50
; %bb.49:                               ;   in Loop: Header=BB48_22 Depth=2
	v_cvt_f32_u32_e32 v3, s42
	s_sub_co_i32 s18, 0, s42
	v_mov_b32_e32 v22, v2
	s_delay_alu instid0(VALU_DEP_2) | instskip(NEXT) | instid1(TRANS32_DEP_1)
	v_rcp_iflag_f32_e32 v3, v3
	v_mul_f32_e32 v3, 0x4f7ffffe, v3
	s_delay_alu instid0(VALU_DEP_1) | instskip(SKIP_1) | instid1(VALU_DEP_1)
	v_cvt_u32_f32_e32 v3, v3
	s_wait_alu 0xfffe
	v_mul_lo_u32 v5, s18, v3
	s_delay_alu instid0(VALU_DEP_1) | instskip(NEXT) | instid1(VALU_DEP_1)
	v_mul_hi_u32 v5, v3, v5
	v_add_nc_u32_e32 v3, v3, v5
	s_delay_alu instid0(VALU_DEP_1) | instskip(NEXT) | instid1(VALU_DEP_1)
	v_mul_hi_u32 v3, v19, v3
	v_mul_lo_u32 v5, v3, s42
	s_delay_alu instid0(VALU_DEP_1) | instskip(NEXT) | instid1(VALU_DEP_1)
	v_sub_nc_u32_e32 v5, v19, v5
	v_subrev_nc_u32_e32 v10, s42, v5
	v_cmp_le_u32_e32 vcc_lo, s42, v5
	s_wait_alu 0xfffd
	s_delay_alu instid0(VALU_DEP_2) | instskip(NEXT) | instid1(VALU_DEP_1)
	v_dual_cndmask_b32 v5, v5, v10 :: v_dual_add_nc_u32 v8, 1, v3
	v_cndmask_b32_e32 v3, v3, v8, vcc_lo
	s_delay_alu instid0(VALU_DEP_2) | instskip(NEXT) | instid1(VALU_DEP_2)
	v_cmp_le_u32_e32 vcc_lo, s42, v5
	v_add_nc_u32_e32 v8, 1, v3
	s_wait_alu 0xfffd
	s_delay_alu instid0(VALU_DEP_1)
	v_cndmask_b32_e32 v21, v3, v8, vcc_lo
.LBB48_50:                              ;   in Loop: Header=BB48_22 Depth=2
	s_wait_alu 0xfffe
	s_or_b32 exec_lo, exec_lo, s2
	s_mov_b32 s27, s19
	s_add_nc_u64 s[48:49], s[0:1], s[48:49]
	s_wait_alu 0xfffe
	s_lshl_b64 s[46:47], s[26:27], 2
                                        ; implicit-def: $vgpr23_vgpr24
	s_mov_b32 s2, exec_lo
	s_wait_alu 0xfffe
	s_add_nc_u64 s[44:45], s[10:11], s[46:47]
	s_clause 0x1
	s_load_b32 s27, s[48:49], 0x6c
	s_load_b32 s44, s[44:45], 0x8
	s_wait_kmcnt 0x0
	s_ashr_i32 s45, s44, 31
	s_wait_alu 0xfffe
	v_or_b32_e32 v3, s45, v22
	s_delay_alu instid0(VALU_DEP_1)
	v_cmpx_ne_u64_e32 0, v[2:3]
	s_xor_b32 s41, exec_lo, s2
	s_cbranch_execz .LBB48_52
; %bb.51:                               ;   in Loop: Header=BB48_22 Depth=2
	s_ashr_i32 s48, s45, 31
	v_ashrrev_i32_e32 v3, 31, v22
	s_wait_alu 0xfffe
	s_mov_b32 s49, s48
	s_wait_alu 0xfffe
	s_add_nc_u64 s[50:51], s[44:45], s[48:49]
	v_add_co_u32 v5, vcc_lo, v21, v3
	s_wait_alu 0xfffe
	s_xor_b64 s[50:51], s[50:51], s[48:49]
	s_wait_alu 0xfffd
	v_add_co_ci_u32_e64 v8, null, v22, v3, vcc_lo
	s_wait_alu 0xfffe
	s_cvt_f32_u32 s2, s50
	s_cvt_f32_u32 s18, s51
	s_sub_nc_u64 s[60:61], 0, s[50:51]
	v_xor_b32_e32 v5, v5, v3
	v_xor_b32_e32 v8, v8, v3
	s_wait_alu 0xfffe
	s_fmamk_f32 s2, s18, 0x4f800000, s2
	v_xor_b32_e32 v3, s48, v3
	s_wait_alu 0xfffe
	s_delay_alu instid0(SALU_CYCLE_1) | instskip(NEXT) | instid1(TRANS32_DEP_1)
	v_s_rcp_f32 s2, s2
	s_mul_f32 s2, s2, 0x5f7ffffc
	s_wait_alu 0xfffe
	s_delay_alu instid0(SALU_CYCLE_2) | instskip(SKIP_1) | instid1(SALU_CYCLE_2)
	s_mul_f32 s18, s2, 0x2f800000
	s_wait_alu 0xfffe
	s_trunc_f32 s18, s18
	s_wait_alu 0xfffe
	s_delay_alu instid0(SALU_CYCLE_2) | instskip(SKIP_2) | instid1(SALU_CYCLE_1)
	s_fmamk_f32 s2, s18, 0xcf800000, s2
	s_cvt_u32_f32 s59, s18
	s_wait_alu 0xfffe
	s_cvt_u32_f32 s58, s2
	s_delay_alu instid0(SALU_CYCLE_3) | instskip(NEXT) | instid1(SALU_CYCLE_1)
	s_mul_u64 s[62:63], s[60:61], s[58:59]
	s_mul_hi_u32 s65, s58, s63
	s_mul_i32 s64, s58, s63
	s_mul_hi_u32 s18, s58, s62
	s_mul_i32 s43, s59, s62
	s_wait_alu 0xfffe
	s_add_nc_u64 s[64:65], s[18:19], s[64:65]
	s_mul_hi_u32 s2, s59, s62
	s_mul_hi_u32 s45, s59, s63
	s_add_co_u32 s18, s64, s43
	s_wait_alu 0xfffe
	s_add_co_ci_u32 s18, s65, s2
	s_mul_i32 s62, s59, s63
	s_add_co_ci_u32 s63, s45, 0
	s_wait_alu 0xfffe
	s_add_nc_u64 s[62:63], s[18:19], s[62:63]
	s_delay_alu instid0(SALU_CYCLE_1) | instskip(SKIP_4) | instid1(SALU_CYCLE_1)
	s_add_co_u32 s58, s58, s62
	s_cselect_b32 s2, -1, 0
	s_wait_alu 0xfffe
	s_cmp_lg_u32 s2, 0
	s_add_co_ci_u32 s59, s59, s63
	s_mul_u64 s[60:61], s[60:61], s[58:59]
	s_delay_alu instid0(SALU_CYCLE_1)
	s_mul_hi_u32 s63, s58, s61
	s_mul_i32 s62, s58, s61
	s_mul_hi_u32 s18, s58, s60
	s_mul_i32 s43, s59, s60
	s_wait_alu 0xfffe
	s_add_nc_u64 s[62:63], s[18:19], s[62:63]
	s_mul_hi_u32 s2, s59, s60
	s_mul_hi_u32 s45, s59, s61
	s_add_co_u32 s18, s62, s43
	s_wait_alu 0xfffe
	s_add_co_ci_u32 s18, s63, s2
	s_mul_i32 s60, s59, s61
	s_add_co_ci_u32 s61, s45, 0
	s_wait_alu 0xfffe
	s_add_nc_u64 s[60:61], s[18:19], s[60:61]
	s_delay_alu instid0(SALU_CYCLE_1)
	s_add_co_u32 s2, s58, s60
	s_cselect_b32 s18, -1, 0
	s_wait_alu 0xfffe
	v_mul_hi_u32 v10, v5, s2
	s_cmp_lg_u32 s18, 0
	v_mad_co_u64_u32 v[29:30], null, v8, s2, 0
	s_add_co_ci_u32 s18, s59, s61
	s_wait_alu 0xfffe
	v_mad_co_u64_u32 v[22:23], null, v5, s18, 0
	v_mad_co_u64_u32 v[31:32], null, v8, s18, 0
	s_delay_alu instid0(VALU_DEP_2) | instskip(SKIP_1) | instid1(VALU_DEP_3)
	v_add_co_u32 v10, vcc_lo, v10, v22
	s_wait_alu 0xfffd
	v_add_co_ci_u32_e64 v12, null, 0, v23, vcc_lo
	s_delay_alu instid0(VALU_DEP_2) | instskip(SKIP_1) | instid1(VALU_DEP_2)
	v_add_co_u32 v10, vcc_lo, v10, v29
	s_wait_alu 0xfffd
	v_add_co_ci_u32_e32 v10, vcc_lo, v12, v30, vcc_lo
	s_wait_alu 0xfffd
	v_add_co_ci_u32_e32 v12, vcc_lo, 0, v32, vcc_lo
	s_delay_alu instid0(VALU_DEP_2) | instskip(SKIP_1) | instid1(VALU_DEP_2)
	v_add_co_u32 v10, vcc_lo, v10, v31
	s_wait_alu 0xfffd
	v_add_co_ci_u32_e64 v12, null, 0, v12, vcc_lo
	s_delay_alu instid0(VALU_DEP_2) | instskip(SKIP_1) | instid1(VALU_DEP_3)
	v_mul_lo_u32 v14, s51, v10
	v_mad_co_u64_u32 v[22:23], null, s50, v10, 0
	v_mul_lo_u32 v16, s50, v12
	v_add_co_u32 v18, s2, v10, 2
	s_wait_alu 0xf1ff
	v_add_co_ci_u32_e64 v20, null, 0, v12, s2
	s_delay_alu instid0(VALU_DEP_4) | instskip(NEXT) | instid1(VALU_DEP_4)
	v_sub_co_u32 v5, vcc_lo, v5, v22
	v_add3_u32 v14, v23, v16, v14
	s_delay_alu instid0(VALU_DEP_2) | instskip(NEXT) | instid1(VALU_DEP_2)
	v_sub_co_u32 v22, s2, v5, s50
	v_sub_nc_u32_e32 v16, v8, v14
	s_wait_alu 0xfffd
	v_sub_co_ci_u32_e64 v8, null, v8, v14, vcc_lo
	s_delay_alu instid0(VALU_DEP_2) | instskip(SKIP_2) | instid1(VALU_DEP_2)
	v_subrev_co_ci_u32_e64 v16, null, s51, v16, vcc_lo
	v_cmp_le_u32_e32 vcc_lo, s50, v22
	s_wait_alu 0xf1ff
	v_subrev_co_ci_u32_e64 v16, null, 0, v16, s2
	s_wait_alu 0xfffd
	v_cndmask_b32_e64 v14, 0, -1, vcc_lo
	s_delay_alu instid0(VALU_DEP_2)
	v_cmp_le_u32_e32 vcc_lo, s51, v16
	s_wait_alu 0xfffd
	v_cndmask_b32_e64 v22, 0, -1, vcc_lo
	v_cmp_le_u32_e32 vcc_lo, s50, v5
	s_wait_alu 0xfffd
	v_cndmask_b32_e64 v5, 0, -1, vcc_lo
	;; [unrolled: 3-line block ×3, first 2 shown]
	v_cmp_eq_u32_e32 vcc_lo, s51, v16
	s_wait_alu 0xfffd
	v_cndmask_b32_e32 v14, v22, v14, vcc_lo
	v_add_co_u32 v16, vcc_lo, v10, 1
	s_wait_alu 0xfffd
	v_add_co_ci_u32_e64 v22, null, 0, v12, vcc_lo
	v_cmp_eq_u32_e32 vcc_lo, s51, v8
	s_wait_alu 0xfffd
	v_cndmask_b32_e32 v5, v23, v5, vcc_lo
	v_cmp_ne_u32_e32 vcc_lo, 0, v14
	s_delay_alu instid0(VALU_DEP_2) | instskip(SKIP_3) | instid1(VALU_DEP_1)
	v_cmp_ne_u32_e64 s2, 0, v5
	s_wait_alu 0xfffd
	v_dual_cndmask_b32 v8, v22, v20 :: v_dual_cndmask_b32 v5, v16, v18
	s_wait_alu 0xf1ff
	v_cndmask_b32_e64 v8, v12, v8, s2
	s_delay_alu instid0(VALU_DEP_2) | instskip(NEXT) | instid1(VALU_DEP_2)
	v_cndmask_b32_e64 v5, v10, v5, s2
	v_xor_b32_e32 v8, v8, v3
	s_delay_alu instid0(VALU_DEP_2) | instskip(NEXT) | instid1(VALU_DEP_1)
	v_xor_b32_e32 v5, v5, v3
	v_sub_co_u32 v23, vcc_lo, v5, v3
	s_wait_alu 0xfffd
	s_delay_alu instid0(VALU_DEP_3)
	v_sub_co_ci_u32_e64 v24, null, v8, v3, vcc_lo
.LBB48_52:                              ;   in Loop: Header=BB48_22 Depth=2
	s_wait_alu 0xfffe
	s_and_not1_saveexec_b32 s2, s41
	s_cbranch_execz .LBB48_54
; %bb.53:                               ;   in Loop: Header=BB48_22 Depth=2
	v_cvt_f32_u32_e32 v3, s44
	s_sub_co_i32 s18, 0, s44
	v_mov_b32_e32 v24, v2
	s_delay_alu instid0(VALU_DEP_2) | instskip(NEXT) | instid1(TRANS32_DEP_1)
	v_rcp_iflag_f32_e32 v3, v3
	v_mul_f32_e32 v3, 0x4f7ffffe, v3
	s_delay_alu instid0(VALU_DEP_1) | instskip(SKIP_1) | instid1(VALU_DEP_1)
	v_cvt_u32_f32_e32 v3, v3
	s_wait_alu 0xfffe
	v_mul_lo_u32 v5, s18, v3
	s_delay_alu instid0(VALU_DEP_1) | instskip(NEXT) | instid1(VALU_DEP_1)
	v_mul_hi_u32 v5, v3, v5
	v_add_nc_u32_e32 v3, v3, v5
	s_delay_alu instid0(VALU_DEP_1) | instskip(NEXT) | instid1(VALU_DEP_1)
	v_mul_hi_u32 v3, v21, v3
	v_mul_lo_u32 v5, v3, s44
	s_delay_alu instid0(VALU_DEP_1) | instskip(NEXT) | instid1(VALU_DEP_1)
	v_sub_nc_u32_e32 v5, v21, v5
	v_subrev_nc_u32_e32 v10, s44, v5
	v_cmp_le_u32_e32 vcc_lo, s44, v5
	s_wait_alu 0xfffd
	s_delay_alu instid0(VALU_DEP_2) | instskip(NEXT) | instid1(VALU_DEP_1)
	v_dual_cndmask_b32 v5, v5, v10 :: v_dual_add_nc_u32 v8, 1, v3
	v_cndmask_b32_e32 v3, v3, v8, vcc_lo
	s_delay_alu instid0(VALU_DEP_2) | instskip(NEXT) | instid1(VALU_DEP_2)
	v_cmp_le_u32_e32 vcc_lo, s44, v5
	v_add_nc_u32_e32 v8, 1, v3
	s_wait_alu 0xfffd
	s_delay_alu instid0(VALU_DEP_1)
	v_cndmask_b32_e32 v23, v3, v8, vcc_lo
.LBB48_54:                              ;   in Loop: Header=BB48_22 Depth=2
	s_wait_alu 0xfffe
	s_or_b32 exec_lo, exec_lo, s2
	v_mul_lo_u32 v3, v9, s28
	v_mul_lo_u32 v5, v11, s30
	v_mul_lo_u32 v8, v13, s34
	v_mul_lo_u32 v10, v15, s36
	v_mul_lo_u32 v14, v19, s40
	s_add_nc_u64 s[40:41], s[0:1], s[46:47]
	v_mul_lo_u32 v12, v17, s38
	s_load_b32 s2, s[40:41], 0x6c
	v_sub_nc_u32_e32 v3, v7, v3
	v_sub_nc_u32_e32 v5, v9, v5
	;; [unrolled: 1-line block ×4, first 2 shown]
	v_mul_lo_u32 v9, v21, s42
	v_mul_lo_u32 v3, s25, v3
	;; [unrolled: 1-line block ×4, first 2 shown]
	v_sub_nc_u32_e32 v11, v15, v12
	v_sub_nc_u32_e32 v12, v17, v14
	v_mul_lo_u32 v7, s31, v7
	v_mul_lo_u32 v8, s35, v8
	s_add_co_i32 s26, s26, -8
	v_mul_lo_u32 v11, s37, v11
	v_add3_u32 v3, v3, v4, v5
	v_sub_nc_u32_e32 v4, v19, v9
	v_sub_nc_u32_e32 v5, v21, v10
	v_mul_lo_u32 v9, s39, v12
	s_wait_alu 0xfffe
	s_cmp_eq_u32 s26, -8
	v_add3_u32 v3, v7, v3, v8
	v_mul_lo_u32 v4, s27, v4
	s_wait_kmcnt 0x0
	v_mul_lo_u32 v5, s2, v5
	s_delay_alu instid0(VALU_DEP_3) | instskip(NEXT) | instid1(VALU_DEP_1)
	v_add3_u32 v3, v11, v3, v9
	v_add3_u32 v4, v4, v3, v5
	s_cbranch_scc1 .LBB48_56
; %bb.55:                               ;   in Loop: Header=BB48_22 Depth=2
	v_dual_mov_b32 v7, v23 :: v_dual_mov_b32 v8, v24
	s_branch .LBB48_22
.LBB48_56:                              ;   in Loop: Header=BB48_3 Depth=1
	s_load_b32 s2, s[12:13], 0x4
	s_wait_kmcnt 0x0
	v_cmp_gt_i32_e32 vcc_lo, s2, v28
	s_and_b32 exec_lo, exec_lo, vcc_lo
	s_cbranch_execz .LBB48_2
; %bb.57:                               ;   in Loop: Header=BB48_3 Depth=1
	v_ashrrev_i32_e32 v7, 31, v6
	s_mov_b32 s18, exec_lo
	s_delay_alu instid0(VALU_DEP_1)
	v_cmpx_lt_i64_e64 s[4:5], v[6:7]
	s_cbranch_execz .LBB48_59
; %bb.58:                               ;   in Loop: Header=BB48_3 Depth=1
	v_ashrrev_i32_e32 v3, 31, v4
	v_add_co_u32 v5, vcc_lo, s16, v4
	s_wait_alu 0xfffd
	s_delay_alu instid0(VALU_DEP_2)
	v_add_co_ci_u32_e64 v6, null, s17, v3, vcc_lo
	global_store_b8 v[5:6], v2, off
.LBB48_59:                              ;   in Loop: Header=BB48_3 Depth=1
	s_wait_alu 0xfffe
	s_or_b32 exec_lo, exec_lo, s18
	v_add_nc_u32_e32 v3, 1, v28
	s_delay_alu instid0(VALU_DEP_1)
	v_cmp_gt_i32_e32 vcc_lo, s2, v3
	s_and_b32 exec_lo, exec_lo, vcc_lo
	s_cbranch_execz .LBB48_2
; %bb.60:                               ;   in Loop: Header=BB48_3 Depth=1
	v_sub_nc_u32_e32 v5, v3, v27
	s_mov_b32 s18, exec_lo
	s_delay_alu instid0(VALU_DEP_1) | instskip(NEXT) | instid1(VALU_DEP_1)
	v_ashrrev_i32_e32 v6, 31, v5
	v_cmpx_lt_i64_e64 s[4:5], v[5:6]
	s_cbranch_execz .LBB48_62
; %bb.61:                               ;   in Loop: Header=BB48_3 Depth=1
	v_add_nc_u32_e32 v3, s3, v4
	s_delay_alu instid0(VALU_DEP_1) | instskip(SKIP_2) | instid1(VALU_DEP_2)
	v_ashrrev_i32_e32 v6, 31, v3
	v_add_co_u32 v5, vcc_lo, s16, v3
	s_wait_alu 0xfffd
	v_add_co_ci_u32_e64 v6, null, s17, v6, vcc_lo
	global_store_b8 v[5:6], v2, off
.LBB48_62:                              ;   in Loop: Header=BB48_3 Depth=1
	s_wait_alu 0xfffe
	s_or_b32 exec_lo, exec_lo, s18
	v_add_nc_u32_e32 v3, 2, v28
	s_delay_alu instid0(VALU_DEP_1)
	v_cmp_gt_i32_e32 vcc_lo, s2, v3
	s_and_b32 exec_lo, exec_lo, vcc_lo
	s_cbranch_execz .LBB48_2
; %bb.63:                               ;   in Loop: Header=BB48_3 Depth=1
	v_sub_nc_u32_e32 v5, v3, v27
	s_mov_b32 s18, exec_lo
	s_delay_alu instid0(VALU_DEP_1) | instskip(NEXT) | instid1(VALU_DEP_1)
	v_ashrrev_i32_e32 v6, 31, v5
	v_cmpx_lt_i64_e64 s[4:5], v[5:6]
	s_cbranch_execz .LBB48_65
; %bb.64:                               ;   in Loop: Header=BB48_3 Depth=1
	v_lshl_add_u32 v3, s3, 1, v4
	s_delay_alu instid0(VALU_DEP_1) | instskip(SKIP_2) | instid1(VALU_DEP_2)
	v_ashrrev_i32_e32 v6, 31, v3
	v_add_co_u32 v5, vcc_lo, s16, v3
	s_wait_alu 0xfffd
	v_add_co_ci_u32_e64 v6, null, s17, v6, vcc_lo
	global_store_b8 v[5:6], v2, off
.LBB48_65:                              ;   in Loop: Header=BB48_3 Depth=1
	s_wait_alu 0xfffe
	s_or_b32 exec_lo, exec_lo, s18
	v_add_nc_u32_e32 v3, 3, v28
	s_delay_alu instid0(VALU_DEP_1)
	v_cmp_gt_i32_e32 vcc_lo, s2, v3
	s_and_b32 exec_lo, exec_lo, vcc_lo
	s_cbranch_execz .LBB48_2
; %bb.66:                               ;   in Loop: Header=BB48_3 Depth=1
	v_sub_nc_u32_e32 v5, v3, v27
	s_delay_alu instid0(VALU_DEP_1) | instskip(NEXT) | instid1(VALU_DEP_1)
	v_ashrrev_i32_e32 v6, 31, v5
	v_cmp_lt_i64_e32 vcc_lo, s[4:5], v[5:6]
	s_and_b32 exec_lo, exec_lo, vcc_lo
	s_cbranch_execz .LBB48_2
; %bb.67:                               ;   in Loop: Header=BB48_3 Depth=1
	v_mad_co_u64_u32 v[3:4], null, s3, 3, v[4:5]
	s_delay_alu instid0(VALU_DEP_1) | instskip(SKIP_2) | instid1(VALU_DEP_2)
	v_ashrrev_i32_e32 v4, 31, v3
	v_add_co_u32 v3, vcc_lo, s16, v3
	s_wait_alu 0xfffd
	v_add_co_ci_u32_e64 v4, null, s17, v4, vcc_lo
	global_store_b8 v[3:4], v2, off
	s_branch .LBB48_2
.LBB48_68:
	s_endpgm
	.section	.rodata,"a",@progbits
	.p2align	6, 0x0
	.amdhsa_kernel _ZN2at6native16triu_tril_kernelIbiLb0ELi4ELb1EEEvNS_4cuda6detail10TensorInfoIT_T0_EENS4_IKS5_S6_EEllS6_
		.amdhsa_group_segment_fixed_size 0
		.amdhsa_private_segment_fixed_size 0
		.amdhsa_kernarg_size 712
		.amdhsa_user_sgpr_count 2
		.amdhsa_user_sgpr_dispatch_ptr 0
		.amdhsa_user_sgpr_queue_ptr 0
		.amdhsa_user_sgpr_kernarg_segment_ptr 1
		.amdhsa_user_sgpr_dispatch_id 0
		.amdhsa_user_sgpr_private_segment_size 0
		.amdhsa_wavefront_size32 1
		.amdhsa_uses_dynamic_stack 0
		.amdhsa_enable_private_segment 0
		.amdhsa_system_sgpr_workgroup_id_x 1
		.amdhsa_system_sgpr_workgroup_id_y 0
		.amdhsa_system_sgpr_workgroup_id_z 0
		.amdhsa_system_sgpr_workgroup_info 0
		.amdhsa_system_vgpr_workitem_id 0
		.amdhsa_next_free_vgpr 33
		.amdhsa_next_free_sgpr 66
		.amdhsa_reserve_vcc 1
		.amdhsa_float_round_mode_32 0
		.amdhsa_float_round_mode_16_64 0
		.amdhsa_float_denorm_mode_32 3
		.amdhsa_float_denorm_mode_16_64 3
		.amdhsa_fp16_overflow 0
		.amdhsa_workgroup_processor_mode 1
		.amdhsa_memory_ordered 1
		.amdhsa_forward_progress 1
		.amdhsa_inst_pref_size 98
		.amdhsa_round_robin_scheduling 0
		.amdhsa_exception_fp_ieee_invalid_op 0
		.amdhsa_exception_fp_denorm_src 0
		.amdhsa_exception_fp_ieee_div_zero 0
		.amdhsa_exception_fp_ieee_overflow 0
		.amdhsa_exception_fp_ieee_underflow 0
		.amdhsa_exception_fp_ieee_inexact 0
		.amdhsa_exception_int_div_zero 0
	.end_amdhsa_kernel
	.section	.text._ZN2at6native16triu_tril_kernelIbiLb0ELi4ELb1EEEvNS_4cuda6detail10TensorInfoIT_T0_EENS4_IKS5_S6_EEllS6_,"axG",@progbits,_ZN2at6native16triu_tril_kernelIbiLb0ELi4ELb1EEEvNS_4cuda6detail10TensorInfoIT_T0_EENS4_IKS5_S6_EEllS6_,comdat
.Lfunc_end48:
	.size	_ZN2at6native16triu_tril_kernelIbiLb0ELi4ELb1EEEvNS_4cuda6detail10TensorInfoIT_T0_EENS4_IKS5_S6_EEllS6_, .Lfunc_end48-_ZN2at6native16triu_tril_kernelIbiLb0ELi4ELb1EEEvNS_4cuda6detail10TensorInfoIT_T0_EENS4_IKS5_S6_EEllS6_
                                        ; -- End function
	.set _ZN2at6native16triu_tril_kernelIbiLb0ELi4ELb1EEEvNS_4cuda6detail10TensorInfoIT_T0_EENS4_IKS5_S6_EEllS6_.num_vgpr, 33
	.set _ZN2at6native16triu_tril_kernelIbiLb0ELi4ELb1EEEvNS_4cuda6detail10TensorInfoIT_T0_EENS4_IKS5_S6_EEllS6_.num_agpr, 0
	.set _ZN2at6native16triu_tril_kernelIbiLb0ELi4ELb1EEEvNS_4cuda6detail10TensorInfoIT_T0_EENS4_IKS5_S6_EEllS6_.numbered_sgpr, 66
	.set _ZN2at6native16triu_tril_kernelIbiLb0ELi4ELb1EEEvNS_4cuda6detail10TensorInfoIT_T0_EENS4_IKS5_S6_EEllS6_.num_named_barrier, 0
	.set _ZN2at6native16triu_tril_kernelIbiLb0ELi4ELb1EEEvNS_4cuda6detail10TensorInfoIT_T0_EENS4_IKS5_S6_EEllS6_.private_seg_size, 0
	.set _ZN2at6native16triu_tril_kernelIbiLb0ELi4ELb1EEEvNS_4cuda6detail10TensorInfoIT_T0_EENS4_IKS5_S6_EEllS6_.uses_vcc, 1
	.set _ZN2at6native16triu_tril_kernelIbiLb0ELi4ELb1EEEvNS_4cuda6detail10TensorInfoIT_T0_EENS4_IKS5_S6_EEllS6_.uses_flat_scratch, 0
	.set _ZN2at6native16triu_tril_kernelIbiLb0ELi4ELb1EEEvNS_4cuda6detail10TensorInfoIT_T0_EENS4_IKS5_S6_EEllS6_.has_dyn_sized_stack, 0
	.set _ZN2at6native16triu_tril_kernelIbiLb0ELi4ELb1EEEvNS_4cuda6detail10TensorInfoIT_T0_EENS4_IKS5_S6_EEllS6_.has_recursion, 0
	.set _ZN2at6native16triu_tril_kernelIbiLb0ELi4ELb1EEEvNS_4cuda6detail10TensorInfoIT_T0_EENS4_IKS5_S6_EEllS6_.has_indirect_call, 0
	.section	.AMDGPU.csdata,"",@progbits
; Kernel info:
; codeLenInByte = 12420
; TotalNumSgprs: 68
; NumVgprs: 33
; ScratchSize: 0
; MemoryBound: 0
; FloatMode: 240
; IeeeMode: 1
; LDSByteSize: 0 bytes/workgroup (compile time only)
; SGPRBlocks: 0
; VGPRBlocks: 4
; NumSGPRsForWavesPerEU: 68
; NumVGPRsForWavesPerEU: 33
; Occupancy: 16
; WaveLimiterHint : 0
; COMPUTE_PGM_RSRC2:SCRATCH_EN: 0
; COMPUTE_PGM_RSRC2:USER_SGPR: 2
; COMPUTE_PGM_RSRC2:TRAP_HANDLER: 0
; COMPUTE_PGM_RSRC2:TGID_X_EN: 1
; COMPUTE_PGM_RSRC2:TGID_Y_EN: 0
; COMPUTE_PGM_RSRC2:TGID_Z_EN: 0
; COMPUTE_PGM_RSRC2:TIDIG_COMP_CNT: 0
	.section	.text._ZN2at6native16triu_tril_kernelIbiLb0ELi4ELb0EEEvNS_4cuda6detail10TensorInfoIT_T0_EENS4_IKS5_S6_EEllS6_,"axG",@progbits,_ZN2at6native16triu_tril_kernelIbiLb0ELi4ELb0EEEvNS_4cuda6detail10TensorInfoIT_T0_EENS4_IKS5_S6_EEllS6_,comdat
	.protected	_ZN2at6native16triu_tril_kernelIbiLb0ELi4ELb0EEEvNS_4cuda6detail10TensorInfoIT_T0_EENS4_IKS5_S6_EEllS6_ ; -- Begin function _ZN2at6native16triu_tril_kernelIbiLb0ELi4ELb0EEEvNS_4cuda6detail10TensorInfoIT_T0_EENS4_IKS5_S6_EEllS6_
	.globl	_ZN2at6native16triu_tril_kernelIbiLb0ELi4ELb0EEEvNS_4cuda6detail10TensorInfoIT_T0_EENS4_IKS5_S6_EEllS6_
	.p2align	8
	.type	_ZN2at6native16triu_tril_kernelIbiLb0ELi4ELb0EEEvNS_4cuda6detail10TensorInfoIT_T0_EENS4_IKS5_S6_EEllS6_,@function
_ZN2at6native16triu_tril_kernelIbiLb0ELi4ELb0EEEvNS_4cuda6detail10TensorInfoIT_T0_EENS4_IKS5_S6_EEllS6_: ; @_ZN2at6native16triu_tril_kernelIbiLb0ELi4ELb0EEEvNS_4cuda6detail10TensorInfoIT_T0_EENS4_IKS5_S6_EEllS6_
; %bb.0:
	s_clause 0x1
	s_load_b32 s2, s[0:1], 0x1d4
	s_load_b128 s[12:15], s[0:1], 0x1b0
	v_mov_b32_e32 v2, 0
	s_mov_b32 s3, exec_lo
	s_delay_alu instid0(VALU_DEP_1)
	v_mov_b32_e32 v1, v2
	s_wait_kmcnt 0x0
	s_and_b32 s2, s2, 0xffff
	s_delay_alu instid0(VALU_DEP_1) | instid1(SALU_CYCLE_1)
	v_mad_co_u64_u32 v[0:1], null, s2, ttmp9, v[0:1]
	s_delay_alu instid0(VALU_DEP_1) | instskip(NEXT) | instid1(VALU_DEP_1)
	v_lshlrev_b64_e32 v[0:1], 2, v[0:1]
	v_cmpx_gt_i64_e64 s[14:15], v[0:1]
	s_cbranch_execz .LBB49_53
; %bb.1:
	s_clause 0x2
	s_load_b32 s4, s[0:1], 0x1a8
	s_load_b32 s10, s[0:1], 0x1c0
	s_load_b64 s[16:17], s[0:1], 0xd8
	s_add_nc_u64 s[18:19], s[0:1], 0xd8
	s_add_nc_u64 s[22:23], s[0:1], 0x1c8
	s_mov_b32 s27, 0
	s_load_b32 s3, s[22:23], 0x0
	s_mov_b32 s55, 0
	s_load_b64 s[24:25], s[0:1], 0x0
	s_wait_kmcnt 0x0
	s_ashr_i32 s5, s4, 31
	v_cvt_f32_u32_e32 v3, s10
	s_lshl_b64 s[6:7], s[4:5], 2
	s_and_b32 s46, s4, 3
	s_add_nc_u64 s[20:21], s[18:19], s[6:7]
	s_add_nc_u64 s[6:7], s[0:1], s[6:7]
	s_load_b64 s[8:9], s[20:21], 0x0
	v_rcp_iflag_f32_e32 v3, v3
	s_clause 0x1
	s_load_b64 s[20:21], s[20:21], 0x64
	s_load_b64 s[22:23], s[6:7], 0x64
	s_mul_i32 s3, s3, s2
	s_ashr_i32 s11, s10, 31
	s_add_co_i32 s33, s4, -3
	s_wait_alu 0xfffe
	s_lshl_b32 s48, s3, 2
	v_cmp_gt_i64_e64 s47, s[4:5], 2
	v_mul_f32_e32 v3, 0x4f7ffffe, v3
	s_delay_alu instid0(VALU_DEP_1)
	v_cvt_u32_f32_e32 v18, v3
	s_wait_kmcnt 0x0
	s_mov_b32 s28, s8
	s_ashr_i32 s29, s8, 31
	v_cvt_f32_u32_e32 v4, s28
	s_cmp_lg_u32 s46, 2
	s_mov_b32 s49, s21
	s_cselect_b32 s51, -1, 0
	s_cmp_gt_u32 s33, 2
	v_rcp_iflag_f32_e32 v4, v4
	s_mov_b32 s50, s23
	s_cselect_b32 s52, -1, 0
	s_ashr_i32 s53, s21, 31
	s_add_co_i32 s21, s21, s21
	s_ashr_i32 s54, s23, 31
	s_add_co_i32 s23, s23, s23
	s_ashr_i32 s30, s11, 31
	s_delay_alu instid0(TRANS32_DEP_1) | instskip(NEXT) | instid1(VALU_DEP_1)
	v_mul_f32_e32 v3, 0x4f7ffffe, v4
	v_cvt_u32_f32_e32 v19, v3
	s_branch .LBB49_3
.LBB49_2:                               ;   in Loop: Header=BB49_3 Depth=1
	s_wait_alu 0xfffe
	s_or_b32 exec_lo, exec_lo, s2
	v_add_co_u32 v0, vcc_lo, v0, s48
	s_wait_alu 0xfffd
	v_add_co_ci_u32_e64 v1, null, 0, v1, vcc_lo
	s_delay_alu instid0(VALU_DEP_1)
	v_cmp_le_i64_e32 vcc_lo, s[14:15], v[0:1]
	s_or_b32 s55, vcc_lo, s55
	s_wait_alu 0xfffe
	s_and_not1_b32 exec_lo, exec_lo, s55
	s_cbranch_execz .LBB49_53
.LBB49_3:                               ; =>This Loop Header: Depth=1
                                        ;     Child Loop BB49_15 Depth 2
                                        ;     Child Loop BB49_20 Depth 2
	v_or_b32_e32 v3, s11, v1
                                        ; implicit-def: $vgpr4_vgpr5
	s_mov_b32 s2, exec_lo
	s_delay_alu instid0(VALU_DEP_1)
	v_cmpx_ne_u64_e32 0, v[2:3]
	s_wait_alu 0xfffe
	s_xor_b32 s3, exec_lo, s2
	s_cbranch_execz .LBB49_5
; %bb.4:                                ;   in Loop: Header=BB49_3 Depth=1
	s_mov_b32 s31, s30
	v_ashrrev_i32_e32 v9, 31, v1
	s_wait_alu 0xfffe
	s_add_nc_u64 s[4:5], s[10:11], s[30:31]
	s_wait_alu 0xfffe
	s_xor_b64 s[4:5], s[4:5], s[30:31]
	v_add_co_u32 v3, vcc_lo, v0, v9
	s_wait_alu 0xfffe
	s_cvt_f32_u32 s2, s4
	s_cvt_f32_u32 s6, s5
	s_sub_nc_u64 s[34:35], 0, s[4:5]
	s_wait_alu 0xfffd
	v_add_co_ci_u32_e64 v4, null, v1, v9, vcc_lo
	s_wait_alu 0xfffe
	s_fmamk_f32 s2, s6, 0x4f800000, s2
	v_xor_b32_e32 v10, v3, v9
	s_delay_alu instid0(VALU_DEP_2) | instskip(SKIP_2) | instid1(TRANS32_DEP_1)
	v_xor_b32_e32 v11, v4, v9
	s_wait_alu 0xfffe
	v_s_rcp_f32 s2, s2
	s_mul_f32 s2, s2, 0x5f7ffffc
	s_wait_alu 0xfffe
	s_delay_alu instid0(SALU_CYCLE_2) | instskip(SKIP_1) | instid1(SALU_CYCLE_2)
	s_mul_f32 s6, s2, 0x2f800000
	s_wait_alu 0xfffe
	s_trunc_f32 s6, s6
	s_wait_alu 0xfffe
	s_delay_alu instid0(SALU_CYCLE_2) | instskip(SKIP_2) | instid1(SALU_CYCLE_1)
	s_fmamk_f32 s2, s6, 0xcf800000, s2
	s_cvt_u32_f32 s7, s6
	s_wait_alu 0xfffe
	s_cvt_u32_f32 s6, s2
	s_wait_alu 0xfffe
	s_delay_alu instid0(SALU_CYCLE_2)
	s_mul_u64 s[36:37], s[34:35], s[6:7]
	s_wait_alu 0xfffe
	s_mul_hi_u32 s39, s6, s37
	s_mul_i32 s38, s6, s37
	s_mul_hi_u32 s26, s6, s36
	s_mul_i32 s8, s7, s36
	s_wait_alu 0xfffe
	s_add_nc_u64 s[38:39], s[26:27], s[38:39]
	s_mul_hi_u32 s2, s7, s36
	s_mul_hi_u32 s31, s7, s37
	s_wait_alu 0xfffe
	s_add_co_u32 s8, s38, s8
	s_add_co_ci_u32 s26, s39, s2
	s_mul_i32 s36, s7, s37
	s_add_co_ci_u32 s37, s31, 0
	s_wait_alu 0xfffe
	s_add_nc_u64 s[36:37], s[26:27], s[36:37]
	s_wait_alu 0xfffe
	s_add_co_u32 s6, s6, s36
	s_cselect_b32 s2, -1, 0
	s_wait_alu 0xfffe
	s_cmp_lg_u32 s2, 0
	s_add_co_ci_u32 s7, s7, s37
	s_wait_alu 0xfffe
	s_mul_u64 s[34:35], s[34:35], s[6:7]
	s_wait_alu 0xfffe
	s_mul_hi_u32 s37, s6, s35
	s_mul_i32 s36, s6, s35
	s_mul_hi_u32 s26, s6, s34
	s_mul_i32 s8, s7, s34
	s_wait_alu 0xfffe
	s_add_nc_u64 s[36:37], s[26:27], s[36:37]
	s_mul_hi_u32 s2, s7, s34
	s_mul_hi_u32 s31, s7, s35
	s_wait_alu 0xfffe
	s_add_co_u32 s8, s36, s8
	s_add_co_ci_u32 s26, s37, s2
	s_mul_i32 s34, s7, s35
	s_add_co_ci_u32 s35, s31, 0
	s_wait_alu 0xfffe
	s_add_nc_u64 s[34:35], s[26:27], s[34:35]
	s_wait_alu 0xfffe
	s_add_co_u32 s2, s6, s34
	s_cselect_b32 s6, -1, 0
	s_wait_alu 0xfffe
	v_mul_hi_u32 v12, v10, s2
	s_cmp_lg_u32 s6, 0
	v_mad_co_u64_u32 v[5:6], null, v11, s2, 0
	s_add_co_ci_u32 s6, s7, s35
	s_wait_alu 0xfffe
	v_mad_co_u64_u32 v[3:4], null, v10, s6, 0
	v_mad_co_u64_u32 v[7:8], null, v11, s6, 0
	s_delay_alu instid0(VALU_DEP_2) | instskip(SKIP_1) | instid1(VALU_DEP_3)
	v_add_co_u32 v3, vcc_lo, v12, v3
	s_wait_alu 0xfffd
	v_add_co_ci_u32_e64 v4, null, 0, v4, vcc_lo
	s_delay_alu instid0(VALU_DEP_2) | instskip(SKIP_1) | instid1(VALU_DEP_2)
	v_add_co_u32 v3, vcc_lo, v3, v5
	s_wait_alu 0xfffd
	v_add_co_ci_u32_e32 v3, vcc_lo, v4, v6, vcc_lo
	s_wait_alu 0xfffd
	v_add_co_ci_u32_e32 v4, vcc_lo, 0, v8, vcc_lo
	s_delay_alu instid0(VALU_DEP_2) | instskip(SKIP_1) | instid1(VALU_DEP_2)
	v_add_co_u32 v5, vcc_lo, v3, v7
	s_wait_alu 0xfffd
	v_add_co_ci_u32_e64 v6, null, 0, v4, vcc_lo
	s_delay_alu instid0(VALU_DEP_2) | instskip(SKIP_1) | instid1(VALU_DEP_3)
	v_mul_lo_u32 v7, s5, v5
	v_mad_co_u64_u32 v[3:4], null, s4, v5, 0
	v_mul_lo_u32 v8, s4, v6
	s_delay_alu instid0(VALU_DEP_2) | instskip(NEXT) | instid1(VALU_DEP_2)
	v_sub_co_u32 v3, vcc_lo, v10, v3
	v_add3_u32 v4, v4, v8, v7
	v_add_co_u32 v8, s2, v5, 2
	s_wait_alu 0xf1ff
	v_add_co_ci_u32_e64 v10, null, 0, v6, s2
	s_delay_alu instid0(VALU_DEP_3) | instskip(SKIP_3) | instid1(VALU_DEP_3)
	v_sub_nc_u32_e32 v7, v11, v4
	v_sub_co_u32 v12, s2, v3, s4
	s_wait_alu 0xfffd
	v_sub_co_ci_u32_e64 v4, null, v11, v4, vcc_lo
	v_subrev_co_ci_u32_e64 v7, null, s5, v7, vcc_lo
	s_delay_alu instid0(VALU_DEP_3) | instskip(SKIP_1) | instid1(VALU_DEP_2)
	v_cmp_le_u32_e32 vcc_lo, s4, v12
	s_wait_alu 0xf1ff
	v_subrev_co_ci_u32_e64 v7, null, 0, v7, s2
	s_wait_alu 0xfffd
	v_cndmask_b32_e64 v11, 0, -1, vcc_lo
	s_delay_alu instid0(VALU_DEP_2)
	v_cmp_le_u32_e32 vcc_lo, s5, v7
	s_wait_alu 0xfffd
	v_cndmask_b32_e64 v12, 0, -1, vcc_lo
	v_cmp_le_u32_e32 vcc_lo, s4, v3
	s_wait_alu 0xfffd
	v_cndmask_b32_e64 v3, 0, -1, vcc_lo
	v_cmp_le_u32_e32 vcc_lo, s5, v4
	s_wait_alu 0xfffd
	v_cndmask_b32_e64 v13, 0, -1, vcc_lo
	v_cmp_eq_u32_e32 vcc_lo, s5, v7
	s_wait_alu 0xfffd
	v_cndmask_b32_e32 v7, v12, v11, vcc_lo
	v_add_co_u32 v11, vcc_lo, v5, 1
	s_wait_alu 0xfffd
	v_add_co_ci_u32_e64 v12, null, 0, v6, vcc_lo
	v_cmp_eq_u32_e32 vcc_lo, s5, v4
	s_wait_alu 0xfffd
	v_cndmask_b32_e32 v3, v13, v3, vcc_lo
	v_cmp_ne_u32_e32 vcc_lo, 0, v7
	v_xor_b32_e32 v7, s30, v9
	s_wait_alu 0xfffd
	v_cndmask_b32_e32 v4, v12, v10, vcc_lo
	v_cmp_ne_u32_e64 s2, 0, v3
	v_cndmask_b32_e32 v3, v11, v8, vcc_lo
	s_wait_alu 0xf1ff
	s_delay_alu instid0(VALU_DEP_2) | instskip(NEXT) | instid1(VALU_DEP_2)
	v_cndmask_b32_e64 v4, v6, v4, s2
	v_cndmask_b32_e64 v3, v5, v3, s2
	s_delay_alu instid0(VALU_DEP_2) | instskip(NEXT) | instid1(VALU_DEP_2)
	v_xor_b32_e32 v5, v4, v7
	v_xor_b32_e32 v3, v3, v7
	s_delay_alu instid0(VALU_DEP_1) | instskip(SKIP_1) | instid1(VALU_DEP_3)
	v_sub_co_u32 v4, vcc_lo, v3, v7
	s_wait_alu 0xfffd
	v_sub_co_ci_u32_e64 v5, null, v5, v7, vcc_lo
.LBB49_5:                               ;   in Loop: Header=BB49_3 Depth=1
	s_wait_alu 0xfffe
	s_and_not1_saveexec_b32 s2, s3
	s_cbranch_execz .LBB49_7
; %bb.6:                                ;   in Loop: Header=BB49_3 Depth=1
	s_sub_co_i32 s3, 0, s10
	s_wait_alu 0xfffe
	v_mul_lo_u32 v3, s3, v18
	s_delay_alu instid0(VALU_DEP_1) | instskip(NEXT) | instid1(VALU_DEP_1)
	v_mul_hi_u32 v3, v18, v3
	v_add_nc_u32_e32 v3, v18, v3
	s_delay_alu instid0(VALU_DEP_1) | instskip(NEXT) | instid1(VALU_DEP_1)
	v_mul_hi_u32 v3, v0, v3
	v_mul_lo_u32 v4, v3, s10
	v_add_nc_u32_e32 v5, 1, v3
	s_delay_alu instid0(VALU_DEP_2) | instskip(NEXT) | instid1(VALU_DEP_1)
	v_sub_nc_u32_e32 v4, v0, v4
	v_subrev_nc_u32_e32 v6, s10, v4
	v_cmp_le_u32_e32 vcc_lo, s10, v4
	s_wait_alu 0xfffd
	s_delay_alu instid0(VALU_DEP_2) | instskip(NEXT) | instid1(VALU_DEP_1)
	v_dual_cndmask_b32 v4, v4, v6 :: v_dual_cndmask_b32 v3, v3, v5
	v_cmp_le_u32_e32 vcc_lo, s10, v4
	s_delay_alu instid0(VALU_DEP_2) | instskip(SKIP_1) | instid1(VALU_DEP_1)
	v_add_nc_u32_e32 v5, 1, v3
	s_wait_alu 0xfffd
	v_dual_cndmask_b32 v4, v3, v5 :: v_dual_mov_b32 v5, v2
.LBB49_7:                               ;   in Loop: Header=BB49_3 Depth=1
	s_wait_alu 0xfffe
	s_or_b32 exec_lo, exec_lo, s2
	s_delay_alu instid0(VALU_DEP_1) | instskip(SKIP_1) | instid1(VALU_DEP_1)
	v_or_b32_e32 v3, s29, v5
                                        ; implicit-def: $vgpr8_vgpr9
	s_mov_b32 s2, exec_lo
	v_cmpx_ne_u64_e32 0, v[2:3]
	s_wait_alu 0xfffe
	s_xor_b32 s3, exec_lo, s2
	s_cbranch_execz .LBB49_9
; %bb.8:                                ;   in Loop: Header=BB49_3 Depth=1
	s_ashr_i32 s4, s29, 31
	v_ashrrev_i32_e32 v3, 31, v5
	s_wait_alu 0xfffe
	s_mov_b32 s5, s4
	s_wait_alu 0xfffe
	s_add_nc_u64 s[6:7], s[28:29], s[4:5]
	v_add_co_u32 v6, vcc_lo, v4, v3
	s_wait_alu 0xfffe
	s_xor_b64 s[6:7], s[6:7], s[4:5]
	s_wait_alu 0xfffd
	v_add_co_ci_u32_e64 v5, null, v5, v3, vcc_lo
	s_wait_alu 0xfffe
	s_cvt_f32_u32 s2, s6
	s_cvt_f32_u32 s5, s7
	s_sub_nc_u64 s[36:37], 0, s[6:7]
	v_xor_b32_e32 v11, v6, v3
	v_xor_b32_e32 v12, v5, v3
	s_wait_alu 0xfffe
	s_fmamk_f32 s2, s5, 0x4f800000, s2
	v_xor_b32_e32 v3, s4, v3
	s_wait_alu 0xfffe
	s_delay_alu instid0(SALU_CYCLE_1) | instskip(NEXT) | instid1(TRANS32_DEP_1)
	v_s_rcp_f32 s2, s2
	s_mul_f32 s2, s2, 0x5f7ffffc
	s_wait_alu 0xfffe
	s_delay_alu instid0(SALU_CYCLE_2) | instskip(SKIP_1) | instid1(SALU_CYCLE_2)
	s_mul_f32 s5, s2, 0x2f800000
	s_wait_alu 0xfffe
	s_trunc_f32 s5, s5
	s_wait_alu 0xfffe
	s_delay_alu instid0(SALU_CYCLE_2) | instskip(SKIP_2) | instid1(SALU_CYCLE_1)
	s_fmamk_f32 s2, s5, 0xcf800000, s2
	s_cvt_u32_f32 s35, s5
	s_wait_alu 0xfffe
	s_cvt_u32_f32 s34, s2
	s_wait_alu 0xfffe
	s_delay_alu instid0(SALU_CYCLE_2)
	s_mul_u64 s[38:39], s[36:37], s[34:35]
	s_wait_alu 0xfffe
	s_mul_hi_u32 s41, s34, s39
	s_mul_i32 s40, s34, s39
	s_mul_hi_u32 s26, s34, s38
	s_mul_i32 s5, s35, s38
	s_wait_alu 0xfffe
	s_add_nc_u64 s[40:41], s[26:27], s[40:41]
	s_mul_hi_u32 s2, s35, s38
	s_mul_hi_u32 s8, s35, s39
	s_wait_alu 0xfffe
	s_add_co_u32 s5, s40, s5
	s_add_co_ci_u32 s26, s41, s2
	s_mul_i32 s38, s35, s39
	s_add_co_ci_u32 s39, s8, 0
	s_wait_alu 0xfffe
	s_add_nc_u64 s[38:39], s[26:27], s[38:39]
	s_wait_alu 0xfffe
	s_add_co_u32 s34, s34, s38
	s_cselect_b32 s2, -1, 0
	s_wait_alu 0xfffe
	s_cmp_lg_u32 s2, 0
	s_add_co_ci_u32 s35, s35, s39
	s_wait_alu 0xfffe
	s_mul_u64 s[36:37], s[36:37], s[34:35]
	s_wait_alu 0xfffe
	s_mul_hi_u32 s39, s34, s37
	s_mul_i32 s38, s34, s37
	s_mul_hi_u32 s26, s34, s36
	s_mul_i32 s5, s35, s36
	s_wait_alu 0xfffe
	s_add_nc_u64 s[38:39], s[26:27], s[38:39]
	s_mul_hi_u32 s2, s35, s36
	s_mul_hi_u32 s8, s35, s37
	s_wait_alu 0xfffe
	s_add_co_u32 s5, s38, s5
	s_add_co_ci_u32 s26, s39, s2
	s_mul_i32 s36, s35, s37
	s_add_co_ci_u32 s37, s8, 0
	s_wait_alu 0xfffe
	s_add_nc_u64 s[36:37], s[26:27], s[36:37]
	s_wait_alu 0xfffe
	s_add_co_u32 s2, s34, s36
	s_cselect_b32 s5, -1, 0
	s_wait_alu 0xfffe
	v_mul_hi_u32 v13, v11, s2
	s_cmp_lg_u32 s5, 0
	v_mad_co_u64_u32 v[7:8], null, v12, s2, 0
	s_add_co_ci_u32 s5, s35, s37
	s_wait_alu 0xfffe
	v_mad_co_u64_u32 v[5:6], null, v11, s5, 0
	v_mad_co_u64_u32 v[9:10], null, v12, s5, 0
	s_delay_alu instid0(VALU_DEP_2) | instskip(SKIP_1) | instid1(VALU_DEP_3)
	v_add_co_u32 v5, vcc_lo, v13, v5
	s_wait_alu 0xfffd
	v_add_co_ci_u32_e64 v6, null, 0, v6, vcc_lo
	s_delay_alu instid0(VALU_DEP_2) | instskip(SKIP_1) | instid1(VALU_DEP_2)
	v_add_co_u32 v5, vcc_lo, v5, v7
	s_wait_alu 0xfffd
	v_add_co_ci_u32_e32 v5, vcc_lo, v6, v8, vcc_lo
	s_wait_alu 0xfffd
	v_add_co_ci_u32_e32 v6, vcc_lo, 0, v10, vcc_lo
	s_delay_alu instid0(VALU_DEP_2) | instskip(SKIP_1) | instid1(VALU_DEP_2)
	v_add_co_u32 v7, vcc_lo, v5, v9
	s_wait_alu 0xfffd
	v_add_co_ci_u32_e64 v8, null, 0, v6, vcc_lo
	s_delay_alu instid0(VALU_DEP_2) | instskip(SKIP_1) | instid1(VALU_DEP_3)
	v_mul_lo_u32 v9, s7, v7
	v_mad_co_u64_u32 v[5:6], null, s6, v7, 0
	v_mul_lo_u32 v10, s6, v8
	s_delay_alu instid0(VALU_DEP_2) | instskip(NEXT) | instid1(VALU_DEP_2)
	v_sub_co_u32 v5, vcc_lo, v11, v5
	v_add3_u32 v6, v6, v10, v9
	v_add_co_u32 v10, s2, v7, 2
	s_wait_alu 0xf1ff
	v_add_co_ci_u32_e64 v11, null, 0, v8, s2
	s_delay_alu instid0(VALU_DEP_3) | instskip(SKIP_3) | instid1(VALU_DEP_3)
	v_sub_nc_u32_e32 v9, v12, v6
	v_sub_co_u32 v13, s2, v5, s6
	s_wait_alu 0xfffd
	v_sub_co_ci_u32_e64 v6, null, v12, v6, vcc_lo
	v_subrev_co_ci_u32_e64 v9, null, s7, v9, vcc_lo
	s_delay_alu instid0(VALU_DEP_3) | instskip(SKIP_1) | instid1(VALU_DEP_2)
	v_cmp_le_u32_e32 vcc_lo, s6, v13
	s_wait_alu 0xf1ff
	v_subrev_co_ci_u32_e64 v9, null, 0, v9, s2
	s_wait_alu 0xfffd
	v_cndmask_b32_e64 v12, 0, -1, vcc_lo
	s_delay_alu instid0(VALU_DEP_2)
	v_cmp_le_u32_e32 vcc_lo, s7, v9
	s_wait_alu 0xfffd
	v_cndmask_b32_e64 v13, 0, -1, vcc_lo
	v_cmp_le_u32_e32 vcc_lo, s6, v5
	s_wait_alu 0xfffd
	v_cndmask_b32_e64 v5, 0, -1, vcc_lo
	;; [unrolled: 3-line block ×3, first 2 shown]
	v_cmp_eq_u32_e32 vcc_lo, s7, v9
	s_wait_alu 0xfffd
	v_cndmask_b32_e32 v9, v13, v12, vcc_lo
	v_add_co_u32 v12, vcc_lo, v7, 1
	s_wait_alu 0xfffd
	v_add_co_ci_u32_e64 v13, null, 0, v8, vcc_lo
	v_cmp_eq_u32_e32 vcc_lo, s7, v6
	s_wait_alu 0xfffd
	v_cndmask_b32_e32 v5, v14, v5, vcc_lo
	v_cmp_ne_u32_e32 vcc_lo, 0, v9
	s_wait_alu 0xfffd
	v_cndmask_b32_e32 v6, v13, v11, vcc_lo
	s_delay_alu instid0(VALU_DEP_3) | instskip(SKIP_2) | instid1(VALU_DEP_2)
	v_cmp_ne_u32_e64 s2, 0, v5
	v_cndmask_b32_e32 v5, v12, v10, vcc_lo
	s_wait_alu 0xf1ff
	v_cndmask_b32_e64 v6, v8, v6, s2
	s_delay_alu instid0(VALU_DEP_2) | instskip(NEXT) | instid1(VALU_DEP_2)
	v_cndmask_b32_e64 v5, v7, v5, s2
	v_xor_b32_e32 v6, v6, v3
	s_delay_alu instid0(VALU_DEP_2) | instskip(NEXT) | instid1(VALU_DEP_1)
	v_xor_b32_e32 v5, v5, v3
	v_sub_co_u32 v8, vcc_lo, v5, v3
	s_wait_alu 0xfffd
	s_delay_alu instid0(VALU_DEP_3)
	v_sub_co_ci_u32_e64 v9, null, v6, v3, vcc_lo
.LBB49_9:                               ;   in Loop: Header=BB49_3 Depth=1
	s_wait_alu 0xfffe
	s_and_not1_saveexec_b32 s2, s3
	s_cbranch_execz .LBB49_11
; %bb.10:                               ;   in Loop: Header=BB49_3 Depth=1
	s_sub_co_i32 s3, 0, s28
	v_mov_b32_e32 v9, v2
	s_wait_alu 0xfffe
	v_mul_lo_u32 v3, s3, v19
	s_delay_alu instid0(VALU_DEP_1) | instskip(NEXT) | instid1(VALU_DEP_1)
	v_mul_hi_u32 v3, v19, v3
	v_add_nc_u32_e32 v3, v19, v3
	s_delay_alu instid0(VALU_DEP_1) | instskip(NEXT) | instid1(VALU_DEP_1)
	v_mul_hi_u32 v3, v4, v3
	v_mul_lo_u32 v5, v3, s28
	v_add_nc_u32_e32 v6, 1, v3
	s_delay_alu instid0(VALU_DEP_2) | instskip(NEXT) | instid1(VALU_DEP_1)
	v_sub_nc_u32_e32 v5, v4, v5
	v_cmp_le_u32_e32 vcc_lo, s28, v5
	v_subrev_nc_u32_e32 v7, s28, v5
	s_wait_alu 0xfffd
	v_cndmask_b32_e32 v3, v3, v6, vcc_lo
	s_delay_alu instid0(VALU_DEP_1) | instskip(NEXT) | instid1(VALU_DEP_3)
	v_add_nc_u32_e32 v6, 1, v3
	v_cndmask_b32_e32 v5, v5, v7, vcc_lo
	s_delay_alu instid0(VALU_DEP_1) | instskip(SKIP_1) | instid1(VALU_DEP_3)
	v_cmp_le_u32_e32 vcc_lo, s28, v5
	s_wait_alu 0xfffd
	v_cndmask_b32_e32 v8, v3, v6, vcc_lo
.LBB49_11:                              ;   in Loop: Header=BB49_3 Depth=1
	s_wait_alu 0xfffe
	s_or_b32 exec_lo, exec_lo, s2
	v_mad_co_u64_u32 v[5:6], null, v4, s10, 0
	s_delay_alu instid0(VALU_DEP_2) | instskip(SKIP_3) | instid1(VALU_DEP_2)
	v_mad_co_u64_u32 v[6:7], null, v8, s28, 0
	s_and_not1_b32 vcc_lo, exec_lo, s47
	v_sub_co_u32 v20, null, v0, v5
	v_sub_co_u32 v21, null, v4, v6
	v_mul_lo_u32 v3, s49, v20
	v_mul_lo_u32 v5, s50, v20
	s_delay_alu instid0(VALU_DEP_2) | instskip(NEXT) | instid1(VALU_DEP_1)
	v_mad_co_u64_u32 v[6:7], null, s20, v21, v[3:4]
	v_mad_co_u64_u32 v[4:5], null, s22, v21, v[5:6]
	s_wait_alu 0xfffe
	s_cbranch_vccnz .LBB49_38
; %bb.12:                               ;   in Loop: Header=BB49_3 Depth=1
	s_mov_b32 s3, 1
	s_and_not1_b32 vcc_lo, exec_lo, s51
	s_mov_b32 s26, s33
	s_mov_b32 s2, s33
	s_wait_alu 0xfffe
	s_cbranch_vccz .LBB49_15
; %bb.13:                               ;   in Loop: Header=BB49_3 Depth=1
	s_and_b32 vcc_lo, exec_lo, s52
	s_mov_b32 s26, s2
	s_wait_alu 0xfffe
	s_cbranch_vccnz .LBB49_20
	s_branch .LBB49_38
.LBB49_14:                              ;   in Loop: Header=BB49_15 Depth=2
	s_wait_alu 0xfffe
	s_or_b32 exec_lo, exec_lo, s2
	s_add_nc_u64 s[34:35], s[0:1], s[34:35]
	s_clause 0x1
	s_load_b32 s2, s[6:7], 0x6c
	s_load_b32 s5, s[34:35], 0x6c
	v_mul_lo_u32 v3, v10, s4
	s_add_co_i32 s26, s26, -1
	s_delay_alu instid0(VALU_DEP_1) | instskip(SKIP_2) | instid1(VALU_DEP_2)
	v_sub_nc_u32_e32 v3, v8, v3
	v_dual_mov_b32 v8, v10 :: v_dual_mov_b32 v9, v11
	s_wait_kmcnt 0x0
	v_mad_co_u64_u32 v[6:7], null, s2, v3, v[6:7]
	v_mad_co_u64_u32 v[4:5], null, s5, v3, v[4:5]
	s_xor_b32 s2, s46, s3
	s_add_co_i32 s3, s3, 1
	s_wait_alu 0xfffe
	s_cmp_lg_u32 s2, 2
	s_cbranch_scc0 .LBB49_19
.LBB49_15:                              ;   Parent Loop BB49_3 Depth=1
                                        ; =>  This Inner Loop Header: Depth=2
	s_lshl_b64 s[34:35], s[26:27], 2
                                        ; implicit-def: $vgpr10_vgpr11
	s_mov_b32 s2, exec_lo
	s_wait_alu 0xfffe
	s_add_nc_u64 s[6:7], s[18:19], s[34:35]
	s_load_b32 s4, s[6:7], 0x8
	s_wait_kmcnt 0x0
	s_ashr_i32 s5, s4, 31
	s_wait_alu 0xfffe
	v_or_b32_e32 v3, s5, v9
	s_delay_alu instid0(VALU_DEP_1)
	v_cmpx_ne_u64_e32 0, v[2:3]
	s_xor_b32 s8, exec_lo, s2
	s_cbranch_execz .LBB49_17
; %bb.16:                               ;   in Loop: Header=BB49_15 Depth=2
	s_ashr_i32 s36, s5, 31
	s_mov_b32 s45, s27
	s_wait_alu 0xfffe
	s_mov_b32 s37, s36
	s_mov_b32 s59, s27
	s_wait_alu 0xfffe
	s_add_nc_u64 s[38:39], s[4:5], s[36:37]
	v_ashrrev_i32_e32 v3, 31, v9
	s_wait_alu 0xfffe
	s_xor_b64 s[38:39], s[38:39], s[36:37]
	s_wait_alu 0xfffe
	s_cvt_f32_u32 s2, s38
	s_cvt_f32_u32 s5, s39
	s_sub_nc_u64 s[42:43], 0, s[38:39]
	v_add_co_u32 v5, vcc_lo, v8, v3
	s_wait_alu 0xfffe
	s_fmamk_f32 s2, s5, 0x4f800000, s2
	s_wait_alu 0xfffd
	v_add_co_ci_u32_e64 v7, null, v9, v3, vcc_lo
	v_xor_b32_e32 v5, v5, v3
	s_wait_alu 0xfffe
	v_s_rcp_f32 s2, s2
	s_delay_alu instid0(VALU_DEP_2) | instskip(SKIP_1) | instid1(TRANS32_DEP_1)
	v_xor_b32_e32 v7, v7, v3
	v_xor_b32_e32 v3, s36, v3
	s_mul_f32 s2, s2, 0x5f7ffffc
	s_wait_alu 0xfffe
	s_delay_alu instid0(SALU_CYCLE_2) | instskip(SKIP_1) | instid1(SALU_CYCLE_2)
	s_mul_f32 s5, s2, 0x2f800000
	s_wait_alu 0xfffe
	s_trunc_f32 s5, s5
	s_wait_alu 0xfffe
	s_delay_alu instid0(SALU_CYCLE_2) | instskip(SKIP_2) | instid1(SALU_CYCLE_1)
	s_fmamk_f32 s2, s5, 0xcf800000, s2
	s_cvt_u32_f32 s41, s5
	s_wait_alu 0xfffe
	s_cvt_u32_f32 s40, s2
	s_wait_alu 0xfffe
	s_delay_alu instid0(SALU_CYCLE_2) | instskip(NEXT) | instid1(SALU_CYCLE_1)
	s_mul_u64 s[56:57], s[42:43], s[40:41]
	s_mul_hi_u32 s61, s40, s57
	s_mul_i32 s60, s40, s57
	s_mul_hi_u32 s44, s40, s56
	s_mul_i32 s5, s41, s56
	s_wait_alu 0xfffe
	s_add_nc_u64 s[44:45], s[44:45], s[60:61]
	s_mul_hi_u32 s2, s41, s56
	s_mul_hi_u32 s31, s41, s57
	s_wait_alu 0xfffe
	s_add_co_u32 s5, s44, s5
	s_add_co_ci_u32 s58, s45, s2
	s_mul_i32 s56, s41, s57
	s_add_co_ci_u32 s57, s31, 0
	s_delay_alu instid0(SALU_CYCLE_1)
	s_add_nc_u64 s[44:45], s[58:59], s[56:57]
	s_mov_b32 s57, s27
	s_wait_alu 0xfffe
	s_add_co_u32 s40, s40, s44
	s_cselect_b32 s2, -1, 0
	s_wait_alu 0xfffe
	s_cmp_lg_u32 s2, 0
	s_add_co_ci_u32 s41, s41, s45
	s_mov_b32 s45, s27
	s_wait_alu 0xfffe
	s_mul_u64 s[42:43], s[42:43], s[40:41]
	s_wait_alu 0xfffe
	s_mul_hi_u32 s59, s40, s43
	s_mul_i32 s58, s40, s43
	s_mul_hi_u32 s56, s40, s42
	s_mul_i32 s5, s41, s42
	s_add_nc_u64 s[56:57], s[56:57], s[58:59]
	s_mul_hi_u32 s2, s41, s42
	s_mul_hi_u32 s31, s41, s43
	s_wait_alu 0xfffe
	s_add_co_u32 s5, s56, s5
	s_add_co_ci_u32 s44, s57, s2
	s_mul_i32 s42, s41, s43
	s_add_co_ci_u32 s43, s31, 0
	s_wait_alu 0xfffe
	s_add_nc_u64 s[42:43], s[44:45], s[42:43]
	s_wait_alu 0xfffe
	s_add_co_u32 s2, s40, s42
	s_cselect_b32 s5, -1, 0
	s_wait_alu 0xfffe
	v_mul_hi_u32 v15, v5, s2
	s_cmp_lg_u32 s5, 0
	v_mad_co_u64_u32 v[11:12], null, v7, s2, 0
	s_add_co_ci_u32 s5, s41, s43
	s_wait_alu 0xfffe
	v_mad_co_u64_u32 v[9:10], null, v5, s5, 0
	v_mad_co_u64_u32 v[13:14], null, v7, s5, 0
	s_delay_alu instid0(VALU_DEP_2) | instskip(SKIP_1) | instid1(VALU_DEP_3)
	v_add_co_u32 v9, vcc_lo, v15, v9
	s_wait_alu 0xfffd
	v_add_co_ci_u32_e64 v10, null, 0, v10, vcc_lo
	s_delay_alu instid0(VALU_DEP_2) | instskip(SKIP_1) | instid1(VALU_DEP_2)
	v_add_co_u32 v9, vcc_lo, v9, v11
	s_wait_alu 0xfffd
	v_add_co_ci_u32_e32 v9, vcc_lo, v10, v12, vcc_lo
	s_wait_alu 0xfffd
	v_add_co_ci_u32_e32 v10, vcc_lo, 0, v14, vcc_lo
	s_delay_alu instid0(VALU_DEP_2) | instskip(SKIP_1) | instid1(VALU_DEP_2)
	v_add_co_u32 v11, vcc_lo, v9, v13
	s_wait_alu 0xfffd
	v_add_co_ci_u32_e64 v12, null, 0, v10, vcc_lo
	s_delay_alu instid0(VALU_DEP_2) | instskip(SKIP_1) | instid1(VALU_DEP_3)
	v_mul_lo_u32 v13, s39, v11
	v_mad_co_u64_u32 v[9:10], null, s38, v11, 0
	v_mul_lo_u32 v14, s38, v12
	s_delay_alu instid0(VALU_DEP_2) | instskip(NEXT) | instid1(VALU_DEP_2)
	v_sub_co_u32 v5, vcc_lo, v5, v9
	v_add3_u32 v10, v10, v14, v13
	s_delay_alu instid0(VALU_DEP_1) | instskip(SKIP_2) | instid1(VALU_DEP_2)
	v_sub_nc_u32_e32 v13, v7, v10
	s_wait_alu 0xfffd
	v_sub_co_ci_u32_e64 v7, null, v7, v10, vcc_lo
	v_subrev_co_ci_u32_e64 v9, null, s39, v13, vcc_lo
	v_add_co_u32 v13, s2, v11, 2
	s_wait_alu 0xf1ff
	v_add_co_ci_u32_e64 v14, null, 0, v12, s2
	v_sub_co_u32 v15, s2, v5, s38
	s_wait_alu 0xf1ff
	v_subrev_co_ci_u32_e64 v9, null, 0, v9, s2
	s_delay_alu instid0(VALU_DEP_2) | instskip(SKIP_2) | instid1(VALU_DEP_3)
	v_cmp_le_u32_e32 vcc_lo, s38, v15
	s_wait_alu 0xfffd
	v_cndmask_b32_e64 v10, 0, -1, vcc_lo
	v_cmp_le_u32_e32 vcc_lo, s39, v9
	s_wait_alu 0xfffd
	v_cndmask_b32_e64 v15, 0, -1, vcc_lo
	;; [unrolled: 3-line block ×4, first 2 shown]
	v_cmp_eq_u32_e32 vcc_lo, s39, v9
	s_wait_alu 0xfffd
	v_cndmask_b32_e32 v9, v15, v10, vcc_lo
	v_add_co_u32 v10, vcc_lo, v11, 1
	s_wait_alu 0xfffd
	v_add_co_ci_u32_e64 v15, null, 0, v12, vcc_lo
	v_cmp_eq_u32_e32 vcc_lo, s39, v7
	s_wait_alu 0xfffd
	v_cndmask_b32_e32 v5, v16, v5, vcc_lo
	v_cmp_ne_u32_e32 vcc_lo, 0, v9
	s_delay_alu instid0(VALU_DEP_2) | instskip(SKIP_4) | instid1(VALU_DEP_2)
	v_cmp_ne_u32_e64 s2, 0, v5
	s_wait_alu 0xfffd
	v_cndmask_b32_e32 v5, v10, v13, vcc_lo
	v_cndmask_b32_e32 v7, v15, v14, vcc_lo
	s_wait_alu 0xf1ff
	v_cndmask_b32_e64 v5, v11, v5, s2
	s_delay_alu instid0(VALU_DEP_2) | instskip(NEXT) | instid1(VALU_DEP_2)
	v_cndmask_b32_e64 v7, v12, v7, s2
	v_xor_b32_e32 v5, v5, v3
	s_delay_alu instid0(VALU_DEP_2) | instskip(NEXT) | instid1(VALU_DEP_2)
	v_xor_b32_e32 v7, v7, v3
	v_sub_co_u32 v10, vcc_lo, v5, v3
	s_wait_alu 0xfffd
	s_delay_alu instid0(VALU_DEP_2)
	v_sub_co_ci_u32_e64 v11, null, v7, v3, vcc_lo
.LBB49_17:                              ;   in Loop: Header=BB49_15 Depth=2
	s_wait_alu 0xfffe
	s_and_not1_saveexec_b32 s2, s8
	s_cbranch_execz .LBB49_14
; %bb.18:                               ;   in Loop: Header=BB49_15 Depth=2
	v_cvt_f32_u32_e32 v3, s4
	s_sub_co_i32 s5, 0, s4
	v_mov_b32_e32 v11, v2
	s_delay_alu instid0(VALU_DEP_2) | instskip(NEXT) | instid1(TRANS32_DEP_1)
	v_rcp_iflag_f32_e32 v3, v3
	v_mul_f32_e32 v3, 0x4f7ffffe, v3
	s_delay_alu instid0(VALU_DEP_1) | instskip(SKIP_1) | instid1(VALU_DEP_1)
	v_cvt_u32_f32_e32 v3, v3
	s_wait_alu 0xfffe
	v_mul_lo_u32 v5, s5, v3
	s_delay_alu instid0(VALU_DEP_1) | instskip(NEXT) | instid1(VALU_DEP_1)
	v_mul_hi_u32 v5, v3, v5
	v_add_nc_u32_e32 v3, v3, v5
	s_delay_alu instid0(VALU_DEP_1) | instskip(NEXT) | instid1(VALU_DEP_1)
	v_mul_hi_u32 v3, v8, v3
	v_mul_lo_u32 v5, v3, s4
	v_add_nc_u32_e32 v7, 1, v3
	s_delay_alu instid0(VALU_DEP_2) | instskip(NEXT) | instid1(VALU_DEP_1)
	v_sub_nc_u32_e32 v5, v8, v5
	v_cmp_le_u32_e32 vcc_lo, s4, v5
	v_subrev_nc_u32_e32 v9, s4, v5
	s_wait_alu 0xfffd
	v_cndmask_b32_e32 v3, v3, v7, vcc_lo
	s_delay_alu instid0(VALU_DEP_1) | instskip(NEXT) | instid1(VALU_DEP_3)
	v_add_nc_u32_e32 v7, 1, v3
	v_cndmask_b32_e32 v5, v5, v9, vcc_lo
	s_delay_alu instid0(VALU_DEP_1) | instskip(SKIP_1) | instid1(VALU_DEP_3)
	v_cmp_le_u32_e32 vcc_lo, s4, v5
	s_wait_alu 0xfffd
	v_cndmask_b32_e32 v10, v3, v7, vcc_lo
	s_branch .LBB49_14
.LBB49_19:                              ;   in Loop: Header=BB49_3 Depth=1
	s_mov_b32 s2, s26
	s_and_b32 vcc_lo, exec_lo, s52
	s_wait_alu 0xfffe
	s_mov_b32 s26, s2
	s_cbranch_vccz .LBB49_38
.LBB49_20:                              ;   Parent Loop BB49_3 Depth=1
                                        ; =>  This Inner Loop Header: Depth=2
	s_lshl_b64 s[40:41], s[26:27], 2
                                        ; implicit-def: $vgpr10_vgpr11
	s_mov_b32 s2, exec_lo
	s_wait_alu 0xfffe
	s_add_nc_u64 s[34:35], s[18:19], s[40:41]
	s_load_b32 s4, s[34:35], 0x8
	s_wait_kmcnt 0x0
	s_ashr_i32 s5, s4, 31
	s_wait_alu 0xfffe
	v_or_b32_e32 v3, s5, v9
	s_delay_alu instid0(VALU_DEP_1)
	v_cmpx_ne_u64_e32 0, v[2:3]
	s_xor_b32 s3, exec_lo, s2
	s_cbranch_execz .LBB49_22
; %bb.21:                               ;   in Loop: Header=BB49_20 Depth=2
	s_ashr_i32 s6, s5, 31
	s_mov_b32 s45, s27
	s_wait_alu 0xfffe
	s_mov_b32 s7, s6
	s_mov_b32 s59, s27
	s_wait_alu 0xfffe
	s_add_nc_u64 s[36:37], s[4:5], s[6:7]
	v_ashrrev_i32_e32 v3, 31, v9
	s_wait_alu 0xfffe
	s_xor_b64 s[36:37], s[36:37], s[6:7]
	s_wait_alu 0xfffe
	s_cvt_f32_u32 s2, s36
	s_cvt_f32_u32 s5, s37
	s_sub_nc_u64 s[42:43], 0, s[36:37]
	v_add_co_u32 v5, vcc_lo, v8, v3
	s_wait_alu 0xfffe
	s_fmamk_f32 s2, s5, 0x4f800000, s2
	s_wait_alu 0xfffd
	v_add_co_ci_u32_e64 v7, null, v9, v3, vcc_lo
	v_xor_b32_e32 v5, v5, v3
	s_wait_alu 0xfffe
	v_s_rcp_f32 s2, s2
	s_delay_alu instid0(VALU_DEP_2) | instskip(SKIP_1) | instid1(TRANS32_DEP_1)
	v_xor_b32_e32 v7, v7, v3
	v_xor_b32_e32 v3, s6, v3
	s_mul_f32 s2, s2, 0x5f7ffffc
	s_wait_alu 0xfffe
	s_delay_alu instid0(SALU_CYCLE_2) | instskip(SKIP_1) | instid1(SALU_CYCLE_2)
	s_mul_f32 s5, s2, 0x2f800000
	s_wait_alu 0xfffe
	s_trunc_f32 s5, s5
	s_wait_alu 0xfffe
	s_delay_alu instid0(SALU_CYCLE_2) | instskip(SKIP_2) | instid1(SALU_CYCLE_1)
	s_fmamk_f32 s2, s5, 0xcf800000, s2
	s_cvt_u32_f32 s39, s5
	s_wait_alu 0xfffe
	s_cvt_u32_f32 s38, s2
	s_wait_alu 0xfffe
	s_delay_alu instid0(SALU_CYCLE_2) | instskip(NEXT) | instid1(SALU_CYCLE_1)
	s_mul_u64 s[56:57], s[42:43], s[38:39]
	s_mul_hi_u32 s61, s38, s57
	s_mul_i32 s60, s38, s57
	s_mul_hi_u32 s44, s38, s56
	s_mul_i32 s5, s39, s56
	s_wait_alu 0xfffe
	s_add_nc_u64 s[44:45], s[44:45], s[60:61]
	s_mul_hi_u32 s2, s39, s56
	s_mul_hi_u32 s7, s39, s57
	s_wait_alu 0xfffe
	s_add_co_u32 s5, s44, s5
	s_add_co_ci_u32 s58, s45, s2
	s_mul_i32 s56, s39, s57
	s_add_co_ci_u32 s57, s7, 0
	s_delay_alu instid0(SALU_CYCLE_1)
	s_add_nc_u64 s[44:45], s[58:59], s[56:57]
	s_mov_b32 s57, s27
	s_wait_alu 0xfffe
	s_add_co_u32 s38, s38, s44
	s_cselect_b32 s2, -1, 0
	s_wait_alu 0xfffe
	s_cmp_lg_u32 s2, 0
	s_add_co_ci_u32 s39, s39, s45
	s_mov_b32 s45, s27
	s_wait_alu 0xfffe
	s_mul_u64 s[42:43], s[42:43], s[38:39]
	s_wait_alu 0xfffe
	s_mul_hi_u32 s59, s38, s43
	s_mul_i32 s58, s38, s43
	s_mul_hi_u32 s56, s38, s42
	s_mul_i32 s5, s39, s42
	s_add_nc_u64 s[56:57], s[56:57], s[58:59]
	s_mul_hi_u32 s2, s39, s42
	s_mul_hi_u32 s7, s39, s43
	s_wait_alu 0xfffe
	s_add_co_u32 s5, s56, s5
	s_add_co_ci_u32 s44, s57, s2
	s_mul_i32 s42, s39, s43
	s_add_co_ci_u32 s43, s7, 0
	s_wait_alu 0xfffe
	s_add_nc_u64 s[42:43], s[44:45], s[42:43]
	s_wait_alu 0xfffe
	s_add_co_u32 s2, s38, s42
	s_cselect_b32 s5, -1, 0
	s_wait_alu 0xfffe
	v_mul_hi_u32 v15, v5, s2
	s_cmp_lg_u32 s5, 0
	v_mad_co_u64_u32 v[11:12], null, v7, s2, 0
	s_add_co_ci_u32 s5, s39, s43
	s_wait_alu 0xfffe
	v_mad_co_u64_u32 v[9:10], null, v5, s5, 0
	v_mad_co_u64_u32 v[13:14], null, v7, s5, 0
	s_delay_alu instid0(VALU_DEP_2) | instskip(SKIP_1) | instid1(VALU_DEP_3)
	v_add_co_u32 v9, vcc_lo, v15, v9
	s_wait_alu 0xfffd
	v_add_co_ci_u32_e64 v10, null, 0, v10, vcc_lo
	s_delay_alu instid0(VALU_DEP_2) | instskip(SKIP_1) | instid1(VALU_DEP_2)
	v_add_co_u32 v9, vcc_lo, v9, v11
	s_wait_alu 0xfffd
	v_add_co_ci_u32_e32 v9, vcc_lo, v10, v12, vcc_lo
	s_wait_alu 0xfffd
	v_add_co_ci_u32_e32 v10, vcc_lo, 0, v14, vcc_lo
	s_delay_alu instid0(VALU_DEP_2) | instskip(SKIP_1) | instid1(VALU_DEP_2)
	v_add_co_u32 v11, vcc_lo, v9, v13
	s_wait_alu 0xfffd
	v_add_co_ci_u32_e64 v12, null, 0, v10, vcc_lo
	s_delay_alu instid0(VALU_DEP_2) | instskip(SKIP_1) | instid1(VALU_DEP_3)
	v_mul_lo_u32 v13, s37, v11
	v_mad_co_u64_u32 v[9:10], null, s36, v11, 0
	v_mul_lo_u32 v14, s36, v12
	s_delay_alu instid0(VALU_DEP_2) | instskip(NEXT) | instid1(VALU_DEP_2)
	v_sub_co_u32 v5, vcc_lo, v5, v9
	v_add3_u32 v10, v10, v14, v13
	s_delay_alu instid0(VALU_DEP_1) | instskip(SKIP_2) | instid1(VALU_DEP_2)
	v_sub_nc_u32_e32 v13, v7, v10
	s_wait_alu 0xfffd
	v_sub_co_ci_u32_e64 v7, null, v7, v10, vcc_lo
	v_subrev_co_ci_u32_e64 v9, null, s37, v13, vcc_lo
	v_add_co_u32 v13, s2, v11, 2
	s_wait_alu 0xf1ff
	v_add_co_ci_u32_e64 v14, null, 0, v12, s2
	v_sub_co_u32 v15, s2, v5, s36
	s_wait_alu 0xf1ff
	v_subrev_co_ci_u32_e64 v9, null, 0, v9, s2
	s_delay_alu instid0(VALU_DEP_2) | instskip(SKIP_2) | instid1(VALU_DEP_3)
	v_cmp_le_u32_e32 vcc_lo, s36, v15
	s_wait_alu 0xfffd
	v_cndmask_b32_e64 v10, 0, -1, vcc_lo
	v_cmp_le_u32_e32 vcc_lo, s37, v9
	s_wait_alu 0xfffd
	v_cndmask_b32_e64 v15, 0, -1, vcc_lo
	;; [unrolled: 3-line block ×4, first 2 shown]
	v_cmp_eq_u32_e32 vcc_lo, s37, v9
	s_wait_alu 0xfffd
	v_cndmask_b32_e32 v9, v15, v10, vcc_lo
	v_add_co_u32 v10, vcc_lo, v11, 1
	s_wait_alu 0xfffd
	v_add_co_ci_u32_e64 v15, null, 0, v12, vcc_lo
	v_cmp_eq_u32_e32 vcc_lo, s37, v7
	s_wait_alu 0xfffd
	v_cndmask_b32_e32 v5, v16, v5, vcc_lo
	v_cmp_ne_u32_e32 vcc_lo, 0, v9
	s_delay_alu instid0(VALU_DEP_2) | instskip(SKIP_4) | instid1(VALU_DEP_2)
	v_cmp_ne_u32_e64 s2, 0, v5
	s_wait_alu 0xfffd
	v_cndmask_b32_e32 v5, v10, v13, vcc_lo
	v_cndmask_b32_e32 v7, v15, v14, vcc_lo
	s_wait_alu 0xf1ff
	v_cndmask_b32_e64 v5, v11, v5, s2
	s_delay_alu instid0(VALU_DEP_2) | instskip(NEXT) | instid1(VALU_DEP_2)
	v_cndmask_b32_e64 v7, v12, v7, s2
	v_xor_b32_e32 v5, v5, v3
	s_delay_alu instid0(VALU_DEP_2) | instskip(NEXT) | instid1(VALU_DEP_2)
	v_xor_b32_e32 v7, v7, v3
	v_sub_co_u32 v10, vcc_lo, v5, v3
	s_wait_alu 0xfffd
	s_delay_alu instid0(VALU_DEP_2)
	v_sub_co_ci_u32_e64 v11, null, v7, v3, vcc_lo
.LBB49_22:                              ;   in Loop: Header=BB49_20 Depth=2
	s_wait_alu 0xfffe
	s_and_not1_saveexec_b32 s2, s3
	s_cbranch_execz .LBB49_24
; %bb.23:                               ;   in Loop: Header=BB49_20 Depth=2
	v_cvt_f32_u32_e32 v3, s4
	s_sub_co_i32 s3, 0, s4
	v_mov_b32_e32 v11, v2
	s_delay_alu instid0(VALU_DEP_2) | instskip(NEXT) | instid1(TRANS32_DEP_1)
	v_rcp_iflag_f32_e32 v3, v3
	v_mul_f32_e32 v3, 0x4f7ffffe, v3
	s_delay_alu instid0(VALU_DEP_1) | instskip(SKIP_1) | instid1(VALU_DEP_1)
	v_cvt_u32_f32_e32 v3, v3
	s_wait_alu 0xfffe
	v_mul_lo_u32 v5, s3, v3
	s_delay_alu instid0(VALU_DEP_1) | instskip(NEXT) | instid1(VALU_DEP_1)
	v_mul_hi_u32 v5, v3, v5
	v_add_nc_u32_e32 v3, v3, v5
	s_delay_alu instid0(VALU_DEP_1) | instskip(NEXT) | instid1(VALU_DEP_1)
	v_mul_hi_u32 v3, v8, v3
	v_mul_lo_u32 v5, v3, s4
	v_add_nc_u32_e32 v7, 1, v3
	s_delay_alu instid0(VALU_DEP_2) | instskip(NEXT) | instid1(VALU_DEP_1)
	v_sub_nc_u32_e32 v5, v8, v5
	v_cmp_le_u32_e32 vcc_lo, s4, v5
	v_subrev_nc_u32_e32 v9, s4, v5
	s_wait_alu 0xfffd
	v_cndmask_b32_e32 v3, v3, v7, vcc_lo
	s_delay_alu instid0(VALU_DEP_1) | instskip(NEXT) | instid1(VALU_DEP_3)
	v_add_nc_u32_e32 v7, 1, v3
	v_cndmask_b32_e32 v5, v5, v9, vcc_lo
	s_delay_alu instid0(VALU_DEP_1) | instskip(SKIP_1) | instid1(VALU_DEP_3)
	v_cmp_le_u32_e32 vcc_lo, s4, v5
	s_wait_alu 0xfffd
	v_cndmask_b32_e32 v10, v3, v7, vcc_lo
.LBB49_24:                              ;   in Loop: Header=BB49_20 Depth=2
	s_wait_alu 0xfffe
	s_or_b32 exec_lo, exec_lo, s2
	s_add_co_i32 s2, s26, -1
	s_mov_b32 s3, s27
	s_add_nc_u64 s[40:41], s[0:1], s[40:41]
	s_wait_alu 0xfffe
	s_lshl_b64 s[38:39], s[2:3], 2
                                        ; implicit-def: $vgpr12_vgpr13
	s_mov_b32 s2, exec_lo
	s_wait_alu 0xfffe
	s_add_nc_u64 s[36:37], s[18:19], s[38:39]
	s_clause 0x2
	s_load_b32 s6, s[36:37], 0x8
	s_load_b32 s3, s[34:35], 0x6c
	;; [unrolled: 1-line block ×3, first 2 shown]
	s_wait_kmcnt 0x0
	s_ashr_i32 s7, s6, 31
	s_wait_alu 0xfffe
	v_or_b32_e32 v3, s7, v11
	s_delay_alu instid0(VALU_DEP_1)
	v_cmpx_ne_u64_e32 0, v[2:3]
	s_xor_b32 s8, exec_lo, s2
	s_cbranch_execz .LBB49_26
; %bb.25:                               ;   in Loop: Header=BB49_20 Depth=2
	s_ashr_i32 s34, s7, 31
	s_mov_b32 s57, s27
	s_wait_alu 0xfffe
	s_mov_b32 s35, s34
	s_mov_b32 s61, s27
	s_wait_alu 0xfffe
	s_add_nc_u64 s[40:41], s[6:7], s[34:35]
	v_ashrrev_i32_e32 v3, 31, v11
	s_wait_alu 0xfffe
	s_xor_b64 s[40:41], s[40:41], s[34:35]
	s_wait_alu 0xfffe
	s_cvt_f32_u32 s2, s40
	s_cvt_f32_u32 s7, s41
	s_sub_nc_u64 s[44:45], 0, s[40:41]
	v_add_co_u32 v5, vcc_lo, v10, v3
	s_wait_alu 0xfffe
	s_fmamk_f32 s2, s7, 0x4f800000, s2
	s_wait_alu 0xfffd
	v_add_co_ci_u32_e64 v7, null, v11, v3, vcc_lo
	v_xor_b32_e32 v5, v5, v3
	s_wait_alu 0xfffe
	v_s_rcp_f32 s2, s2
	s_delay_alu instid0(VALU_DEP_2) | instskip(SKIP_1) | instid1(TRANS32_DEP_1)
	v_xor_b32_e32 v7, v7, v3
	v_xor_b32_e32 v3, s34, v3
	s_mul_f32 s2, s2, 0x5f7ffffc
	s_wait_alu 0xfffe
	s_delay_alu instid0(SALU_CYCLE_2) | instskip(SKIP_1) | instid1(SALU_CYCLE_2)
	s_mul_f32 s7, s2, 0x2f800000
	s_wait_alu 0xfffe
	s_trunc_f32 s7, s7
	s_wait_alu 0xfffe
	s_delay_alu instid0(SALU_CYCLE_2) | instskip(SKIP_2) | instid1(SALU_CYCLE_1)
	s_fmamk_f32 s2, s7, 0xcf800000, s2
	s_cvt_u32_f32 s43, s7
	s_wait_alu 0xfffe
	s_cvt_u32_f32 s42, s2
	s_wait_alu 0xfffe
	s_delay_alu instid0(SALU_CYCLE_2) | instskip(NEXT) | instid1(SALU_CYCLE_1)
	s_mul_u64 s[58:59], s[44:45], s[42:43]
	s_mul_hi_u32 s63, s42, s59
	s_mul_i32 s62, s42, s59
	s_mul_hi_u32 s56, s42, s58
	s_mul_i32 s7, s43, s58
	s_add_nc_u64 s[56:57], s[56:57], s[62:63]
	s_mul_hi_u32 s2, s43, s58
	s_mul_hi_u32 s31, s43, s59
	s_wait_alu 0xfffe
	s_add_co_u32 s7, s56, s7
	s_add_co_ci_u32 s60, s57, s2
	s_mul_i32 s58, s43, s59
	s_add_co_ci_u32 s59, s31, 0
	s_delay_alu instid0(SALU_CYCLE_1)
	s_add_nc_u64 s[56:57], s[60:61], s[58:59]
	s_mov_b32 s59, s27
	s_add_co_u32 s42, s42, s56
	s_cselect_b32 s2, -1, 0
	s_wait_alu 0xfffe
	s_cmp_lg_u32 s2, 0
	s_add_co_ci_u32 s43, s43, s57
	s_mov_b32 s57, s27
	s_wait_alu 0xfffe
	s_mul_u64 s[44:45], s[44:45], s[42:43]
	s_wait_alu 0xfffe
	s_mul_hi_u32 s61, s42, s45
	s_mul_i32 s60, s42, s45
	s_mul_hi_u32 s58, s42, s44
	s_mul_i32 s7, s43, s44
	s_add_nc_u64 s[58:59], s[58:59], s[60:61]
	s_mul_hi_u32 s2, s43, s44
	s_mul_hi_u32 s31, s43, s45
	s_wait_alu 0xfffe
	s_add_co_u32 s7, s58, s7
	s_add_co_ci_u32 s56, s59, s2
	s_mul_i32 s44, s43, s45
	s_add_co_ci_u32 s45, s31, 0
	s_wait_alu 0xfffe
	s_add_nc_u64 s[44:45], s[56:57], s[44:45]
	s_wait_alu 0xfffe
	s_add_co_u32 s2, s42, s44
	s_cselect_b32 s7, -1, 0
	s_wait_alu 0xfffe
	v_mul_hi_u32 v9, v5, s2
	s_cmp_lg_u32 s7, 0
	v_mad_co_u64_u32 v[13:14], null, v7, s2, 0
	s_add_co_ci_u32 s7, s43, s45
	s_wait_alu 0xfffe
	v_mad_co_u64_u32 v[11:12], null, v5, s7, 0
	v_mad_co_u64_u32 v[15:16], null, v7, s7, 0
	s_delay_alu instid0(VALU_DEP_2) | instskip(SKIP_1) | instid1(VALU_DEP_3)
	v_add_co_u32 v9, vcc_lo, v9, v11
	s_wait_alu 0xfffd
	v_add_co_ci_u32_e64 v11, null, 0, v12, vcc_lo
	s_delay_alu instid0(VALU_DEP_2) | instskip(SKIP_1) | instid1(VALU_DEP_2)
	v_add_co_u32 v9, vcc_lo, v9, v13
	s_wait_alu 0xfffd
	v_add_co_ci_u32_e32 v9, vcc_lo, v11, v14, vcc_lo
	s_wait_alu 0xfffd
	v_add_co_ci_u32_e32 v11, vcc_lo, 0, v16, vcc_lo
	s_delay_alu instid0(VALU_DEP_2) | instskip(SKIP_1) | instid1(VALU_DEP_2)
	v_add_co_u32 v9, vcc_lo, v9, v15
	s_wait_alu 0xfffd
	v_add_co_ci_u32_e64 v13, null, 0, v11, vcc_lo
	s_delay_alu instid0(VALU_DEP_2) | instskip(SKIP_1) | instid1(VALU_DEP_3)
	v_mul_lo_u32 v14, s41, v9
	v_mad_co_u64_u32 v[11:12], null, s40, v9, 0
	v_mul_lo_u32 v15, s40, v13
	s_delay_alu instid0(VALU_DEP_2) | instskip(NEXT) | instid1(VALU_DEP_2)
	v_sub_co_u32 v5, vcc_lo, v5, v11
	v_add3_u32 v12, v12, v15, v14
	s_delay_alu instid0(VALU_DEP_1) | instskip(SKIP_2) | instid1(VALU_DEP_2)
	v_sub_nc_u32_e32 v14, v7, v12
	s_wait_alu 0xfffd
	v_sub_co_ci_u32_e64 v7, null, v7, v12, vcc_lo
	v_subrev_co_ci_u32_e64 v11, null, s41, v14, vcc_lo
	v_add_co_u32 v14, s2, v9, 2
	s_wait_alu 0xf1ff
	v_add_co_ci_u32_e64 v15, null, 0, v13, s2
	v_sub_co_u32 v16, s2, v5, s40
	s_wait_alu 0xf1ff
	v_subrev_co_ci_u32_e64 v11, null, 0, v11, s2
	s_delay_alu instid0(VALU_DEP_2) | instskip(SKIP_2) | instid1(VALU_DEP_3)
	v_cmp_le_u32_e32 vcc_lo, s40, v16
	s_wait_alu 0xfffd
	v_cndmask_b32_e64 v12, 0, -1, vcc_lo
	v_cmp_le_u32_e32 vcc_lo, s41, v11
	s_wait_alu 0xfffd
	v_cndmask_b32_e64 v16, 0, -1, vcc_lo
	;; [unrolled: 3-line block ×4, first 2 shown]
	v_cmp_eq_u32_e32 vcc_lo, s41, v11
	s_wait_alu 0xfffd
	v_cndmask_b32_e32 v11, v16, v12, vcc_lo
	v_add_co_u32 v12, vcc_lo, v9, 1
	s_wait_alu 0xfffd
	v_add_co_ci_u32_e64 v16, null, 0, v13, vcc_lo
	v_cmp_eq_u32_e32 vcc_lo, s41, v7
	s_wait_alu 0xfffd
	v_cndmask_b32_e32 v5, v17, v5, vcc_lo
	v_cmp_ne_u32_e32 vcc_lo, 0, v11
	s_delay_alu instid0(VALU_DEP_2) | instskip(SKIP_4) | instid1(VALU_DEP_2)
	v_cmp_ne_u32_e64 s2, 0, v5
	s_wait_alu 0xfffd
	v_cndmask_b32_e32 v5, v12, v14, vcc_lo
	v_cndmask_b32_e32 v7, v16, v15, vcc_lo
	s_wait_alu 0xf1ff
	v_cndmask_b32_e64 v5, v9, v5, s2
	s_delay_alu instid0(VALU_DEP_2) | instskip(NEXT) | instid1(VALU_DEP_2)
	v_cndmask_b32_e64 v7, v13, v7, s2
	v_xor_b32_e32 v5, v5, v3
	s_delay_alu instid0(VALU_DEP_2) | instskip(NEXT) | instid1(VALU_DEP_2)
	v_xor_b32_e32 v7, v7, v3
	v_sub_co_u32 v12, vcc_lo, v5, v3
	s_wait_alu 0xfffd
	s_delay_alu instid0(VALU_DEP_2)
	v_sub_co_ci_u32_e64 v13, null, v7, v3, vcc_lo
.LBB49_26:                              ;   in Loop: Header=BB49_20 Depth=2
	s_wait_alu 0xfffe
	s_and_not1_saveexec_b32 s2, s8
	s_cbranch_execz .LBB49_28
; %bb.27:                               ;   in Loop: Header=BB49_20 Depth=2
	v_cvt_f32_u32_e32 v3, s6
	s_sub_co_i32 s7, 0, s6
	v_mov_b32_e32 v13, v2
	s_delay_alu instid0(VALU_DEP_2) | instskip(NEXT) | instid1(TRANS32_DEP_1)
	v_rcp_iflag_f32_e32 v3, v3
	v_mul_f32_e32 v3, 0x4f7ffffe, v3
	s_delay_alu instid0(VALU_DEP_1) | instskip(SKIP_1) | instid1(VALU_DEP_1)
	v_cvt_u32_f32_e32 v3, v3
	s_wait_alu 0xfffe
	v_mul_lo_u32 v5, s7, v3
	s_delay_alu instid0(VALU_DEP_1) | instskip(NEXT) | instid1(VALU_DEP_1)
	v_mul_hi_u32 v5, v3, v5
	v_add_nc_u32_e32 v3, v3, v5
	s_delay_alu instid0(VALU_DEP_1) | instskip(NEXT) | instid1(VALU_DEP_1)
	v_mul_hi_u32 v3, v10, v3
	v_mul_lo_u32 v5, v3, s6
	v_add_nc_u32_e32 v7, 1, v3
	s_delay_alu instid0(VALU_DEP_2) | instskip(NEXT) | instid1(VALU_DEP_1)
	v_sub_nc_u32_e32 v5, v10, v5
	v_cmp_le_u32_e32 vcc_lo, s6, v5
	v_subrev_nc_u32_e32 v9, s6, v5
	s_wait_alu 0xfffd
	v_cndmask_b32_e32 v3, v3, v7, vcc_lo
	s_delay_alu instid0(VALU_DEP_1) | instskip(NEXT) | instid1(VALU_DEP_3)
	v_add_nc_u32_e32 v7, 1, v3
	v_cndmask_b32_e32 v5, v5, v9, vcc_lo
	s_delay_alu instid0(VALU_DEP_1) | instskip(SKIP_1) | instid1(VALU_DEP_3)
	v_cmp_le_u32_e32 vcc_lo, s6, v5
	s_wait_alu 0xfffd
	v_cndmask_b32_e32 v12, v3, v7, vcc_lo
.LBB49_28:                              ;   in Loop: Header=BB49_20 Depth=2
	s_wait_alu 0xfffe
	s_or_b32 exec_lo, exec_lo, s2
	s_add_co_i32 s34, s26, -2
	s_mov_b32 s35, s27
	s_add_nc_u64 s[38:39], s[0:1], s[38:39]
	s_wait_alu 0xfffe
	s_lshl_b64 s[44:45], s[34:35], 2
                                        ; implicit-def: $vgpr14_vgpr15
	s_mov_b32 s2, exec_lo
	s_wait_alu 0xfffe
	s_add_nc_u64 s[42:43], s[18:19], s[44:45]
	s_clause 0x2
	s_load_b32 s34, s[42:43], 0x8
	s_load_b32 s7, s[36:37], 0x6c
	s_load_b32 s8, s[38:39], 0x6c
	s_wait_kmcnt 0x0
	s_ashr_i32 s35, s34, 31
	s_wait_alu 0xfffe
	v_or_b32_e32 v3, s35, v13
	s_delay_alu instid0(VALU_DEP_1)
	v_cmpx_ne_u64_e32 0, v[2:3]
	s_xor_b32 s31, exec_lo, s2
	s_cbranch_execz .LBB49_30
; %bb.29:                               ;   in Loop: Header=BB49_20 Depth=2
	s_ashr_i32 s36, s35, 31
	s_mov_b32 s59, s27
	s_wait_alu 0xfffe
	s_mov_b32 s37, s36
	s_mov_b32 s63, s27
	s_wait_alu 0xfffe
	s_add_nc_u64 s[38:39], s[34:35], s[36:37]
	v_ashrrev_i32_e32 v3, 31, v13
	s_wait_alu 0xfffe
	s_xor_b64 s[38:39], s[38:39], s[36:37]
	s_wait_alu 0xfffe
	s_cvt_f32_u32 s2, s38
	s_cvt_f32_u32 s35, s39
	s_sub_nc_u64 s[56:57], 0, s[38:39]
	v_add_co_u32 v5, vcc_lo, v12, v3
	s_wait_alu 0xfffe
	s_fmamk_f32 s2, s35, 0x4f800000, s2
	s_wait_alu 0xfffd
	v_add_co_ci_u32_e64 v7, null, v13, v3, vcc_lo
	v_xor_b32_e32 v5, v5, v3
	s_wait_alu 0xfffe
	v_s_rcp_f32 s2, s2
	s_delay_alu instid0(VALU_DEP_2) | instskip(SKIP_1) | instid1(TRANS32_DEP_1)
	v_xor_b32_e32 v7, v7, v3
	v_xor_b32_e32 v3, s36, v3
	s_mul_f32 s2, s2, 0x5f7ffffc
	s_wait_alu 0xfffe
	s_delay_alu instid0(SALU_CYCLE_2) | instskip(SKIP_1) | instid1(SALU_CYCLE_2)
	s_mul_f32 s35, s2, 0x2f800000
	s_wait_alu 0xfffe
	s_trunc_f32 s35, s35
	s_wait_alu 0xfffe
	s_delay_alu instid0(SALU_CYCLE_2) | instskip(SKIP_2) | instid1(SALU_CYCLE_1)
	s_fmamk_f32 s2, s35, 0xcf800000, s2
	s_cvt_u32_f32 s41, s35
	s_wait_alu 0xfffe
	s_cvt_u32_f32 s40, s2
	s_wait_alu 0xfffe
	s_delay_alu instid0(SALU_CYCLE_2) | instskip(NEXT) | instid1(SALU_CYCLE_1)
	s_mul_u64 s[60:61], s[56:57], s[40:41]
	s_mul_hi_u32 s65, s40, s61
	s_mul_i32 s64, s40, s61
	s_mul_hi_u32 s58, s40, s60
	s_mul_i32 s35, s41, s60
	s_add_nc_u64 s[58:59], s[58:59], s[64:65]
	s_mul_hi_u32 s2, s41, s60
	s_mul_hi_u32 s37, s41, s61
	s_wait_alu 0xfffe
	s_add_co_u32 s35, s58, s35
	s_add_co_ci_u32 s62, s59, s2
	s_mul_i32 s60, s41, s61
	s_add_co_ci_u32 s61, s37, 0
	s_delay_alu instid0(SALU_CYCLE_1)
	s_add_nc_u64 s[58:59], s[62:63], s[60:61]
	s_mov_b32 s61, s27
	s_add_co_u32 s40, s40, s58
	s_cselect_b32 s2, -1, 0
	s_wait_alu 0xfffe
	s_cmp_lg_u32 s2, 0
	s_add_co_ci_u32 s41, s41, s59
	s_mov_b32 s59, s27
	s_wait_alu 0xfffe
	s_mul_u64 s[56:57], s[56:57], s[40:41]
	s_delay_alu instid0(SALU_CYCLE_1)
	s_mul_hi_u32 s63, s40, s57
	s_mul_i32 s62, s40, s57
	s_mul_hi_u32 s60, s40, s56
	s_mul_i32 s35, s41, s56
	s_add_nc_u64 s[60:61], s[60:61], s[62:63]
	s_mul_hi_u32 s2, s41, s56
	s_mul_hi_u32 s37, s41, s57
	s_wait_alu 0xfffe
	s_add_co_u32 s35, s60, s35
	s_add_co_ci_u32 s58, s61, s2
	s_mul_i32 s56, s41, s57
	s_add_co_ci_u32 s57, s37, 0
	s_delay_alu instid0(SALU_CYCLE_1) | instskip(NEXT) | instid1(SALU_CYCLE_1)
	s_add_nc_u64 s[56:57], s[58:59], s[56:57]
	s_add_co_u32 s2, s40, s56
	s_cselect_b32 s35, -1, 0
	s_wait_alu 0xfffe
	v_mul_hi_u32 v9, v5, s2
	s_cmp_lg_u32 s35, 0
	v_mad_co_u64_u32 v[15:16], null, v7, s2, 0
	s_add_co_ci_u32 s35, s41, s57
	s_wait_alu 0xfffe
	v_mad_co_u64_u32 v[13:14], null, v5, s35, 0
	v_mad_co_u64_u32 v[22:23], null, v7, s35, 0
	s_delay_alu instid0(VALU_DEP_2) | instskip(SKIP_1) | instid1(VALU_DEP_3)
	v_add_co_u32 v9, vcc_lo, v9, v13
	s_wait_alu 0xfffd
	v_add_co_ci_u32_e64 v11, null, 0, v14, vcc_lo
	s_delay_alu instid0(VALU_DEP_2) | instskip(SKIP_1) | instid1(VALU_DEP_2)
	v_add_co_u32 v9, vcc_lo, v9, v15
	s_wait_alu 0xfffd
	v_add_co_ci_u32_e32 v9, vcc_lo, v11, v16, vcc_lo
	s_wait_alu 0xfffd
	v_add_co_ci_u32_e32 v11, vcc_lo, 0, v23, vcc_lo
	s_delay_alu instid0(VALU_DEP_2) | instskip(SKIP_1) | instid1(VALU_DEP_2)
	v_add_co_u32 v9, vcc_lo, v9, v22
	s_wait_alu 0xfffd
	v_add_co_ci_u32_e64 v11, null, 0, v11, vcc_lo
	s_delay_alu instid0(VALU_DEP_2) | instskip(SKIP_1) | instid1(VALU_DEP_3)
	v_mul_lo_u32 v15, s39, v9
	v_mad_co_u64_u32 v[13:14], null, s38, v9, 0
	v_mul_lo_u32 v16, s38, v11
	s_delay_alu instid0(VALU_DEP_2) | instskip(NEXT) | instid1(VALU_DEP_2)
	v_sub_co_u32 v5, vcc_lo, v5, v13
	v_add3_u32 v14, v14, v16, v15
	s_delay_alu instid0(VALU_DEP_1) | instskip(SKIP_2) | instid1(VALU_DEP_2)
	v_sub_nc_u32_e32 v15, v7, v14
	s_wait_alu 0xfffd
	v_sub_co_ci_u32_e64 v7, null, v7, v14, vcc_lo
	v_subrev_co_ci_u32_e64 v13, null, s39, v15, vcc_lo
	v_add_co_u32 v15, s2, v9, 2
	s_wait_alu 0xf1ff
	v_add_co_ci_u32_e64 v16, null, 0, v11, s2
	v_sub_co_u32 v17, s2, v5, s38
	s_wait_alu 0xf1ff
	v_subrev_co_ci_u32_e64 v13, null, 0, v13, s2
	s_delay_alu instid0(VALU_DEP_2) | instskip(SKIP_2) | instid1(VALU_DEP_3)
	v_cmp_le_u32_e32 vcc_lo, s38, v17
	s_wait_alu 0xfffd
	v_cndmask_b32_e64 v14, 0, -1, vcc_lo
	v_cmp_le_u32_e32 vcc_lo, s39, v13
	s_wait_alu 0xfffd
	v_cndmask_b32_e64 v17, 0, -1, vcc_lo
	;; [unrolled: 3-line block ×4, first 2 shown]
	v_cmp_eq_u32_e32 vcc_lo, s39, v13
	s_wait_alu 0xfffd
	v_cndmask_b32_e32 v13, v17, v14, vcc_lo
	v_add_co_u32 v14, vcc_lo, v9, 1
	s_wait_alu 0xfffd
	v_add_co_ci_u32_e64 v17, null, 0, v11, vcc_lo
	v_cmp_eq_u32_e32 vcc_lo, s39, v7
	s_wait_alu 0xfffd
	v_cndmask_b32_e32 v5, v22, v5, vcc_lo
	v_cmp_ne_u32_e32 vcc_lo, 0, v13
	s_delay_alu instid0(VALU_DEP_2) | instskip(SKIP_4) | instid1(VALU_DEP_2)
	v_cmp_ne_u32_e64 s2, 0, v5
	s_wait_alu 0xfffd
	v_cndmask_b32_e32 v5, v14, v15, vcc_lo
	v_cndmask_b32_e32 v7, v17, v16, vcc_lo
	s_wait_alu 0xf1ff
	v_cndmask_b32_e64 v5, v9, v5, s2
	s_delay_alu instid0(VALU_DEP_2) | instskip(NEXT) | instid1(VALU_DEP_2)
	v_cndmask_b32_e64 v7, v11, v7, s2
	v_xor_b32_e32 v5, v5, v3
	s_delay_alu instid0(VALU_DEP_2) | instskip(NEXT) | instid1(VALU_DEP_2)
	v_xor_b32_e32 v7, v7, v3
	v_sub_co_u32 v14, vcc_lo, v5, v3
	s_wait_alu 0xfffd
	s_delay_alu instid0(VALU_DEP_2)
	v_sub_co_ci_u32_e64 v15, null, v7, v3, vcc_lo
.LBB49_30:                              ;   in Loop: Header=BB49_20 Depth=2
	s_wait_alu 0xfffe
	s_and_not1_saveexec_b32 s2, s31
	s_cbranch_execz .LBB49_32
; %bb.31:                               ;   in Loop: Header=BB49_20 Depth=2
	v_cvt_f32_u32_e32 v3, s34
	s_sub_co_i32 s31, 0, s34
	v_mov_b32_e32 v15, v2
	s_delay_alu instid0(VALU_DEP_2) | instskip(NEXT) | instid1(TRANS32_DEP_1)
	v_rcp_iflag_f32_e32 v3, v3
	v_mul_f32_e32 v3, 0x4f7ffffe, v3
	s_delay_alu instid0(VALU_DEP_1) | instskip(SKIP_1) | instid1(VALU_DEP_1)
	v_cvt_u32_f32_e32 v3, v3
	s_wait_alu 0xfffe
	v_mul_lo_u32 v5, s31, v3
	s_delay_alu instid0(VALU_DEP_1) | instskip(NEXT) | instid1(VALU_DEP_1)
	v_mul_hi_u32 v5, v3, v5
	v_add_nc_u32_e32 v3, v3, v5
	s_delay_alu instid0(VALU_DEP_1) | instskip(NEXT) | instid1(VALU_DEP_1)
	v_mul_hi_u32 v3, v12, v3
	v_mul_lo_u32 v5, v3, s34
	v_add_nc_u32_e32 v7, 1, v3
	s_delay_alu instid0(VALU_DEP_2) | instskip(NEXT) | instid1(VALU_DEP_1)
	v_sub_nc_u32_e32 v5, v12, v5
	v_cmp_le_u32_e32 vcc_lo, s34, v5
	v_subrev_nc_u32_e32 v9, s34, v5
	s_wait_alu 0xfffd
	v_cndmask_b32_e32 v3, v3, v7, vcc_lo
	s_delay_alu instid0(VALU_DEP_1) | instskip(NEXT) | instid1(VALU_DEP_3)
	v_add_nc_u32_e32 v7, 1, v3
	v_cndmask_b32_e32 v5, v5, v9, vcc_lo
	s_delay_alu instid0(VALU_DEP_1) | instskip(SKIP_1) | instid1(VALU_DEP_3)
	v_cmp_le_u32_e32 vcc_lo, s34, v5
	s_wait_alu 0xfffd
	v_cndmask_b32_e32 v14, v3, v7, vcc_lo
.LBB49_32:                              ;   in Loop: Header=BB49_20 Depth=2
	s_wait_alu 0xfffe
	s_or_b32 exec_lo, exec_lo, s2
	s_add_co_i32 s36, s26, -3
	s_mov_b32 s37, s27
	s_add_nc_u64 s[44:45], s[0:1], s[44:45]
	s_wait_alu 0xfffe
	s_lshl_b64 s[40:41], s[36:37], 2
                                        ; implicit-def: $vgpr16_vgpr17
	s_mov_b32 s2, exec_lo
	s_wait_alu 0xfffe
	s_add_nc_u64 s[38:39], s[18:19], s[40:41]
	s_clause 0x2
	s_load_b32 s36, s[38:39], 0x8
	s_load_b32 s31, s[42:43], 0x6c
	;; [unrolled: 1-line block ×3, first 2 shown]
	s_wait_kmcnt 0x0
	s_ashr_i32 s37, s36, 31
	s_wait_alu 0xfffe
	v_or_b32_e32 v3, s37, v15
	s_delay_alu instid0(VALU_DEP_1)
	v_cmpx_ne_u64_e32 0, v[2:3]
	s_xor_b32 s56, exec_lo, s2
	s_cbranch_execz .LBB49_34
; %bb.33:                               ;   in Loop: Header=BB49_20 Depth=2
	s_ashr_i32 s42, s37, 31
	s_mov_b32 s63, s27
	s_wait_alu 0xfffe
	s_mov_b32 s43, s42
	s_mov_b32 s67, s27
	s_wait_alu 0xfffe
	s_add_nc_u64 s[44:45], s[36:37], s[42:43]
	v_ashrrev_i32_e32 v3, 31, v15
	s_wait_alu 0xfffe
	s_xor_b64 s[44:45], s[44:45], s[42:43]
	s_wait_alu 0xfffe
	s_cvt_f32_u32 s2, s44
	s_cvt_f32_u32 s37, s45
	s_sub_nc_u64 s[60:61], 0, s[44:45]
	v_add_co_u32 v5, vcc_lo, v14, v3
	s_wait_alu 0xfffe
	s_fmamk_f32 s2, s37, 0x4f800000, s2
	s_wait_alu 0xfffd
	v_add_co_ci_u32_e64 v7, null, v15, v3, vcc_lo
	v_xor_b32_e32 v5, v5, v3
	s_wait_alu 0xfffe
	v_s_rcp_f32 s2, s2
	s_delay_alu instid0(VALU_DEP_2) | instskip(SKIP_1) | instid1(TRANS32_DEP_1)
	v_xor_b32_e32 v7, v7, v3
	v_xor_b32_e32 v3, s42, v3
	s_mul_f32 s2, s2, 0x5f7ffffc
	s_wait_alu 0xfffe
	s_delay_alu instid0(SALU_CYCLE_2) | instskip(SKIP_1) | instid1(SALU_CYCLE_2)
	s_mul_f32 s37, s2, 0x2f800000
	s_wait_alu 0xfffe
	s_trunc_f32 s37, s37
	s_wait_alu 0xfffe
	s_delay_alu instid0(SALU_CYCLE_2) | instskip(SKIP_2) | instid1(SALU_CYCLE_1)
	s_fmamk_f32 s2, s37, 0xcf800000, s2
	s_cvt_u32_f32 s59, s37
	s_wait_alu 0xfffe
	s_cvt_u32_f32 s58, s2
	s_delay_alu instid0(SALU_CYCLE_3) | instskip(NEXT) | instid1(SALU_CYCLE_1)
	s_mul_u64 s[64:65], s[60:61], s[58:59]
	s_mul_hi_u32 s69, s58, s65
	s_mul_i32 s68, s58, s65
	s_mul_hi_u32 s62, s58, s64
	s_mul_i32 s37, s59, s64
	s_add_nc_u64 s[62:63], s[62:63], s[68:69]
	s_mul_hi_u32 s2, s59, s64
	s_mul_hi_u32 s43, s59, s65
	s_wait_alu 0xfffe
	s_add_co_u32 s37, s62, s37
	s_add_co_ci_u32 s66, s63, s2
	s_mul_i32 s64, s59, s65
	s_add_co_ci_u32 s65, s43, 0
	s_delay_alu instid0(SALU_CYCLE_1)
	s_add_nc_u64 s[62:63], s[66:67], s[64:65]
	s_mov_b32 s65, s27
	s_add_co_u32 s58, s58, s62
	s_cselect_b32 s2, -1, 0
	s_wait_alu 0xfffe
	s_cmp_lg_u32 s2, 0
	s_add_co_ci_u32 s59, s59, s63
	s_mov_b32 s63, s27
	s_mul_u64 s[60:61], s[60:61], s[58:59]
	s_delay_alu instid0(SALU_CYCLE_1)
	s_mul_hi_u32 s67, s58, s61
	s_mul_i32 s66, s58, s61
	s_mul_hi_u32 s64, s58, s60
	s_mul_i32 s37, s59, s60
	s_add_nc_u64 s[64:65], s[64:65], s[66:67]
	s_mul_hi_u32 s2, s59, s60
	s_mul_hi_u32 s43, s59, s61
	s_wait_alu 0xfffe
	s_add_co_u32 s37, s64, s37
	s_add_co_ci_u32 s62, s65, s2
	s_mul_i32 s60, s59, s61
	s_add_co_ci_u32 s61, s43, 0
	s_delay_alu instid0(SALU_CYCLE_1) | instskip(NEXT) | instid1(SALU_CYCLE_1)
	s_add_nc_u64 s[60:61], s[62:63], s[60:61]
	s_add_co_u32 s2, s58, s60
	s_cselect_b32 s37, -1, 0
	s_wait_alu 0xfffe
	v_mul_hi_u32 v9, v5, s2
	s_cmp_lg_u32 s37, 0
	v_mad_co_u64_u32 v[22:23], null, v7, s2, 0
	s_add_co_ci_u32 s37, s59, s61
	s_wait_alu 0xfffe
	v_mad_co_u64_u32 v[15:16], null, v5, s37, 0
	v_mad_co_u64_u32 v[24:25], null, v7, s37, 0
	s_delay_alu instid0(VALU_DEP_2) | instskip(SKIP_1) | instid1(VALU_DEP_3)
	v_add_co_u32 v9, vcc_lo, v9, v15
	s_wait_alu 0xfffd
	v_add_co_ci_u32_e64 v11, null, 0, v16, vcc_lo
	s_delay_alu instid0(VALU_DEP_2) | instskip(SKIP_1) | instid1(VALU_DEP_2)
	v_add_co_u32 v9, vcc_lo, v9, v22
	s_wait_alu 0xfffd
	v_add_co_ci_u32_e32 v9, vcc_lo, v11, v23, vcc_lo
	s_wait_alu 0xfffd
	v_add_co_ci_u32_e32 v11, vcc_lo, 0, v25, vcc_lo
	s_delay_alu instid0(VALU_DEP_2) | instskip(SKIP_1) | instid1(VALU_DEP_2)
	v_add_co_u32 v9, vcc_lo, v9, v24
	s_wait_alu 0xfffd
	v_add_co_ci_u32_e64 v11, null, 0, v11, vcc_lo
	s_delay_alu instid0(VALU_DEP_2) | instskip(SKIP_1) | instid1(VALU_DEP_3)
	v_mul_lo_u32 v13, s45, v9
	v_mad_co_u64_u32 v[15:16], null, s44, v9, 0
	v_mul_lo_u32 v17, s44, v11
	s_delay_alu instid0(VALU_DEP_2) | instskip(NEXT) | instid1(VALU_DEP_2)
	v_sub_co_u32 v5, vcc_lo, v5, v15
	v_add3_u32 v13, v16, v17, v13
	s_delay_alu instid0(VALU_DEP_1) | instskip(SKIP_2) | instid1(VALU_DEP_2)
	v_sub_nc_u32_e32 v16, v7, v13
	s_wait_alu 0xfffd
	v_sub_co_ci_u32_e64 v7, null, v7, v13, vcc_lo
	v_subrev_co_ci_u32_e64 v15, null, s45, v16, vcc_lo
	v_add_co_u32 v16, s2, v9, 2
	s_wait_alu 0xf1ff
	v_add_co_ci_u32_e64 v17, null, 0, v11, s2
	v_sub_co_u32 v22, s2, v5, s44
	s_wait_alu 0xf1ff
	v_subrev_co_ci_u32_e64 v15, null, 0, v15, s2
	s_delay_alu instid0(VALU_DEP_2) | instskip(SKIP_2) | instid1(VALU_DEP_3)
	v_cmp_le_u32_e32 vcc_lo, s44, v22
	s_wait_alu 0xfffd
	v_cndmask_b32_e64 v13, 0, -1, vcc_lo
	v_cmp_le_u32_e32 vcc_lo, s45, v15
	s_wait_alu 0xfffd
	v_cndmask_b32_e64 v22, 0, -1, vcc_lo
	;; [unrolled: 3-line block ×4, first 2 shown]
	v_cmp_eq_u32_e32 vcc_lo, s45, v15
	s_wait_alu 0xfffd
	v_cndmask_b32_e32 v13, v22, v13, vcc_lo
	v_add_co_u32 v15, vcc_lo, v9, 1
	s_wait_alu 0xfffd
	v_add_co_ci_u32_e64 v22, null, 0, v11, vcc_lo
	v_cmp_eq_u32_e32 vcc_lo, s45, v7
	s_wait_alu 0xfffd
	v_cndmask_b32_e32 v5, v23, v5, vcc_lo
	v_cmp_ne_u32_e32 vcc_lo, 0, v13
	s_delay_alu instid0(VALU_DEP_2) | instskip(SKIP_4) | instid1(VALU_DEP_2)
	v_cmp_ne_u32_e64 s2, 0, v5
	s_wait_alu 0xfffd
	v_cndmask_b32_e32 v5, v15, v16, vcc_lo
	v_cndmask_b32_e32 v7, v22, v17, vcc_lo
	s_wait_alu 0xf1ff
	v_cndmask_b32_e64 v5, v9, v5, s2
	s_delay_alu instid0(VALU_DEP_2) | instskip(NEXT) | instid1(VALU_DEP_2)
	v_cndmask_b32_e64 v7, v11, v7, s2
	v_xor_b32_e32 v5, v5, v3
	s_delay_alu instid0(VALU_DEP_2) | instskip(NEXT) | instid1(VALU_DEP_2)
	v_xor_b32_e32 v7, v7, v3
	v_sub_co_u32 v16, vcc_lo, v5, v3
	s_wait_alu 0xfffd
	s_delay_alu instid0(VALU_DEP_2)
	v_sub_co_ci_u32_e64 v17, null, v7, v3, vcc_lo
.LBB49_34:                              ;   in Loop: Header=BB49_20 Depth=2
	s_and_not1_saveexec_b32 s2, s56
	s_cbranch_execz .LBB49_36
; %bb.35:                               ;   in Loop: Header=BB49_20 Depth=2
	v_cvt_f32_u32_e32 v3, s36
	s_sub_co_i32 s37, 0, s36
	v_mov_b32_e32 v17, v2
	s_delay_alu instid0(VALU_DEP_2) | instskip(NEXT) | instid1(TRANS32_DEP_1)
	v_rcp_iflag_f32_e32 v3, v3
	v_mul_f32_e32 v3, 0x4f7ffffe, v3
	s_delay_alu instid0(VALU_DEP_1) | instskip(SKIP_1) | instid1(VALU_DEP_1)
	v_cvt_u32_f32_e32 v3, v3
	s_wait_alu 0xfffe
	v_mul_lo_u32 v5, s37, v3
	s_delay_alu instid0(VALU_DEP_1) | instskip(NEXT) | instid1(VALU_DEP_1)
	v_mul_hi_u32 v5, v3, v5
	v_add_nc_u32_e32 v3, v3, v5
	s_delay_alu instid0(VALU_DEP_1) | instskip(NEXT) | instid1(VALU_DEP_1)
	v_mul_hi_u32 v3, v14, v3
	v_mul_lo_u32 v5, v3, s36
	v_add_nc_u32_e32 v7, 1, v3
	s_delay_alu instid0(VALU_DEP_2) | instskip(NEXT) | instid1(VALU_DEP_1)
	v_sub_nc_u32_e32 v5, v14, v5
	v_cmp_le_u32_e32 vcc_lo, s36, v5
	v_subrev_nc_u32_e32 v9, s36, v5
	s_wait_alu 0xfffd
	v_cndmask_b32_e32 v3, v3, v7, vcc_lo
	s_delay_alu instid0(VALU_DEP_1) | instskip(NEXT) | instid1(VALU_DEP_3)
	v_add_nc_u32_e32 v7, 1, v3
	v_cndmask_b32_e32 v5, v5, v9, vcc_lo
	s_delay_alu instid0(VALU_DEP_1) | instskip(SKIP_1) | instid1(VALU_DEP_3)
	v_cmp_le_u32_e32 vcc_lo, s36, v5
	s_wait_alu 0xfffd
	v_cndmask_b32_e32 v16, v3, v7, vcc_lo
.LBB49_36:                              ;   in Loop: Header=BB49_20 Depth=2
	s_wait_alu 0xfffe
	s_or_b32 exec_lo, exec_lo, s2
	s_add_nc_u64 s[40:41], s[0:1], s[40:41]
	v_mul_lo_u32 v3, v10, s4
	s_clause 0x1
	s_load_b32 s2, s[38:39], 0x6c
	s_load_b32 s4, s[40:41], 0x6c
	v_mul_lo_u32 v5, v12, s6
	v_mul_lo_u32 v7, v14, s34
	;; [unrolled: 1-line block ×3, first 2 shown]
	s_add_co_i32 s26, s26, -4
	s_delay_alu instid0(SALU_CYCLE_1) | instskip(SKIP_1) | instid1(VALU_DEP_4)
	s_cmp_eq_u32 s26, -1
	v_sub_nc_u32_e32 v3, v8, v3
	v_sub_nc_u32_e32 v5, v10, v5
	s_delay_alu instid0(VALU_DEP_4) | instskip(NEXT) | instid1(VALU_DEP_4)
	v_sub_nc_u32_e32 v7, v12, v7
	v_sub_nc_u32_e32 v8, v14, v9
	s_delay_alu instid0(VALU_DEP_4)
	v_mul_lo_u32 v9, s3, v3
	v_mul_lo_u32 v3, s5, v3
	;; [unrolled: 1-line block ×6, first 2 shown]
	s_wait_kmcnt 0x0
	v_mul_lo_u32 v12, s2, v8
	v_mul_lo_u32 v8, s4, v8
	v_add3_u32 v6, v9, v6, v10
	v_add3_u32 v3, v3, v4, v5
	s_delay_alu instid0(VALU_DEP_2) | instskip(NEXT) | instid1(VALU_DEP_2)
	v_add3_u32 v6, v11, v6, v12
	v_add3_u32 v4, v7, v3, v8
	s_cbranch_scc1 .LBB49_38
; %bb.37:                               ;   in Loop: Header=BB49_20 Depth=2
	v_dual_mov_b32 v8, v16 :: v_dual_mov_b32 v9, v17
	s_branch .LBB49_20
.LBB49_38:                              ;   in Loop: Header=BB49_3 Depth=1
	v_sub_nc_u32_e32 v7, v20, v21
	v_mov_b32_e32 v3, 0
	s_mov_b32 s26, exec_lo
	s_delay_alu instid0(VALU_DEP_2) | instskip(NEXT) | instid1(VALU_DEP_1)
	v_ashrrev_i32_e32 v8, 31, v7
	v_cmpx_ge_i64_e64 s[12:13], v[7:8]
	s_cbranch_execz .LBB49_48
; %bb.39:                               ;   in Loop: Header=BB49_3 Depth=1
	v_dual_mov_b32 v3, 0 :: v_dual_mov_b32 v12, 0
	v_mov_b32_e32 v5, 0
	v_mov_b32_e32 v11, 0
	s_mov_b32 s2, exec_lo
	v_cmpx_gt_i32_e64 s9, v20
	s_cbranch_execz .LBB49_47
; %bb.40:                               ;   in Loop: Header=BB49_3 Depth=1
	v_ashrrev_i32_e32 v3, 31, v6
	v_add_co_u32 v9, vcc_lo, s16, v6
	v_dual_mov_b32 v12, 0 :: v_dual_add_nc_u32 v11, 1, v20
	s_wait_alu 0xfffd
	s_delay_alu instid0(VALU_DEP_3) | instskip(SKIP_1) | instid1(VALU_DEP_3)
	v_add_co_ci_u32_e64 v10, null, s17, v3, vcc_lo
	v_mov_b32_e32 v5, 0
	v_cmp_gt_i32_e32 vcc_lo, s9, v11
	v_mov_b32_e32 v11, 0
	global_load_u8 v3, v[9:10], off
	s_and_saveexec_b32 s3, vcc_lo
	s_wait_alu 0xfffe
	s_xor_b32 s3, exec_lo, s3
	s_cbranch_execz .LBB49_46
; %bb.41:                               ;   in Loop: Header=BB49_3 Depth=1
	v_add_co_u32 v9, vcc_lo, v9, s49
	s_wait_alu 0xfffd
	v_add_co_ci_u32_e64 v10, null, s53, v10, vcc_lo
	v_mov_b32_e32 v11, 0
	s_mov_b32 s4, exec_lo
	v_mov_b32_e32 v12, 0
	global_load_u8 v5, v[9:10], off
	v_add_nc_u32_e32 v9, 2, v20
	s_delay_alu instid0(VALU_DEP_1)
	v_cmpx_gt_i32_e64 s9, v9
	s_wait_alu 0xfffe
	s_xor_b32 s4, exec_lo, s4
	s_cbranch_execz .LBB49_45
; %bb.42:                               ;   in Loop: Header=BB49_3 Depth=1
	v_add_nc_u32_e32 v6, s21, v6
	s_mov_b32 s5, exec_lo
	v_mov_b32_e32 v12, 0
	s_delay_alu instid0(VALU_DEP_2) | instskip(SKIP_2) | instid1(VALU_DEP_2)
	v_ashrrev_i32_e32 v10, 31, v6
	v_add_co_u32 v9, vcc_lo, s16, v6
	s_wait_alu 0xfffd
	v_add_co_ci_u32_e64 v10, null, s17, v10, vcc_lo
	global_load_u8 v11, v[9:10], off
	v_add_nc_u32_e32 v9, 3, v20
	s_delay_alu instid0(VALU_DEP_1)
	v_cmpx_gt_i32_e64 s9, v9
	s_wait_alu 0xfffe
	s_xor_b32 s5, exec_lo, s5
	s_cbranch_execz .LBB49_44
; %bb.43:                               ;   in Loop: Header=BB49_3 Depth=1
	v_add_nc_u32_e32 v6, s49, v6
	s_delay_alu instid0(VALU_DEP_1) | instskip(SKIP_2) | instid1(VALU_DEP_2)
	v_ashrrev_i32_e32 v10, 31, v6
	v_add_co_u32 v9, vcc_lo, s16, v6
	s_wait_alu 0xfffd
	v_add_co_ci_u32_e64 v10, null, s17, v10, vcc_lo
	global_load_u8 v12, v[9:10], off
.LBB49_44:                              ;   in Loop: Header=BB49_3 Depth=1
	s_wait_alu 0xfffe
	s_or_b32 exec_lo, exec_lo, s5
.LBB49_45:                              ;   in Loop: Header=BB49_3 Depth=1
	s_wait_alu 0xfffe
	s_or_b32 exec_lo, exec_lo, s4
.LBB49_46:                              ;   in Loop: Header=BB49_3 Depth=1
	s_wait_alu 0xfffe
	s_or_b32 exec_lo, exec_lo, s3
.LBB49_47:                              ;   in Loop: Header=BB49_3 Depth=1
	s_wait_alu 0xfffe
	s_or_b32 exec_lo, exec_lo, s2
	s_wait_loadcnt 0x0
	v_and_b32_e32 v10, 1, v12
	v_add_nc_u32_e32 v9, 1, v7
	v_add_nc_u32_e32 v6, 3, v7
	v_cmp_ge_i64_e32 vcc_lo, s[12:13], v[7:8]
	v_add_nc_u32_e32 v8, 2, v7
	v_cmp_eq_u32_e64 s2, 1, v10
	v_ashrrev_i32_e32 v10, 31, v9
	v_ashrrev_i32_e32 v7, 31, v6
	v_and_b32_e32 v5, 1, v5
	v_and_b32_e32 v3, 1, v3
	;; [unrolled: 1-line block ×3, first 2 shown]
	v_cmp_ge_i64_e64 s3, s[12:13], v[9:10]
	v_ashrrev_i32_e32 v9, 31, v8
	v_cmp_ge_i64_e64 s5, s[12:13], v[6:7]
	v_cmp_eq_u32_e64 s4, 1, v5
	v_cmp_eq_u32_e64 s7, 1, v3
	;; [unrolled: 1-line block ×3, first 2 shown]
	v_cmp_ge_i64_e64 s8, s[12:13], v[8:9]
	s_and_b32 s3, s3, s4
	s_and_b32 s2, s5, s2
	s_wait_alu 0xfffe
	v_cndmask_b32_e64 v3, 0, 1, s3
	v_cndmask_b32_e64 v5, 0, 1, s2
	s_and_b32 s2, vcc_lo, s7
	s_wait_alu 0xfffe
	v_cndmask_b32_e64 v6, 0, 1, s2
	s_and_b32 s2, s8, s6
	v_lshlrev_b16 v3, 8, v3
	s_wait_alu 0xfffe
	v_cndmask_b32_e64 v7, 0, 1, s2
	v_lshlrev_b16 v5, 8, v5
	s_delay_alu instid0(VALU_DEP_3) | instskip(NEXT) | instid1(VALU_DEP_2)
	v_or_b32_e32 v3, v6, v3
	v_or_b32_e32 v5, v7, v5
	s_delay_alu instid0(VALU_DEP_2) | instskip(NEXT) | instid1(VALU_DEP_2)
	v_and_b32_e32 v3, 0xffff, v3
	v_lshlrev_b32_e32 v5, 16, v5
	s_delay_alu instid0(VALU_DEP_1)
	v_or_b32_e32 v3, v3, v5
.LBB49_48:                              ;   in Loop: Header=BB49_3 Depth=1
	s_or_b32 exec_lo, exec_lo, s26
	s_delay_alu instid0(SALU_CYCLE_1)
	s_mov_b32 s2, exec_lo
	v_cmpx_gt_i32_e64 s9, v20
	s_cbranch_execz .LBB49_2
; %bb.49:                               ;   in Loop: Header=BB49_3 Depth=1
	v_ashrrev_i32_e32 v6, 31, v4
	v_add_co_u32 v5, vcc_lo, s24, v4
	v_add_nc_u32_e32 v7, 1, v20
	s_mov_b32 s3, exec_lo
	s_wait_alu 0xfffd
	v_add_co_ci_u32_e64 v6, null, s25, v6, vcc_lo
	global_store_b8 v[5:6], v3, off
	v_cmpx_gt_i32_e64 s9, v7
	s_wait_alu 0xfffe
	s_xor_b32 s3, exec_lo, s3
	s_cbranch_execz .LBB49_2
; %bb.50:                               ;   in Loop: Header=BB49_3 Depth=1
	v_add_co_u32 v5, vcc_lo, v5, s50
	v_lshrrev_b32_e32 v7, 8, v3
	v_add_nc_u32_e32 v8, 2, v20
	s_wait_alu 0xfffd
	v_add_co_ci_u32_e64 v6, null, s54, v6, vcc_lo
	s_mov_b32 s3, exec_lo
	global_store_b8 v[5:6], v7, off
	v_cmpx_gt_i32_e64 s9, v8
	s_wait_alu 0xfffe
	s_xor_b32 s3, exec_lo, s3
	s_cbranch_execz .LBB49_2
; %bb.51:                               ;   in Loop: Header=BB49_3 Depth=1
	v_add_nc_u32_e32 v4, s23, v4
	v_add_nc_u32_e32 v7, 3, v20
	s_mov_b32 s3, exec_lo
	s_delay_alu instid0(VALU_DEP_2) | instskip(SKIP_2) | instid1(VALU_DEP_2)
	v_ashrrev_i32_e32 v6, 31, v4
	v_add_co_u32 v5, vcc_lo, s24, v4
	s_wait_alu 0xfffd
	v_add_co_ci_u32_e64 v6, null, s25, v6, vcc_lo
	global_store_d16_hi_b8 v[5:6], v3, off
	v_cmpx_gt_i32_e64 s9, v7
	s_wait_alu 0xfffe
	s_xor_b32 s3, exec_lo, s3
	s_cbranch_execz .LBB49_2
; %bb.52:                               ;   in Loop: Header=BB49_3 Depth=1
	v_add_nc_u32_e32 v4, s50, v4
	v_lshrrev_b32_e32 v6, 24, v3
	s_delay_alu instid0(VALU_DEP_2) | instskip(SKIP_2) | instid1(VALU_DEP_2)
	v_ashrrev_i32_e32 v5, 31, v4
	v_add_co_u32 v3, vcc_lo, s24, v4
	s_wait_alu 0xfffd
	v_add_co_ci_u32_e64 v4, null, s25, v5, vcc_lo
	global_store_b8 v[3:4], v6, off
	s_branch .LBB49_2
.LBB49_53:
	s_endpgm
	.section	.rodata,"a",@progbits
	.p2align	6, 0x0
	.amdhsa_kernel _ZN2at6native16triu_tril_kernelIbiLb0ELi4ELb0EEEvNS_4cuda6detail10TensorInfoIT_T0_EENS4_IKS5_S6_EEllS6_
		.amdhsa_group_segment_fixed_size 0
		.amdhsa_private_segment_fixed_size 0
		.amdhsa_kernarg_size 712
		.amdhsa_user_sgpr_count 2
		.amdhsa_user_sgpr_dispatch_ptr 0
		.amdhsa_user_sgpr_queue_ptr 0
		.amdhsa_user_sgpr_kernarg_segment_ptr 1
		.amdhsa_user_sgpr_dispatch_id 0
		.amdhsa_user_sgpr_private_segment_size 0
		.amdhsa_wavefront_size32 1
		.amdhsa_uses_dynamic_stack 0
		.amdhsa_enable_private_segment 0
		.amdhsa_system_sgpr_workgroup_id_x 1
		.amdhsa_system_sgpr_workgroup_id_y 0
		.amdhsa_system_sgpr_workgroup_id_z 0
		.amdhsa_system_sgpr_workgroup_info 0
		.amdhsa_system_vgpr_workitem_id 0
		.amdhsa_next_free_vgpr 26
		.amdhsa_next_free_sgpr 70
		.amdhsa_reserve_vcc 1
		.amdhsa_float_round_mode_32 0
		.amdhsa_float_round_mode_16_64 0
		.amdhsa_float_denorm_mode_32 3
		.amdhsa_float_denorm_mode_16_64 3
		.amdhsa_fp16_overflow 0
		.amdhsa_workgroup_processor_mode 1
		.amdhsa_memory_ordered 1
		.amdhsa_forward_progress 1
		.amdhsa_inst_pref_size 69
		.amdhsa_round_robin_scheduling 0
		.amdhsa_exception_fp_ieee_invalid_op 0
		.amdhsa_exception_fp_denorm_src 0
		.amdhsa_exception_fp_ieee_div_zero 0
		.amdhsa_exception_fp_ieee_overflow 0
		.amdhsa_exception_fp_ieee_underflow 0
		.amdhsa_exception_fp_ieee_inexact 0
		.amdhsa_exception_int_div_zero 0
	.end_amdhsa_kernel
	.section	.text._ZN2at6native16triu_tril_kernelIbiLb0ELi4ELb0EEEvNS_4cuda6detail10TensorInfoIT_T0_EENS4_IKS5_S6_EEllS6_,"axG",@progbits,_ZN2at6native16triu_tril_kernelIbiLb0ELi4ELb0EEEvNS_4cuda6detail10TensorInfoIT_T0_EENS4_IKS5_S6_EEllS6_,comdat
.Lfunc_end49:
	.size	_ZN2at6native16triu_tril_kernelIbiLb0ELi4ELb0EEEvNS_4cuda6detail10TensorInfoIT_T0_EENS4_IKS5_S6_EEllS6_, .Lfunc_end49-_ZN2at6native16triu_tril_kernelIbiLb0ELi4ELb0EEEvNS_4cuda6detail10TensorInfoIT_T0_EENS4_IKS5_S6_EEllS6_
                                        ; -- End function
	.set _ZN2at6native16triu_tril_kernelIbiLb0ELi4ELb0EEEvNS_4cuda6detail10TensorInfoIT_T0_EENS4_IKS5_S6_EEllS6_.num_vgpr, 26
	.set _ZN2at6native16triu_tril_kernelIbiLb0ELi4ELb0EEEvNS_4cuda6detail10TensorInfoIT_T0_EENS4_IKS5_S6_EEllS6_.num_agpr, 0
	.set _ZN2at6native16triu_tril_kernelIbiLb0ELi4ELb0EEEvNS_4cuda6detail10TensorInfoIT_T0_EENS4_IKS5_S6_EEllS6_.numbered_sgpr, 70
	.set _ZN2at6native16triu_tril_kernelIbiLb0ELi4ELb0EEEvNS_4cuda6detail10TensorInfoIT_T0_EENS4_IKS5_S6_EEllS6_.num_named_barrier, 0
	.set _ZN2at6native16triu_tril_kernelIbiLb0ELi4ELb0EEEvNS_4cuda6detail10TensorInfoIT_T0_EENS4_IKS5_S6_EEllS6_.private_seg_size, 0
	.set _ZN2at6native16triu_tril_kernelIbiLb0ELi4ELb0EEEvNS_4cuda6detail10TensorInfoIT_T0_EENS4_IKS5_S6_EEllS6_.uses_vcc, 1
	.set _ZN2at6native16triu_tril_kernelIbiLb0ELi4ELb0EEEvNS_4cuda6detail10TensorInfoIT_T0_EENS4_IKS5_S6_EEllS6_.uses_flat_scratch, 0
	.set _ZN2at6native16triu_tril_kernelIbiLb0ELi4ELb0EEEvNS_4cuda6detail10TensorInfoIT_T0_EENS4_IKS5_S6_EEllS6_.has_dyn_sized_stack, 0
	.set _ZN2at6native16triu_tril_kernelIbiLb0ELi4ELb0EEEvNS_4cuda6detail10TensorInfoIT_T0_EENS4_IKS5_S6_EEllS6_.has_recursion, 0
	.set _ZN2at6native16triu_tril_kernelIbiLb0ELi4ELb0EEEvNS_4cuda6detail10TensorInfoIT_T0_EENS4_IKS5_S6_EEllS6_.has_indirect_call, 0
	.section	.AMDGPU.csdata,"",@progbits
; Kernel info:
; codeLenInByte = 8752
; TotalNumSgprs: 72
; NumVgprs: 26
; ScratchSize: 0
; MemoryBound: 0
; FloatMode: 240
; IeeeMode: 1
; LDSByteSize: 0 bytes/workgroup (compile time only)
; SGPRBlocks: 0
; VGPRBlocks: 3
; NumSGPRsForWavesPerEU: 72
; NumVGPRsForWavesPerEU: 26
; Occupancy: 16
; WaveLimiterHint : 1
; COMPUTE_PGM_RSRC2:SCRATCH_EN: 0
; COMPUTE_PGM_RSRC2:USER_SGPR: 2
; COMPUTE_PGM_RSRC2:TRAP_HANDLER: 0
; COMPUTE_PGM_RSRC2:TGID_X_EN: 1
; COMPUTE_PGM_RSRC2:TGID_Y_EN: 0
; COMPUTE_PGM_RSRC2:TGID_Z_EN: 0
; COMPUTE_PGM_RSRC2:TIDIG_COMP_CNT: 0
	.section	.text._ZN2at6native16triu_tril_kernelIblLb0ELi4ELb1EEEvNS_4cuda6detail10TensorInfoIT_T0_EENS4_IKS5_S6_EEllS6_,"axG",@progbits,_ZN2at6native16triu_tril_kernelIblLb0ELi4ELb1EEEvNS_4cuda6detail10TensorInfoIT_T0_EENS4_IKS5_S6_EEllS6_,comdat
	.protected	_ZN2at6native16triu_tril_kernelIblLb0ELi4ELb1EEEvNS_4cuda6detail10TensorInfoIT_T0_EENS4_IKS5_S6_EEllS6_ ; -- Begin function _ZN2at6native16triu_tril_kernelIblLb0ELi4ELb1EEEvNS_4cuda6detail10TensorInfoIT_T0_EENS4_IKS5_S6_EEllS6_
	.globl	_ZN2at6native16triu_tril_kernelIblLb0ELi4ELb1EEEvNS_4cuda6detail10TensorInfoIT_T0_EENS4_IKS5_S6_EEllS6_
	.p2align	8
	.type	_ZN2at6native16triu_tril_kernelIblLb0ELi4ELb1EEEvNS_4cuda6detail10TensorInfoIT_T0_EENS4_IKS5_S6_EEllS6_,@function
_ZN2at6native16triu_tril_kernelIblLb0ELi4ELb1EEEvNS_4cuda6detail10TensorInfoIT_T0_EENS4_IKS5_S6_EEllS6_: ; @_ZN2at6native16triu_tril_kernelIblLb0ELi4ELb1EEEvNS_4cuda6detail10TensorInfoIT_T0_EENS4_IKS5_S6_EEllS6_
; %bb.0:
	s_clause 0x1
	s_load_b32 s2, s[0:1], 0x364
	s_load_b128 s[4:7], s[0:1], 0x340
	v_mov_b32_e32 v2, 0
	s_mov_b32 s3, exec_lo
	s_delay_alu instid0(VALU_DEP_1)
	v_mov_b32_e32 v1, v2
	s_wait_kmcnt 0x0
	s_and_b32 s2, s2, 0xffff
	s_delay_alu instid0(VALU_DEP_1) | instid1(SALU_CYCLE_1)
	v_mad_co_u64_u32 v[0:1], null, s2, ttmp9, v[0:1]
	s_delay_alu instid0(VALU_DEP_1) | instskip(NEXT) | instid1(VALU_DEP_1)
	v_lshlrev_b64_e32 v[0:1], 2, v[0:1]
	v_cmpx_gt_i64_e64 s[6:7], v[0:1]
	s_cbranch_execz .LBB50_49
; %bb.1:
	s_load_b32 s22, s[0:1], 0x338
	s_add_nc_u64 s[12:13], s[0:1], 0x358
	s_clause 0x1
	s_load_b64 s[8:9], s[0:1], 0x350
	s_load_b64 s[10:11], s[0:1], 0x0
	s_add_nc_u64 s[28:29], s[0:1], 0x1a0
	s_load_b32 s3, s[12:13], 0x0
	s_movk_i32 s18, 0xffe0
	s_add_nc_u64 s[16:17], s[0:1], 0xb8
	s_mov_b32 s19, -1
	s_add_nc_u64 s[34:35], s[0:1], 0x190
	s_mov_b32 s65, 0
	s_wait_kmcnt 0x0
	s_add_co_i32 s14, s22, -2
	v_cvt_f32_u32_e32 v3, s8
	s_ashr_i32 s15, s14, 31
	s_add_co_i32 s20, s22, -3
	s_lshl_b64 s[12:13], s[14:15], 3
	s_ashr_i32 s23, s22, 31
	s_add_nc_u64 s[12:13], s[28:29], s[12:13]
	v_rcp_iflag_f32_e32 v3, v3
	s_load_b64 s[12:13], s[12:13], 0x8
	s_mul_i32 s24, s3, s2
	s_and_b32 s25, s20, 3
	s_lshl_b64 s[2:3], s[22:23], 3
	s_ashr_i32 s21, s20, 31
	s_and_b32 s14, s14, 3
	s_lshl_b32 s62, s24, 2
	s_cmp_lg_u32 s25, 3
	v_cmp_gt_i64_e64 s33, s[22:23], 2
	s_cselect_b32 s63, -1, 0
	s_cmp_gt_u32 s20, 2
	s_wait_alu 0xfffe
	s_add_nc_u64 s[22:23], s[0:1], s[2:3]
	s_add_nc_u64 s[24:25], s[28:29], s[2:3]
	s_cselect_b32 s64, -1, 0
	s_lshl_b64 s[2:3], s[20:21], 3
	s_mov_b32 s15, 0
	s_wait_alu 0xfffe
	s_add_nc_u64 s[30:31], s[0:1], s[2:3]
	s_add_nc_u64 s[2:3], s[28:29], s[2:3]
	s_mov_b64 s[26:27], s[14:15]
	s_add_nc_u64 s[28:29], s[30:31], 0xd0
	s_wait_kmcnt 0x0
	v_cvt_f32_u32_e32 v4, s12
	s_wait_alu 0xfffe
	s_add_nc_u64 s[30:31], s[2:3], 8
	s_ashr_i32 s36, s9, 31
	s_delay_alu instid0(VALU_DEP_1) | instskip(NEXT) | instid1(TRANS32_DEP_1)
	v_rcp_iflag_f32_e32 v4, v4
	v_dual_mul_f32 v3, 0x4f7ffffe, v3 :: v_dual_mul_f32 v4, 0x4f7ffffe, v4
	s_delay_alu instid0(VALU_DEP_1) | instskip(NEXT) | instid1(VALU_DEP_2)
	v_cvt_u32_f32_e32 v20, v3
	v_cvt_u32_f32_e32 v21, v4
	s_branch .LBB50_3
.LBB50_2:                               ;   in Loop: Header=BB50_3 Depth=1
	s_wait_alu 0xfffe
	s_or_b32 exec_lo, exec_lo, s37
	v_add_co_u32 v0, vcc_lo, v0, s62
	s_wait_alu 0xfffd
	v_add_co_ci_u32_e64 v1, null, 0, v1, vcc_lo
	s_delay_alu instid0(VALU_DEP_1) | instskip(SKIP_1) | instid1(SALU_CYCLE_1)
	v_cmp_le_i64_e32 vcc_lo, s[6:7], v[0:1]
	s_or_b32 s65, vcc_lo, s65
	s_and_not1_b32 exec_lo, exec_lo, s65
	s_cbranch_execz .LBB50_49
.LBB50_3:                               ; =>This Loop Header: Depth=1
                                        ;     Child Loop BB50_17 Depth 2
                                        ;     Child Loop BB50_22 Depth 2
	v_or_b32_e32 v3, s9, v1
                                        ; implicit-def: $vgpr6_vgpr7
	s_mov_b32 s0, exec_lo
	s_delay_alu instid0(VALU_DEP_1)
	v_cmpx_ne_u64_e32 0, v[2:3]
	s_wait_alu 0xfffe
	s_xor_b32 s1, exec_lo, s0
	s_cbranch_execz .LBB50_5
; %bb.4:                                ;   in Loop: Header=BB50_3 Depth=1
	s_mov_b32 s37, s36
	v_ashrrev_i32_e32 v9, 31, v1
	s_wait_alu 0xfffe
	s_add_nc_u64 s[2:3], s[8:9], s[36:37]
	s_wait_alu 0xfffe
	s_xor_b64 s[2:3], s[2:3], s[36:37]
	v_add_co_u32 v3, vcc_lo, v0, v9
	s_wait_alu 0xfffe
	s_cvt_f32_u32 s0, s2
	s_cvt_f32_u32 s14, s3
	s_sub_nc_u64 s[40:41], 0, s[2:3]
	s_wait_alu 0xfffd
	v_add_co_ci_u32_e64 v4, null, v1, v9, vcc_lo
	s_wait_alu 0xfffe
	s_fmamk_f32 s0, s14, 0x4f800000, s0
	v_xor_b32_e32 v10, v3, v9
	s_delay_alu instid0(VALU_DEP_2) | instskip(SKIP_2) | instid1(TRANS32_DEP_1)
	v_xor_b32_e32 v11, v4, v9
	s_wait_alu 0xfffe
	v_s_rcp_f32 s0, s0
	s_mul_f32 s0, s0, 0x5f7ffffc
	s_wait_alu 0xfffe
	s_delay_alu instid0(SALU_CYCLE_2) | instskip(SKIP_1) | instid1(SALU_CYCLE_2)
	s_mul_f32 s14, s0, 0x2f800000
	s_wait_alu 0xfffe
	s_trunc_f32 s14, s14
	s_wait_alu 0xfffe
	s_delay_alu instid0(SALU_CYCLE_2) | instskip(SKIP_2) | instid1(SALU_CYCLE_1)
	s_fmamk_f32 s0, s14, 0xcf800000, s0
	s_cvt_u32_f32 s39, s14
	s_wait_alu 0xfffe
	s_cvt_u32_f32 s38, s0
	s_wait_alu 0xfffe
	s_delay_alu instid0(SALU_CYCLE_2) | instskip(NEXT) | instid1(SALU_CYCLE_1)
	s_mul_u64 s[42:43], s[40:41], s[38:39]
	s_mul_hi_u32 s45, s38, s43
	s_mul_i32 s44, s38, s43
	s_mul_hi_u32 s14, s38, s42
	s_mul_i32 s37, s39, s42
	s_wait_alu 0xfffe
	s_add_nc_u64 s[44:45], s[14:15], s[44:45]
	s_mul_hi_u32 s0, s39, s42
	s_mul_hi_u32 s46, s39, s43
	s_wait_alu 0xfffe
	s_add_co_u32 s14, s44, s37
	s_add_co_ci_u32 s14, s45, s0
	s_mul_i32 s42, s39, s43
	s_add_co_ci_u32 s43, s46, 0
	s_wait_alu 0xfffe
	s_add_nc_u64 s[42:43], s[14:15], s[42:43]
	s_delay_alu instid0(SALU_CYCLE_1)
	s_add_co_u32 s38, s38, s42
	s_cselect_b32 s0, -1, 0
	s_wait_alu 0xfffe
	s_cmp_lg_u32 s0, 0
	s_add_co_ci_u32 s39, s39, s43
	s_wait_alu 0xfffe
	s_mul_u64 s[40:41], s[40:41], s[38:39]
	s_wait_alu 0xfffe
	s_mul_hi_u32 s43, s38, s41
	s_mul_i32 s42, s38, s41
	s_mul_hi_u32 s14, s38, s40
	s_mul_i32 s37, s39, s40
	s_wait_alu 0xfffe
	s_add_nc_u64 s[42:43], s[14:15], s[42:43]
	s_mul_hi_u32 s0, s39, s40
	s_mul_hi_u32 s44, s39, s41
	s_add_co_u32 s14, s42, s37
	s_wait_alu 0xfffe
	s_add_co_ci_u32 s14, s43, s0
	s_mul_i32 s40, s39, s41
	s_add_co_ci_u32 s41, s44, 0
	s_wait_alu 0xfffe
	s_add_nc_u64 s[40:41], s[14:15], s[40:41]
	s_wait_alu 0xfffe
	s_add_co_u32 s0, s38, s40
	s_cselect_b32 s14, -1, 0
	s_wait_alu 0xfffe
	v_mul_hi_u32 v12, v10, s0
	s_cmp_lg_u32 s14, 0
	v_mad_co_u64_u32 v[5:6], null, v11, s0, 0
	s_add_co_ci_u32 s14, s39, s41
	s_wait_alu 0xfffe
	v_mad_co_u64_u32 v[3:4], null, v10, s14, 0
	v_mad_co_u64_u32 v[7:8], null, v11, s14, 0
	s_delay_alu instid0(VALU_DEP_2) | instskip(SKIP_1) | instid1(VALU_DEP_3)
	v_add_co_u32 v3, vcc_lo, v12, v3
	s_wait_alu 0xfffd
	v_add_co_ci_u32_e64 v4, null, 0, v4, vcc_lo
	s_delay_alu instid0(VALU_DEP_2) | instskip(SKIP_1) | instid1(VALU_DEP_2)
	v_add_co_u32 v3, vcc_lo, v3, v5
	s_wait_alu 0xfffd
	v_add_co_ci_u32_e32 v3, vcc_lo, v4, v6, vcc_lo
	s_wait_alu 0xfffd
	v_add_co_ci_u32_e32 v4, vcc_lo, 0, v8, vcc_lo
	s_delay_alu instid0(VALU_DEP_2) | instskip(SKIP_1) | instid1(VALU_DEP_2)
	v_add_co_u32 v5, vcc_lo, v3, v7
	s_wait_alu 0xfffd
	v_add_co_ci_u32_e64 v6, null, 0, v4, vcc_lo
	s_delay_alu instid0(VALU_DEP_2) | instskip(SKIP_1) | instid1(VALU_DEP_3)
	v_mul_lo_u32 v7, s3, v5
	v_mad_co_u64_u32 v[3:4], null, s2, v5, 0
	v_mul_lo_u32 v8, s2, v6
	s_delay_alu instid0(VALU_DEP_2) | instskip(NEXT) | instid1(VALU_DEP_2)
	v_sub_co_u32 v3, vcc_lo, v10, v3
	v_add3_u32 v4, v4, v8, v7
	v_add_co_u32 v8, s0, v5, 2
	s_wait_alu 0xf1ff
	v_add_co_ci_u32_e64 v10, null, 0, v6, s0
	s_delay_alu instid0(VALU_DEP_3) | instskip(SKIP_3) | instid1(VALU_DEP_3)
	v_sub_nc_u32_e32 v7, v11, v4
	v_sub_co_u32 v12, s0, v3, s2
	s_wait_alu 0xfffd
	v_sub_co_ci_u32_e64 v4, null, v11, v4, vcc_lo
	v_subrev_co_ci_u32_e64 v7, null, s3, v7, vcc_lo
	s_delay_alu instid0(VALU_DEP_3) | instskip(SKIP_1) | instid1(VALU_DEP_2)
	v_cmp_le_u32_e32 vcc_lo, s2, v12
	s_wait_alu 0xf1ff
	v_subrev_co_ci_u32_e64 v7, null, 0, v7, s0
	s_wait_alu 0xfffd
	v_cndmask_b32_e64 v11, 0, -1, vcc_lo
	s_delay_alu instid0(VALU_DEP_2)
	v_cmp_le_u32_e32 vcc_lo, s3, v7
	s_wait_alu 0xfffd
	v_cndmask_b32_e64 v12, 0, -1, vcc_lo
	v_cmp_le_u32_e32 vcc_lo, s2, v3
	s_wait_alu 0xfffd
	v_cndmask_b32_e64 v3, 0, -1, vcc_lo
	;; [unrolled: 3-line block ×3, first 2 shown]
	v_cmp_eq_u32_e32 vcc_lo, s3, v7
	s_wait_alu 0xfffd
	v_cndmask_b32_e32 v7, v12, v11, vcc_lo
	v_add_co_u32 v11, vcc_lo, v5, 1
	s_wait_alu 0xfffd
	v_add_co_ci_u32_e64 v12, null, 0, v6, vcc_lo
	v_cmp_eq_u32_e32 vcc_lo, s3, v4
	s_wait_alu 0xfffd
	v_cndmask_b32_e32 v3, v13, v3, vcc_lo
	v_cmp_ne_u32_e32 vcc_lo, 0, v7
	v_xor_b32_e32 v7, s36, v9
	s_wait_alu 0xfffd
	v_cndmask_b32_e32 v4, v12, v10, vcc_lo
	v_cmp_ne_u32_e64 s0, 0, v3
	v_cndmask_b32_e32 v3, v11, v8, vcc_lo
	s_wait_alu 0xf1ff
	s_delay_alu instid0(VALU_DEP_2) | instskip(NEXT) | instid1(VALU_DEP_2)
	v_cndmask_b32_e64 v4, v6, v4, s0
	v_cndmask_b32_e64 v3, v5, v3, s0
	s_delay_alu instid0(VALU_DEP_2) | instskip(NEXT) | instid1(VALU_DEP_2)
	v_xor_b32_e32 v4, v4, v7
	v_xor_b32_e32 v3, v3, v7
	s_delay_alu instid0(VALU_DEP_1) | instskip(SKIP_1) | instid1(VALU_DEP_3)
	v_sub_co_u32 v6, vcc_lo, v3, v7
	s_wait_alu 0xfffd
	v_sub_co_ci_u32_e64 v7, null, v4, v7, vcc_lo
.LBB50_5:                               ;   in Loop: Header=BB50_3 Depth=1
	s_wait_alu 0xfffe
	s_and_not1_saveexec_b32 s0, s1
	s_cbranch_execz .LBB50_7
; %bb.6:                                ;   in Loop: Header=BB50_3 Depth=1
	s_sub_co_i32 s1, 0, s8
	v_mov_b32_e32 v7, v2
	s_wait_alu 0xfffe
	v_mul_lo_u32 v3, s1, v20
	s_delay_alu instid0(VALU_DEP_1) | instskip(NEXT) | instid1(VALU_DEP_1)
	v_mul_hi_u32 v3, v20, v3
	v_add_nc_u32_e32 v3, v20, v3
	s_delay_alu instid0(VALU_DEP_1) | instskip(NEXT) | instid1(VALU_DEP_1)
	v_mul_hi_u32 v3, v0, v3
	v_mul_lo_u32 v4, v3, s8
	s_delay_alu instid0(VALU_DEP_1) | instskip(NEXT) | instid1(VALU_DEP_1)
	v_sub_nc_u32_e32 v4, v0, v4
	v_subrev_nc_u32_e32 v6, s8, v4
	v_cmp_le_u32_e32 vcc_lo, s8, v4
	s_wait_alu 0xfffd
	s_delay_alu instid0(VALU_DEP_2) | instskip(NEXT) | instid1(VALU_DEP_1)
	v_dual_cndmask_b32 v4, v4, v6 :: v_dual_add_nc_u32 v5, 1, v3
	v_cndmask_b32_e32 v3, v3, v5, vcc_lo
	s_delay_alu instid0(VALU_DEP_2) | instskip(NEXT) | instid1(VALU_DEP_2)
	v_cmp_le_u32_e32 vcc_lo, s8, v4
	v_add_nc_u32_e32 v5, 1, v3
	s_wait_alu 0xfffd
	s_delay_alu instid0(VALU_DEP_1)
	v_cndmask_b32_e32 v6, v3, v5, vcc_lo
.LBB50_7:                               ;   in Loop: Header=BB50_3 Depth=1
	s_wait_alu 0xfffe
	s_or_b32 exec_lo, exec_lo, s0
	v_or_b32_e32 v3, s13, v7
                                        ; implicit-def: $vgpr10_vgpr11
	s_mov_b32 s0, exec_lo
	s_delay_alu instid0(VALU_DEP_1)
	v_cmpx_ne_u64_e32 0, v[2:3]
	s_wait_alu 0xfffe
	s_xor_b32 s1, exec_lo, s0
	s_cbranch_execz .LBB50_9
; %bb.8:                                ;   in Loop: Header=BB50_3 Depth=1
	s_ashr_i32 s2, s13, 31
	v_ashrrev_i32_e32 v5, 31, v7
	s_wait_alu 0xfffe
	s_mov_b32 s3, s2
	s_wait_alu 0xfffe
	s_add_nc_u64 s[38:39], s[12:13], s[2:3]
	v_add_co_u32 v3, vcc_lo, v6, v5
	s_wait_alu 0xfffe
	s_xor_b64 s[38:39], s[38:39], s[2:3]
	s_wait_alu 0xfffd
	v_add_co_ci_u32_e64 v4, null, v7, v5, vcc_lo
	s_wait_alu 0xfffe
	s_cvt_f32_u32 s0, s38
	s_cvt_f32_u32 s3, s39
	s_sub_nc_u64 s[42:43], 0, s[38:39]
	v_xor_b32_e32 v12, v3, v5
	v_xor_b32_e32 v13, v4, v5
	s_wait_alu 0xfffe
	s_fmamk_f32 s0, s3, 0x4f800000, s0
	v_xor_b32_e32 v5, s2, v5
	s_wait_alu 0xfffe
	s_delay_alu instid0(SALU_CYCLE_1) | instskip(NEXT) | instid1(TRANS32_DEP_1)
	v_s_rcp_f32 s0, s0
	s_mul_f32 s0, s0, 0x5f7ffffc
	s_wait_alu 0xfffe
	s_delay_alu instid0(SALU_CYCLE_2) | instskip(SKIP_1) | instid1(SALU_CYCLE_2)
	s_mul_f32 s3, s0, 0x2f800000
	s_wait_alu 0xfffe
	s_trunc_f32 s3, s3
	s_wait_alu 0xfffe
	s_delay_alu instid0(SALU_CYCLE_2) | instskip(SKIP_2) | instid1(SALU_CYCLE_1)
	s_fmamk_f32 s0, s3, 0xcf800000, s0
	s_cvt_u32_f32 s41, s3
	s_wait_alu 0xfffe
	s_cvt_u32_f32 s40, s0
	s_wait_alu 0xfffe
	s_delay_alu instid0(SALU_CYCLE_2)
	s_mul_u64 s[44:45], s[42:43], s[40:41]
	s_wait_alu 0xfffe
	s_mul_hi_u32 s47, s40, s45
	s_mul_i32 s46, s40, s45
	s_mul_hi_u32 s14, s40, s44
	s_mul_i32 s3, s41, s44
	s_wait_alu 0xfffe
	s_add_nc_u64 s[46:47], s[14:15], s[46:47]
	s_mul_hi_u32 s0, s41, s44
	s_mul_hi_u32 s37, s41, s45
	s_wait_alu 0xfffe
	s_add_co_u32 s3, s46, s3
	s_add_co_ci_u32 s14, s47, s0
	s_mul_i32 s44, s41, s45
	s_add_co_ci_u32 s45, s37, 0
	s_wait_alu 0xfffe
	s_add_nc_u64 s[44:45], s[14:15], s[44:45]
	s_wait_alu 0xfffe
	s_add_co_u32 s40, s40, s44
	s_cselect_b32 s0, -1, 0
	s_wait_alu 0xfffe
	s_cmp_lg_u32 s0, 0
	s_add_co_ci_u32 s41, s41, s45
	s_wait_alu 0xfffe
	s_mul_u64 s[42:43], s[42:43], s[40:41]
	s_delay_alu instid0(SALU_CYCLE_1)
	s_mul_hi_u32 s45, s40, s43
	s_mul_i32 s44, s40, s43
	s_mul_hi_u32 s14, s40, s42
	s_mul_i32 s3, s41, s42
	s_wait_alu 0xfffe
	s_add_nc_u64 s[44:45], s[14:15], s[44:45]
	s_mul_hi_u32 s0, s41, s42
	s_mul_hi_u32 s37, s41, s43
	s_wait_alu 0xfffe
	s_add_co_u32 s3, s44, s3
	s_add_co_ci_u32 s14, s45, s0
	s_mul_i32 s42, s41, s43
	s_add_co_ci_u32 s43, s37, 0
	s_wait_alu 0xfffe
	s_add_nc_u64 s[42:43], s[14:15], s[42:43]
	s_delay_alu instid0(SALU_CYCLE_1)
	s_add_co_u32 s0, s40, s42
	s_cselect_b32 s3, -1, 0
	s_wait_alu 0xfffe
	v_mul_hi_u32 v14, v12, s0
	s_cmp_lg_u32 s3, 0
	v_mad_co_u64_u32 v[8:9], null, v13, s0, 0
	s_add_co_ci_u32 s3, s41, s43
	s_wait_alu 0xfffe
	v_mad_co_u64_u32 v[3:4], null, v12, s3, 0
	v_mad_co_u64_u32 v[10:11], null, v13, s3, 0
	s_delay_alu instid0(VALU_DEP_2) | instskip(SKIP_1) | instid1(VALU_DEP_3)
	v_add_co_u32 v3, vcc_lo, v14, v3
	s_wait_alu 0xfffd
	v_add_co_ci_u32_e64 v4, null, 0, v4, vcc_lo
	s_delay_alu instid0(VALU_DEP_2) | instskip(SKIP_1) | instid1(VALU_DEP_2)
	v_add_co_u32 v3, vcc_lo, v3, v8
	s_wait_alu 0xfffd
	v_add_co_ci_u32_e32 v3, vcc_lo, v4, v9, vcc_lo
	s_wait_alu 0xfffd
	v_add_co_ci_u32_e32 v4, vcc_lo, 0, v11, vcc_lo
	s_delay_alu instid0(VALU_DEP_2) | instskip(SKIP_1) | instid1(VALU_DEP_2)
	v_add_co_u32 v8, vcc_lo, v3, v10
	s_wait_alu 0xfffd
	v_add_co_ci_u32_e64 v9, null, 0, v4, vcc_lo
	s_delay_alu instid0(VALU_DEP_2) | instskip(SKIP_1) | instid1(VALU_DEP_3)
	v_mul_lo_u32 v10, s39, v8
	v_mad_co_u64_u32 v[3:4], null, s38, v8, 0
	v_mul_lo_u32 v11, s38, v9
	s_delay_alu instid0(VALU_DEP_2) | instskip(NEXT) | instid1(VALU_DEP_2)
	v_sub_co_u32 v3, vcc_lo, v12, v3
	v_add3_u32 v4, v4, v11, v10
	v_add_co_u32 v11, s0, v8, 2
	s_wait_alu 0xf1ff
	v_add_co_ci_u32_e64 v12, null, 0, v9, s0
	s_delay_alu instid0(VALU_DEP_3) | instskip(SKIP_3) | instid1(VALU_DEP_3)
	v_sub_nc_u32_e32 v10, v13, v4
	v_sub_co_u32 v14, s0, v3, s38
	s_wait_alu 0xfffd
	v_sub_co_ci_u32_e64 v4, null, v13, v4, vcc_lo
	v_subrev_co_ci_u32_e64 v10, null, s39, v10, vcc_lo
	s_delay_alu instid0(VALU_DEP_3) | instskip(SKIP_1) | instid1(VALU_DEP_2)
	v_cmp_le_u32_e32 vcc_lo, s38, v14
	s_wait_alu 0xf1ff
	v_subrev_co_ci_u32_e64 v10, null, 0, v10, s0
	s_wait_alu 0xfffd
	v_cndmask_b32_e64 v13, 0, -1, vcc_lo
	s_delay_alu instid0(VALU_DEP_2)
	v_cmp_le_u32_e32 vcc_lo, s39, v10
	s_wait_alu 0xfffd
	v_cndmask_b32_e64 v14, 0, -1, vcc_lo
	v_cmp_le_u32_e32 vcc_lo, s38, v3
	s_wait_alu 0xfffd
	v_cndmask_b32_e64 v3, 0, -1, vcc_lo
	;; [unrolled: 3-line block ×3, first 2 shown]
	v_cmp_eq_u32_e32 vcc_lo, s39, v10
	s_wait_alu 0xfffd
	v_cndmask_b32_e32 v10, v14, v13, vcc_lo
	v_add_co_u32 v13, vcc_lo, v8, 1
	s_wait_alu 0xfffd
	v_add_co_ci_u32_e64 v14, null, 0, v9, vcc_lo
	v_cmp_eq_u32_e32 vcc_lo, s39, v4
	s_wait_alu 0xfffd
	v_cndmask_b32_e32 v3, v15, v3, vcc_lo
	v_cmp_ne_u32_e32 vcc_lo, 0, v10
	s_delay_alu instid0(VALU_DEP_2) | instskip(SKIP_3) | instid1(VALU_DEP_1)
	v_cmp_ne_u32_e64 s0, 0, v3
	s_wait_alu 0xfffd
	v_dual_cndmask_b32 v4, v14, v12 :: v_dual_cndmask_b32 v3, v13, v11
	s_wait_alu 0xf1ff
	v_cndmask_b32_e64 v4, v9, v4, s0
	s_delay_alu instid0(VALU_DEP_2) | instskip(NEXT) | instid1(VALU_DEP_2)
	v_cndmask_b32_e64 v3, v8, v3, s0
	v_xor_b32_e32 v4, v4, v5
	s_delay_alu instid0(VALU_DEP_2) | instskip(NEXT) | instid1(VALU_DEP_1)
	v_xor_b32_e32 v3, v3, v5
	v_sub_co_u32 v10, vcc_lo, v3, v5
	s_wait_alu 0xfffd
	s_delay_alu instid0(VALU_DEP_3)
	v_sub_co_ci_u32_e64 v11, null, v4, v5, vcc_lo
.LBB50_9:                               ;   in Loop: Header=BB50_3 Depth=1
	s_wait_alu 0xfffe
	s_and_not1_saveexec_b32 s0, s1
	s_cbranch_execz .LBB50_11
; %bb.10:                               ;   in Loop: Header=BB50_3 Depth=1
	s_sub_co_i32 s1, 0, s12
	v_mov_b32_e32 v11, v2
	s_wait_alu 0xfffe
	v_mul_lo_u32 v3, s1, v21
	s_delay_alu instid0(VALU_DEP_1) | instskip(NEXT) | instid1(VALU_DEP_1)
	v_mul_hi_u32 v3, v21, v3
	v_add_nc_u32_e32 v3, v21, v3
	s_delay_alu instid0(VALU_DEP_1) | instskip(NEXT) | instid1(VALU_DEP_1)
	v_mul_hi_u32 v3, v6, v3
	v_mul_lo_u32 v4, v3, s12
	v_add_nc_u32_e32 v5, 1, v3
	s_delay_alu instid0(VALU_DEP_2) | instskip(NEXT) | instid1(VALU_DEP_1)
	v_sub_nc_u32_e32 v4, v6, v4
	v_subrev_nc_u32_e32 v8, s12, v4
	v_cmp_le_u32_e32 vcc_lo, s12, v4
	s_wait_alu 0xfffd
	s_delay_alu instid0(VALU_DEP_2) | instskip(NEXT) | instid1(VALU_DEP_1)
	v_dual_cndmask_b32 v4, v4, v8 :: v_dual_cndmask_b32 v3, v3, v5
	v_cmp_le_u32_e32 vcc_lo, s12, v4
	s_delay_alu instid0(VALU_DEP_2) | instskip(SKIP_1) | instid1(VALU_DEP_1)
	v_add_nc_u32_e32 v5, 1, v3
	s_wait_alu 0xfffd
	v_cndmask_b32_e32 v10, v3, v5, vcc_lo
.LBB50_11:                              ;   in Loop: Header=BB50_3 Depth=1
	s_wait_alu 0xfffe
	s_or_b32 exec_lo, exec_lo, s0
	v_mul_lo_u32 v5, v7, s8
	v_mul_lo_u32 v12, v6, s9
	v_mad_co_u64_u32 v[3:4], null, v6, s8, 0
	v_mul_lo_u32 v13, v11, s12
	v_mul_lo_u32 v14, v10, s13
	v_mad_co_u64_u32 v[8:9], null, v10, s12, 0
	s_mov_b32 s37, exec_lo
	v_add3_u32 v5, v4, v12, v5
	v_sub_co_u32 v4, vcc_lo, v0, v3
	v_add3_u32 v9, v9, v14, v13
	s_wait_alu 0xfffd
	s_delay_alu instid0(VALU_DEP_3) | instskip(SKIP_3) | instid1(VALU_DEP_2)
	v_sub_co_ci_u32_e64 v5, null, v1, v5, vcc_lo
	v_sub_co_u32 v22, vcc_lo, v6, v8
	s_wait_alu 0xfffd
	v_sub_co_ci_u32_e64 v23, null, v7, v9, vcc_lo
	v_sub_co_u32 v6, vcc_lo, v4, v22
	s_wait_alu 0xfffd
	s_delay_alu instid0(VALU_DEP_2) | instskip(NEXT) | instid1(VALU_DEP_2)
	v_sub_co_ci_u32_e64 v7, null, v5, v23, vcc_lo
	v_add_co_u32 v8, vcc_lo, v6, 4
	s_wait_alu 0xfffd
	s_delay_alu instid0(VALU_DEP_2) | instskip(NEXT) | instid1(VALU_DEP_1)
	v_add_co_ci_u32_e64 v9, null, 0, v7, vcc_lo
	v_cmpx_lt_i64_e64 s[4:5], v[8:9]
	s_cbranch_execz .LBB50_2
; %bb.12:                               ;   in Loop: Header=BB50_3 Depth=1
	s_load_b128 s[0:3], s[22:23], 0xc0
	s_and_not1_b32 vcc_lo, exec_lo, s33
	s_wait_kmcnt 0x0
	v_mul_lo_u32 v3, s3, v4
	v_mul_lo_u32 v12, s2, v5
	v_mad_co_u64_u32 v[8:9], null, s2, v4, 0
	s_delay_alu instid0(VALU_DEP_1) | instskip(SKIP_2) | instid1(VALU_DEP_3)
	v_add3_u32 v9, v9, v12, v3
	v_mul_lo_u32 v3, s0, v23
	v_mul_lo_u32 v12, s1, v22
	v_mad_co_u64_u32 v[8:9], null, s0, v22, v[8:9]
	s_delay_alu instid0(VALU_DEP_1)
	v_add3_u32 v9, v12, v9, v3
	s_wait_alu 0xfffe
	s_cbranch_vccnz .LBB50_38
; %bb.13:                               ;   in Loop: Header=BB50_3 Depth=1
	s_mov_b64 s[38:39], s[26:27]
	s_mov_b64 s[40:41], s[30:31]
	s_and_not1_b32 vcc_lo, exec_lo, s63
	s_mov_b64 s[44:45], s[28:29]
	s_mov_b64 s[42:43], s[20:21]
	s_wait_alu 0xfffe
	s_cbranch_vccz .LBB50_17
.LBB50_14:                              ;   in Loop: Header=BB50_3 Depth=1
	s_and_not1_b32 vcc_lo, exec_lo, s64
	s_wait_alu 0xfffe
	s_cbranch_vccnz .LBB50_38
; %bb.15:                               ;   in Loop: Header=BB50_3 Depth=1
	s_lshl_b64 s[0:1], s[42:43], 3
	s_add_nc_u64 s[42:43], s[42:43], 1
	s_wait_alu 0xfffe
	s_add_nc_u64 s[38:39], s[16:17], s[0:1]
	s_add_nc_u64 s[40:41], s[34:35], s[0:1]
	s_branch .LBB50_22
.LBB50_16:                              ;   in Loop: Header=BB50_17 Depth=2
	s_wait_alu 0xfffe
	s_or_b32 exec_lo, exec_lo, s0
	s_load_b64 s[0:1], s[44:45], 0x0
	v_mul_lo_u32 v3, v13, s46
	v_mul_lo_u32 v16, v12, s47
	v_mad_co_u64_u32 v[14:15], null, v12, s46, 0
	s_add_nc_u64 s[38:39], s[38:39], -1
	s_add_nc_u64 s[42:43], s[42:43], -1
	;; [unrolled: 1-line block ×3, first 2 shown]
	s_wait_alu 0xfffe
	s_cmp_lg_u64 s[38:39], 0
	s_add_nc_u64 s[40:41], s[40:41], -8
	v_add3_u32 v3, v15, v16, v3
	v_sub_co_u32 v10, vcc_lo, v10, v14
	s_wait_alu 0xfffd
	s_delay_alu instid0(VALU_DEP_2) | instskip(SKIP_1) | instid1(VALU_DEP_2)
	v_sub_co_ci_u32_e64 v3, null, v11, v3, vcc_lo
	s_wait_kmcnt 0x0
	v_mul_lo_u32 v11, s1, v10
	s_delay_alu instid0(VALU_DEP_2) | instskip(SKIP_1) | instid1(VALU_DEP_1)
	v_mul_lo_u32 v3, s0, v3
	v_mad_co_u64_u32 v[8:9], null, s0, v10, v[8:9]
	v_add3_u32 v9, v11, v9, v3
	v_dual_mov_b32 v10, v12 :: v_dual_mov_b32 v11, v13
	s_cbranch_scc0 .LBB50_14
.LBB50_17:                              ;   Parent Loop BB50_3 Depth=1
                                        ; =>  This Inner Loop Header: Depth=2
	s_load_b64 s[46:47], s[40:41], 0x0
                                        ; implicit-def: $vgpr12_vgpr13
	s_mov_b32 s0, exec_lo
	s_wait_kmcnt 0x0
	v_or_b32_e32 v3, s47, v11
	s_delay_alu instid0(VALU_DEP_1)
	v_cmpx_ne_u64_e32 0, v[2:3]
	s_wait_alu 0xfffe
	s_xor_b32 s1, exec_lo, s0
	s_cbranch_execz .LBB50_19
; %bb.18:                               ;   in Loop: Header=BB50_17 Depth=2
	s_ashr_i32 s48, s47, 31
	v_ashrrev_i32_e32 v3, 31, v11
	s_wait_alu 0xfffe
	s_mov_b32 s49, s48
	s_wait_alu 0xfffe
	s_add_nc_u64 s[50:51], s[46:47], s[48:49]
	v_add_co_u32 v12, vcc_lo, v10, v3
	s_wait_alu 0xfffe
	s_xor_b64 s[50:51], s[50:51], s[48:49]
	s_wait_alu 0xfffd
	v_add_co_ci_u32_e64 v13, null, v11, v3, vcc_lo
	s_wait_alu 0xfffe
	s_cvt_f32_u32 s0, s50
	s_cvt_f32_u32 s14, s51
	s_sub_nc_u64 s[54:55], 0, s[50:51]
	v_xor_b32_e32 v18, v12, v3
	v_xor_b32_e32 v19, v13, v3
	s_wait_alu 0xfffe
	s_fmamk_f32 s0, s14, 0x4f800000, s0
	v_xor_b32_e32 v3, s48, v3
	s_wait_alu 0xfffe
	s_delay_alu instid0(SALU_CYCLE_1) | instskip(NEXT) | instid1(TRANS32_DEP_1)
	v_s_rcp_f32 s0, s0
	s_mul_f32 s0, s0, 0x5f7ffffc
	s_wait_alu 0xfffe
	s_delay_alu instid0(SALU_CYCLE_2) | instskip(SKIP_1) | instid1(SALU_CYCLE_2)
	s_mul_f32 s14, s0, 0x2f800000
	s_wait_alu 0xfffe
	s_trunc_f32 s14, s14
	s_wait_alu 0xfffe
	s_delay_alu instid0(SALU_CYCLE_2) | instskip(SKIP_2) | instid1(SALU_CYCLE_1)
	s_fmamk_f32 s0, s14, 0xcf800000, s0
	s_cvt_u32_f32 s53, s14
	s_wait_alu 0xfffe
	s_cvt_u32_f32 s52, s0
	s_wait_alu 0xfffe
	s_delay_alu instid0(SALU_CYCLE_2)
	s_mul_u64 s[56:57], s[54:55], s[52:53]
	s_wait_alu 0xfffe
	s_mul_hi_u32 s59, s52, s57
	s_mul_i32 s58, s52, s57
	s_mul_hi_u32 s14, s52, s56
	s_mul_i32 s49, s53, s56
	s_wait_alu 0xfffe
	s_add_nc_u64 s[58:59], s[14:15], s[58:59]
	s_mul_hi_u32 s0, s53, s56
	s_mul_hi_u32 s60, s53, s57
	s_wait_alu 0xfffe
	s_add_co_u32 s14, s58, s49
	s_add_co_ci_u32 s14, s59, s0
	s_mul_i32 s56, s53, s57
	s_add_co_ci_u32 s57, s60, 0
	s_wait_alu 0xfffe
	s_add_nc_u64 s[56:57], s[14:15], s[56:57]
	s_wait_alu 0xfffe
	s_add_co_u32 s52, s52, s56
	s_cselect_b32 s0, -1, 0
	s_wait_alu 0xfffe
	s_cmp_lg_u32 s0, 0
	s_add_co_ci_u32 s53, s53, s57
	s_wait_alu 0xfffe
	s_mul_u64 s[54:55], s[54:55], s[52:53]
	s_wait_alu 0xfffe
	s_mul_hi_u32 s57, s52, s55
	s_mul_i32 s56, s52, s55
	s_mul_hi_u32 s14, s52, s54
	s_mul_i32 s49, s53, s54
	s_wait_alu 0xfffe
	s_add_nc_u64 s[56:57], s[14:15], s[56:57]
	s_mul_hi_u32 s0, s53, s54
	s_mul_hi_u32 s58, s53, s55
	s_wait_alu 0xfffe
	s_add_co_u32 s14, s56, s49
	s_add_co_ci_u32 s14, s57, s0
	s_mul_i32 s54, s53, s55
	s_add_co_ci_u32 s55, s58, 0
	s_wait_alu 0xfffe
	s_add_nc_u64 s[54:55], s[14:15], s[54:55]
	s_wait_alu 0xfffe
	s_add_co_u32 s0, s52, s54
	s_cselect_b32 s14, -1, 0
	s_wait_alu 0xfffe
	v_mul_hi_u32 v24, v18, s0
	s_cmp_lg_u32 s14, 0
	v_mad_co_u64_u32 v[14:15], null, v19, s0, 0
	s_add_co_ci_u32 s14, s53, s55
	s_wait_alu 0xfffe
	v_mad_co_u64_u32 v[12:13], null, v18, s14, 0
	v_mad_co_u64_u32 v[16:17], null, v19, s14, 0
	s_delay_alu instid0(VALU_DEP_2) | instskip(SKIP_1) | instid1(VALU_DEP_3)
	v_add_co_u32 v12, vcc_lo, v24, v12
	s_wait_alu 0xfffd
	v_add_co_ci_u32_e64 v13, null, 0, v13, vcc_lo
	s_delay_alu instid0(VALU_DEP_2) | instskip(SKIP_1) | instid1(VALU_DEP_2)
	v_add_co_u32 v12, vcc_lo, v12, v14
	s_wait_alu 0xfffd
	v_add_co_ci_u32_e32 v12, vcc_lo, v13, v15, vcc_lo
	s_wait_alu 0xfffd
	v_add_co_ci_u32_e32 v13, vcc_lo, 0, v17, vcc_lo
	s_delay_alu instid0(VALU_DEP_2) | instskip(SKIP_1) | instid1(VALU_DEP_2)
	v_add_co_u32 v14, vcc_lo, v12, v16
	s_wait_alu 0xfffd
	v_add_co_ci_u32_e64 v15, null, 0, v13, vcc_lo
	s_delay_alu instid0(VALU_DEP_2) | instskip(SKIP_1) | instid1(VALU_DEP_3)
	v_mul_lo_u32 v16, s51, v14
	v_mad_co_u64_u32 v[12:13], null, s50, v14, 0
	v_mul_lo_u32 v17, s50, v15
	s_delay_alu instid0(VALU_DEP_2) | instskip(NEXT) | instid1(VALU_DEP_2)
	v_sub_co_u32 v12, vcc_lo, v18, v12
	v_add3_u32 v13, v13, v17, v16
	v_add_co_u32 v17, s0, v14, 2
	s_wait_alu 0xf1ff
	v_add_co_ci_u32_e64 v18, null, 0, v15, s0
	s_delay_alu instid0(VALU_DEP_3) | instskip(SKIP_3) | instid1(VALU_DEP_3)
	v_sub_nc_u32_e32 v16, v19, v13
	v_sub_co_u32 v24, s0, v12, s50
	s_wait_alu 0xfffd
	v_sub_co_ci_u32_e64 v13, null, v19, v13, vcc_lo
	v_subrev_co_ci_u32_e64 v16, null, s51, v16, vcc_lo
	s_delay_alu instid0(VALU_DEP_3) | instskip(SKIP_1) | instid1(VALU_DEP_2)
	v_cmp_le_u32_e32 vcc_lo, s50, v24
	s_wait_alu 0xf1ff
	v_subrev_co_ci_u32_e64 v16, null, 0, v16, s0
	s_wait_alu 0xfffd
	v_cndmask_b32_e64 v19, 0, -1, vcc_lo
	s_delay_alu instid0(VALU_DEP_2)
	v_cmp_le_u32_e32 vcc_lo, s51, v16
	s_wait_alu 0xfffd
	v_cndmask_b32_e64 v24, 0, -1, vcc_lo
	v_cmp_le_u32_e32 vcc_lo, s50, v12
	s_wait_alu 0xfffd
	v_cndmask_b32_e64 v12, 0, -1, vcc_lo
	;; [unrolled: 3-line block ×3, first 2 shown]
	v_cmp_eq_u32_e32 vcc_lo, s51, v16
	s_wait_alu 0xfffd
	v_cndmask_b32_e32 v16, v24, v19, vcc_lo
	v_add_co_u32 v19, vcc_lo, v14, 1
	s_wait_alu 0xfffd
	v_add_co_ci_u32_e64 v24, null, 0, v15, vcc_lo
	v_cmp_eq_u32_e32 vcc_lo, s51, v13
	s_wait_alu 0xfffd
	v_cndmask_b32_e32 v12, v25, v12, vcc_lo
	v_cmp_ne_u32_e32 vcc_lo, 0, v16
	s_wait_alu 0xfffd
	v_cndmask_b32_e32 v13, v24, v18, vcc_lo
	s_delay_alu instid0(VALU_DEP_3) | instskip(SKIP_2) | instid1(VALU_DEP_2)
	v_cmp_ne_u32_e64 s0, 0, v12
	v_cndmask_b32_e32 v12, v19, v17, vcc_lo
	s_wait_alu 0xf1ff
	v_cndmask_b32_e64 v13, v15, v13, s0
	s_delay_alu instid0(VALU_DEP_2) | instskip(NEXT) | instid1(VALU_DEP_2)
	v_cndmask_b32_e64 v12, v14, v12, s0
	v_xor_b32_e32 v13, v13, v3
	s_delay_alu instid0(VALU_DEP_2) | instskip(NEXT) | instid1(VALU_DEP_1)
	v_xor_b32_e32 v12, v12, v3
	v_sub_co_u32 v12, vcc_lo, v12, v3
	s_wait_alu 0xfffd
	s_delay_alu instid0(VALU_DEP_3)
	v_sub_co_ci_u32_e64 v13, null, v13, v3, vcc_lo
.LBB50_19:                              ;   in Loop: Header=BB50_17 Depth=2
	s_wait_alu 0xfffe
	s_and_not1_saveexec_b32 s0, s1
	s_cbranch_execz .LBB50_16
; %bb.20:                               ;   in Loop: Header=BB50_17 Depth=2
	v_cvt_f32_u32_e32 v3, s46
	s_sub_co_i32 s1, 0, s46
	s_delay_alu instid0(VALU_DEP_1) | instskip(NEXT) | instid1(TRANS32_DEP_1)
	v_rcp_iflag_f32_e32 v3, v3
	v_mul_f32_e32 v3, 0x4f7ffffe, v3
	s_delay_alu instid0(VALU_DEP_1) | instskip(SKIP_1) | instid1(VALU_DEP_1)
	v_cvt_u32_f32_e32 v3, v3
	s_wait_alu 0xfffe
	v_mul_lo_u32 v12, s1, v3
	s_delay_alu instid0(VALU_DEP_1) | instskip(NEXT) | instid1(VALU_DEP_1)
	v_mul_hi_u32 v12, v3, v12
	v_add_nc_u32_e32 v3, v3, v12
	s_delay_alu instid0(VALU_DEP_1) | instskip(NEXT) | instid1(VALU_DEP_1)
	v_mul_hi_u32 v3, v10, v3
	v_mul_lo_u32 v12, v3, s46
	v_add_nc_u32_e32 v13, 1, v3
	s_delay_alu instid0(VALU_DEP_2) | instskip(NEXT) | instid1(VALU_DEP_1)
	v_sub_nc_u32_e32 v12, v10, v12
	v_subrev_nc_u32_e32 v14, s46, v12
	v_cmp_le_u32_e32 vcc_lo, s46, v12
	s_wait_alu 0xfffd
	s_delay_alu instid0(VALU_DEP_2) | instskip(NEXT) | instid1(VALU_DEP_1)
	v_dual_cndmask_b32 v12, v12, v14 :: v_dual_cndmask_b32 v3, v3, v13
	v_cmp_le_u32_e32 vcc_lo, s46, v12
	s_delay_alu instid0(VALU_DEP_2) | instskip(SKIP_1) | instid1(VALU_DEP_1)
	v_add_nc_u32_e32 v13, 1, v3
	s_wait_alu 0xfffd
	v_dual_cndmask_b32 v12, v3, v13 :: v_dual_mov_b32 v13, v2
	s_branch .LBB50_16
.LBB50_21:                              ;   in Loop: Header=BB50_22 Depth=2
	s_wait_alu 0xfffe
	s_or_b32 exec_lo, exec_lo, s0
	v_mul_lo_u32 v3, v13, s44
	v_mul_lo_u32 v28, v12, s45
	v_mad_co_u64_u32 v[24:25], null, v12, s44, 0
	v_mul_lo_u32 v29, v15, s48
	v_mul_lo_u32 v30, v14, s49
	v_mad_co_u64_u32 v[26:27], null, v14, s48, 0
	s_load_b64 s[0:1], s[38:39], 0x0
	s_add_nc_u64 s[42:43], s[42:43], -4
	v_add3_u32 v3, v25, v28, v3
	v_sub_co_u32 v10, vcc_lo, v10, v24
	v_mul_lo_u32 v24, v17, s52
	v_add3_u32 v25, v27, v30, v29
	s_wait_alu 0xfffd
	v_sub_co_ci_u32_e64 v3, null, v11, v3, vcc_lo
	v_mul_lo_u32 v27, s47, v10
	v_mad_co_u64_u32 v[8:9], null, s46, v10, v[8:9]
	s_delay_alu instid0(VALU_DEP_3)
	v_mul_lo_u32 v3, s46, v3
	v_mul_lo_u32 v28, v16, s53
	v_mad_co_u64_u32 v[10:11], null, v16, s52, 0
	v_sub_co_u32 v12, vcc_lo, v12, v26
	s_wait_alu 0xfffd
	v_sub_co_ci_u32_e64 v13, null, v13, v25, vcc_lo
	v_add3_u32 v9, v27, v9, v3
	s_add_nc_u64 s[38:39], s[38:39], s[18:19]
	s_delay_alu instid0(VALU_DEP_4)
	v_add3_u32 v3, v11, v28, v24
	v_mul_lo_u32 v24, s51, v12
	v_mul_lo_u32 v13, s50, v13
	v_mad_co_u64_u32 v[8:9], null, s50, v12, v[8:9]
	v_sub_co_u32 v12, vcc_lo, v14, v10
	s_wait_alu 0xfffd
	v_sub_co_ci_u32_e64 v3, null, v15, v3, vcc_lo
	v_mul_lo_u32 v14, v19, s56
	v_mul_lo_u32 v15, v18, s57
	v_mad_co_u64_u32 v[10:11], null, v18, s56, 0
	v_add3_u32 v9, v24, v9, v13
	v_mul_lo_u32 v3, s54, v3
	s_cmp_eq_u64 s[42:43], 0
	s_add_nc_u64 s[40:41], s[40:41], s[18:19]
	s_delay_alu instid0(VALU_DEP_2) | instskip(SKIP_4) | instid1(VALU_DEP_2)
	v_mad_co_u64_u32 v[8:9], null, s54, v12, v[8:9]
	v_mul_lo_u32 v12, s55, v12
	v_add3_u32 v11, v11, v15, v14
	v_sub_co_u32 v10, vcc_lo, v16, v10
	s_wait_alu 0xfffd
	v_sub_co_ci_u32_e64 v11, null, v17, v11, vcc_lo
	s_delay_alu instid0(VALU_DEP_4) | instskip(SKIP_1) | instid1(VALU_DEP_2)
	v_add3_u32 v9, v12, v9, v3
	s_wait_kmcnt 0x0
	v_mul_lo_u32 v3, s0, v11
	v_mul_lo_u32 v11, s1, v10
	s_delay_alu instid0(VALU_DEP_3) | instskip(NEXT) | instid1(VALU_DEP_1)
	v_mad_co_u64_u32 v[8:9], null, s0, v10, v[8:9]
	v_add3_u32 v9, v11, v9, v3
	v_dual_mov_b32 v10, v18 :: v_dual_mov_b32 v11, v19
	s_cbranch_scc1 .LBB50_38
.LBB50_22:                              ;   Parent Loop BB50_3 Depth=1
                                        ; =>  This Inner Loop Header: Depth=2
	s_load_b64 s[44:45], s[40:41], 0x18
                                        ; implicit-def: $vgpr12_vgpr13
	s_mov_b32 s0, exec_lo
	s_wait_kmcnt 0x0
	v_or_b32_e32 v3, s45, v11
	s_delay_alu instid0(VALU_DEP_1)
	v_cmpx_ne_u64_e32 0, v[2:3]
	s_wait_alu 0xfffe
	s_xor_b32 s1, exec_lo, s0
	s_cbranch_execz .LBB50_24
; %bb.23:                               ;   in Loop: Header=BB50_22 Depth=2
	s_ashr_i32 s46, s45, 31
	v_ashrrev_i32_e32 v3, 31, v11
	s_wait_alu 0xfffe
	s_mov_b32 s47, s46
	s_wait_alu 0xfffe
	s_add_nc_u64 s[48:49], s[44:45], s[46:47]
	v_add_co_u32 v12, vcc_lo, v10, v3
	s_wait_alu 0xfffe
	s_xor_b64 s[48:49], s[48:49], s[46:47]
	s_wait_alu 0xfffd
	v_add_co_ci_u32_e64 v13, null, v11, v3, vcc_lo
	s_wait_alu 0xfffe
	s_cvt_f32_u32 s0, s48
	s_cvt_f32_u32 s14, s49
	s_sub_nc_u64 s[52:53], 0, s[48:49]
	v_xor_b32_e32 v18, v12, v3
	v_xor_b32_e32 v19, v13, v3
	s_wait_alu 0xfffe
	s_fmamk_f32 s0, s14, 0x4f800000, s0
	v_xor_b32_e32 v3, s46, v3
	s_wait_alu 0xfffe
	s_delay_alu instid0(SALU_CYCLE_1) | instskip(NEXT) | instid1(TRANS32_DEP_1)
	v_s_rcp_f32 s0, s0
	s_mul_f32 s0, s0, 0x5f7ffffc
	s_wait_alu 0xfffe
	s_delay_alu instid0(SALU_CYCLE_2) | instskip(SKIP_1) | instid1(SALU_CYCLE_2)
	s_mul_f32 s14, s0, 0x2f800000
	s_wait_alu 0xfffe
	s_trunc_f32 s14, s14
	s_wait_alu 0xfffe
	s_delay_alu instid0(SALU_CYCLE_2) | instskip(SKIP_2) | instid1(SALU_CYCLE_1)
	s_fmamk_f32 s0, s14, 0xcf800000, s0
	s_cvt_u32_f32 s51, s14
	s_wait_alu 0xfffe
	s_cvt_u32_f32 s50, s0
	s_wait_alu 0xfffe
	s_delay_alu instid0(SALU_CYCLE_2)
	s_mul_u64 s[54:55], s[52:53], s[50:51]
	s_wait_alu 0xfffe
	s_mul_hi_u32 s57, s50, s55
	s_mul_i32 s56, s50, s55
	s_mul_hi_u32 s14, s50, s54
	s_mul_i32 s47, s51, s54
	s_wait_alu 0xfffe
	s_add_nc_u64 s[56:57], s[14:15], s[56:57]
	s_mul_hi_u32 s0, s51, s54
	s_mul_hi_u32 s58, s51, s55
	s_wait_alu 0xfffe
	s_add_co_u32 s14, s56, s47
	s_add_co_ci_u32 s14, s57, s0
	s_mul_i32 s54, s51, s55
	s_add_co_ci_u32 s55, s58, 0
	s_wait_alu 0xfffe
	s_add_nc_u64 s[54:55], s[14:15], s[54:55]
	s_wait_alu 0xfffe
	s_add_co_u32 s50, s50, s54
	s_cselect_b32 s0, -1, 0
	s_wait_alu 0xfffe
	s_cmp_lg_u32 s0, 0
	s_add_co_ci_u32 s51, s51, s55
	s_wait_alu 0xfffe
	s_mul_u64 s[52:53], s[52:53], s[50:51]
	s_wait_alu 0xfffe
	s_mul_hi_u32 s55, s50, s53
	s_mul_i32 s54, s50, s53
	s_mul_hi_u32 s14, s50, s52
	s_mul_i32 s47, s51, s52
	s_wait_alu 0xfffe
	s_add_nc_u64 s[54:55], s[14:15], s[54:55]
	s_mul_hi_u32 s0, s51, s52
	s_mul_hi_u32 s56, s51, s53
	s_wait_alu 0xfffe
	s_add_co_u32 s14, s54, s47
	s_add_co_ci_u32 s14, s55, s0
	s_mul_i32 s52, s51, s53
	s_add_co_ci_u32 s53, s56, 0
	s_wait_alu 0xfffe
	s_add_nc_u64 s[52:53], s[14:15], s[52:53]
	s_wait_alu 0xfffe
	s_add_co_u32 s0, s50, s52
	s_cselect_b32 s14, -1, 0
	s_wait_alu 0xfffe
	v_mul_hi_u32 v24, v18, s0
	s_cmp_lg_u32 s14, 0
	v_mad_co_u64_u32 v[14:15], null, v19, s0, 0
	s_add_co_ci_u32 s14, s51, s53
	s_wait_alu 0xfffe
	v_mad_co_u64_u32 v[12:13], null, v18, s14, 0
	v_mad_co_u64_u32 v[16:17], null, v19, s14, 0
	s_delay_alu instid0(VALU_DEP_2) | instskip(SKIP_1) | instid1(VALU_DEP_3)
	v_add_co_u32 v12, vcc_lo, v24, v12
	s_wait_alu 0xfffd
	v_add_co_ci_u32_e64 v13, null, 0, v13, vcc_lo
	s_delay_alu instid0(VALU_DEP_2) | instskip(SKIP_1) | instid1(VALU_DEP_2)
	v_add_co_u32 v12, vcc_lo, v12, v14
	s_wait_alu 0xfffd
	v_add_co_ci_u32_e32 v12, vcc_lo, v13, v15, vcc_lo
	s_wait_alu 0xfffd
	v_add_co_ci_u32_e32 v13, vcc_lo, 0, v17, vcc_lo
	s_delay_alu instid0(VALU_DEP_2) | instskip(SKIP_1) | instid1(VALU_DEP_2)
	v_add_co_u32 v14, vcc_lo, v12, v16
	s_wait_alu 0xfffd
	v_add_co_ci_u32_e64 v15, null, 0, v13, vcc_lo
	s_delay_alu instid0(VALU_DEP_2) | instskip(SKIP_1) | instid1(VALU_DEP_3)
	v_mul_lo_u32 v16, s49, v14
	v_mad_co_u64_u32 v[12:13], null, s48, v14, 0
	v_mul_lo_u32 v17, s48, v15
	s_delay_alu instid0(VALU_DEP_2) | instskip(NEXT) | instid1(VALU_DEP_2)
	v_sub_co_u32 v12, vcc_lo, v18, v12
	v_add3_u32 v13, v13, v17, v16
	v_add_co_u32 v17, s0, v14, 2
	s_wait_alu 0xf1ff
	v_add_co_ci_u32_e64 v18, null, 0, v15, s0
	s_delay_alu instid0(VALU_DEP_3) | instskip(SKIP_3) | instid1(VALU_DEP_3)
	v_sub_nc_u32_e32 v16, v19, v13
	v_sub_co_u32 v24, s0, v12, s48
	s_wait_alu 0xfffd
	v_sub_co_ci_u32_e64 v13, null, v19, v13, vcc_lo
	v_subrev_co_ci_u32_e64 v16, null, s49, v16, vcc_lo
	s_delay_alu instid0(VALU_DEP_3) | instskip(SKIP_1) | instid1(VALU_DEP_2)
	v_cmp_le_u32_e32 vcc_lo, s48, v24
	s_wait_alu 0xf1ff
	v_subrev_co_ci_u32_e64 v16, null, 0, v16, s0
	s_wait_alu 0xfffd
	v_cndmask_b32_e64 v19, 0, -1, vcc_lo
	s_delay_alu instid0(VALU_DEP_2)
	v_cmp_le_u32_e32 vcc_lo, s49, v16
	s_wait_alu 0xfffd
	v_cndmask_b32_e64 v24, 0, -1, vcc_lo
	v_cmp_le_u32_e32 vcc_lo, s48, v12
	s_wait_alu 0xfffd
	v_cndmask_b32_e64 v12, 0, -1, vcc_lo
	;; [unrolled: 3-line block ×3, first 2 shown]
	v_cmp_eq_u32_e32 vcc_lo, s49, v16
	s_wait_alu 0xfffd
	v_cndmask_b32_e32 v16, v24, v19, vcc_lo
	v_add_co_u32 v19, vcc_lo, v14, 1
	s_wait_alu 0xfffd
	v_add_co_ci_u32_e64 v24, null, 0, v15, vcc_lo
	v_cmp_eq_u32_e32 vcc_lo, s49, v13
	s_wait_alu 0xfffd
	v_cndmask_b32_e32 v12, v25, v12, vcc_lo
	v_cmp_ne_u32_e32 vcc_lo, 0, v16
	s_wait_alu 0xfffd
	v_cndmask_b32_e32 v13, v24, v18, vcc_lo
	s_delay_alu instid0(VALU_DEP_3) | instskip(SKIP_2) | instid1(VALU_DEP_2)
	v_cmp_ne_u32_e64 s0, 0, v12
	v_cndmask_b32_e32 v12, v19, v17, vcc_lo
	s_wait_alu 0xf1ff
	v_cndmask_b32_e64 v13, v15, v13, s0
	s_delay_alu instid0(VALU_DEP_2) | instskip(NEXT) | instid1(VALU_DEP_2)
	v_cndmask_b32_e64 v12, v14, v12, s0
	v_xor_b32_e32 v13, v13, v3
	s_delay_alu instid0(VALU_DEP_2) | instskip(NEXT) | instid1(VALU_DEP_1)
	v_xor_b32_e32 v12, v12, v3
	v_sub_co_u32 v12, vcc_lo, v12, v3
	s_wait_alu 0xfffd
	s_delay_alu instid0(VALU_DEP_3)
	v_sub_co_ci_u32_e64 v13, null, v13, v3, vcc_lo
.LBB50_24:                              ;   in Loop: Header=BB50_22 Depth=2
	s_wait_alu 0xfffe
	s_and_not1_saveexec_b32 s0, s1
	s_cbranch_execz .LBB50_26
; %bb.25:                               ;   in Loop: Header=BB50_22 Depth=2
	v_cvt_f32_u32_e32 v3, s44
	s_sub_co_i32 s1, 0, s44
	s_delay_alu instid0(VALU_DEP_1) | instskip(NEXT) | instid1(TRANS32_DEP_1)
	v_rcp_iflag_f32_e32 v3, v3
	v_mul_f32_e32 v3, 0x4f7ffffe, v3
	s_delay_alu instid0(VALU_DEP_1) | instskip(SKIP_1) | instid1(VALU_DEP_1)
	v_cvt_u32_f32_e32 v3, v3
	s_wait_alu 0xfffe
	v_mul_lo_u32 v12, s1, v3
	s_delay_alu instid0(VALU_DEP_1) | instskip(NEXT) | instid1(VALU_DEP_1)
	v_mul_hi_u32 v12, v3, v12
	v_add_nc_u32_e32 v3, v3, v12
	s_delay_alu instid0(VALU_DEP_1) | instskip(NEXT) | instid1(VALU_DEP_1)
	v_mul_hi_u32 v3, v10, v3
	v_mul_lo_u32 v12, v3, s44
	v_add_nc_u32_e32 v13, 1, v3
	s_delay_alu instid0(VALU_DEP_2) | instskip(NEXT) | instid1(VALU_DEP_1)
	v_sub_nc_u32_e32 v12, v10, v12
	v_subrev_nc_u32_e32 v14, s44, v12
	v_cmp_le_u32_e32 vcc_lo, s44, v12
	s_wait_alu 0xfffd
	s_delay_alu instid0(VALU_DEP_2) | instskip(NEXT) | instid1(VALU_DEP_1)
	v_dual_cndmask_b32 v12, v12, v14 :: v_dual_cndmask_b32 v3, v3, v13
	v_cmp_le_u32_e32 vcc_lo, s44, v12
	s_delay_alu instid0(VALU_DEP_2) | instskip(SKIP_1) | instid1(VALU_DEP_1)
	v_add_nc_u32_e32 v13, 1, v3
	s_wait_alu 0xfffd
	v_dual_cndmask_b32 v12, v3, v13 :: v_dual_mov_b32 v13, v2
.LBB50_26:                              ;   in Loop: Header=BB50_22 Depth=2
	s_wait_alu 0xfffe
	s_or_b32 exec_lo, exec_lo, s0
	s_load_b64 s[48:49], s[40:41], 0x10
	s_load_b64 s[46:47], s[38:39], 0x18
                                        ; implicit-def: $vgpr14_vgpr15
	s_mov_b32 s0, exec_lo
	s_wait_kmcnt 0x0
	v_or_b32_e32 v3, s49, v13
	s_delay_alu instid0(VALU_DEP_1)
	v_cmpx_ne_u64_e32 0, v[2:3]
	s_wait_alu 0xfffe
	s_xor_b32 s1, exec_lo, s0
	s_cbranch_execz .LBB50_28
; %bb.27:                               ;   in Loop: Header=BB50_22 Depth=2
	s_ashr_i32 s50, s49, 31
	v_ashrrev_i32_e32 v3, 31, v13
	s_wait_alu 0xfffe
	s_mov_b32 s51, s50
	s_wait_alu 0xfffe
	s_add_nc_u64 s[52:53], s[48:49], s[50:51]
	v_add_co_u32 v14, vcc_lo, v12, v3
	s_wait_alu 0xfffe
	s_xor_b64 s[52:53], s[52:53], s[50:51]
	s_wait_alu 0xfffd
	v_add_co_ci_u32_e64 v15, null, v13, v3, vcc_lo
	s_wait_alu 0xfffe
	s_cvt_f32_u32 s0, s52
	s_cvt_f32_u32 s14, s53
	s_sub_nc_u64 s[56:57], 0, s[52:53]
	v_xor_b32_e32 v24, v14, v3
	v_xor_b32_e32 v25, v15, v3
	s_wait_alu 0xfffe
	s_fmamk_f32 s0, s14, 0x4f800000, s0
	v_xor_b32_e32 v3, s50, v3
	s_wait_alu 0xfffe
	s_delay_alu instid0(SALU_CYCLE_1) | instskip(NEXT) | instid1(TRANS32_DEP_1)
	v_s_rcp_f32 s0, s0
	s_mul_f32 s0, s0, 0x5f7ffffc
	s_wait_alu 0xfffe
	s_delay_alu instid0(SALU_CYCLE_2) | instskip(SKIP_1) | instid1(SALU_CYCLE_2)
	s_mul_f32 s14, s0, 0x2f800000
	s_wait_alu 0xfffe
	s_trunc_f32 s14, s14
	s_wait_alu 0xfffe
	s_delay_alu instid0(SALU_CYCLE_2) | instskip(SKIP_2) | instid1(SALU_CYCLE_1)
	s_fmamk_f32 s0, s14, 0xcf800000, s0
	s_cvt_u32_f32 s55, s14
	s_wait_alu 0xfffe
	s_cvt_u32_f32 s54, s0
	s_wait_alu 0xfffe
	s_delay_alu instid0(SALU_CYCLE_2)
	s_mul_u64 s[58:59], s[56:57], s[54:55]
	s_wait_alu 0xfffe
	s_mul_hi_u32 s61, s54, s59
	s_mul_i32 s60, s54, s59
	s_mul_hi_u32 s14, s54, s58
	s_mul_i32 s51, s55, s58
	s_wait_alu 0xfffe
	s_add_nc_u64 s[60:61], s[14:15], s[60:61]
	s_mul_hi_u32 s0, s55, s58
	s_mul_hi_u32 s66, s55, s59
	s_wait_alu 0xfffe
	s_add_co_u32 s14, s60, s51
	s_add_co_ci_u32 s14, s61, s0
	s_mul_i32 s58, s55, s59
	s_add_co_ci_u32 s59, s66, 0
	s_wait_alu 0xfffe
	s_add_nc_u64 s[58:59], s[14:15], s[58:59]
	s_wait_alu 0xfffe
	s_add_co_u32 s54, s54, s58
	s_cselect_b32 s0, -1, 0
	s_wait_alu 0xfffe
	s_cmp_lg_u32 s0, 0
	s_add_co_ci_u32 s55, s55, s59
	s_wait_alu 0xfffe
	s_mul_u64 s[56:57], s[56:57], s[54:55]
	s_wait_alu 0xfffe
	s_mul_hi_u32 s59, s54, s57
	s_mul_i32 s58, s54, s57
	s_mul_hi_u32 s14, s54, s56
	s_mul_i32 s51, s55, s56
	s_wait_alu 0xfffe
	s_add_nc_u64 s[58:59], s[14:15], s[58:59]
	s_mul_hi_u32 s0, s55, s56
	s_mul_hi_u32 s60, s55, s57
	s_wait_alu 0xfffe
	s_add_co_u32 s14, s58, s51
	s_add_co_ci_u32 s14, s59, s0
	s_mul_i32 s56, s55, s57
	s_add_co_ci_u32 s57, s60, 0
	s_wait_alu 0xfffe
	s_add_nc_u64 s[56:57], s[14:15], s[56:57]
	s_wait_alu 0xfffe
	s_add_co_u32 s0, s54, s56
	s_cselect_b32 s14, -1, 0
	s_wait_alu 0xfffe
	v_mul_hi_u32 v26, v24, s0
	s_cmp_lg_u32 s14, 0
	v_mad_co_u64_u32 v[16:17], null, v25, s0, 0
	s_add_co_ci_u32 s14, s55, s57
	s_wait_alu 0xfffe
	v_mad_co_u64_u32 v[14:15], null, v24, s14, 0
	v_mad_co_u64_u32 v[18:19], null, v25, s14, 0
	s_delay_alu instid0(VALU_DEP_2) | instskip(SKIP_1) | instid1(VALU_DEP_3)
	v_add_co_u32 v14, vcc_lo, v26, v14
	s_wait_alu 0xfffd
	v_add_co_ci_u32_e64 v15, null, 0, v15, vcc_lo
	s_delay_alu instid0(VALU_DEP_2) | instskip(SKIP_1) | instid1(VALU_DEP_2)
	v_add_co_u32 v14, vcc_lo, v14, v16
	s_wait_alu 0xfffd
	v_add_co_ci_u32_e32 v14, vcc_lo, v15, v17, vcc_lo
	s_wait_alu 0xfffd
	v_add_co_ci_u32_e32 v15, vcc_lo, 0, v19, vcc_lo
	s_delay_alu instid0(VALU_DEP_2) | instskip(SKIP_1) | instid1(VALU_DEP_2)
	v_add_co_u32 v16, vcc_lo, v14, v18
	s_wait_alu 0xfffd
	v_add_co_ci_u32_e64 v17, null, 0, v15, vcc_lo
	s_delay_alu instid0(VALU_DEP_2) | instskip(SKIP_1) | instid1(VALU_DEP_3)
	v_mul_lo_u32 v18, s53, v16
	v_mad_co_u64_u32 v[14:15], null, s52, v16, 0
	v_mul_lo_u32 v19, s52, v17
	s_delay_alu instid0(VALU_DEP_2) | instskip(NEXT) | instid1(VALU_DEP_2)
	v_sub_co_u32 v14, vcc_lo, v24, v14
	v_add3_u32 v15, v15, v19, v18
	v_add_co_u32 v19, s0, v16, 2
	s_wait_alu 0xf1ff
	v_add_co_ci_u32_e64 v24, null, 0, v17, s0
	s_delay_alu instid0(VALU_DEP_3) | instskip(SKIP_3) | instid1(VALU_DEP_3)
	v_sub_nc_u32_e32 v18, v25, v15
	v_sub_co_u32 v26, s0, v14, s52
	s_wait_alu 0xfffd
	v_sub_co_ci_u32_e64 v15, null, v25, v15, vcc_lo
	v_subrev_co_ci_u32_e64 v18, null, s53, v18, vcc_lo
	s_delay_alu instid0(VALU_DEP_3) | instskip(SKIP_1) | instid1(VALU_DEP_2)
	v_cmp_le_u32_e32 vcc_lo, s52, v26
	s_wait_alu 0xf1ff
	v_subrev_co_ci_u32_e64 v18, null, 0, v18, s0
	s_wait_alu 0xfffd
	v_cndmask_b32_e64 v25, 0, -1, vcc_lo
	s_delay_alu instid0(VALU_DEP_2)
	v_cmp_le_u32_e32 vcc_lo, s53, v18
	s_wait_alu 0xfffd
	v_cndmask_b32_e64 v26, 0, -1, vcc_lo
	v_cmp_le_u32_e32 vcc_lo, s52, v14
	s_wait_alu 0xfffd
	v_cndmask_b32_e64 v14, 0, -1, vcc_lo
	;; [unrolled: 3-line block ×3, first 2 shown]
	v_cmp_eq_u32_e32 vcc_lo, s53, v18
	s_wait_alu 0xfffd
	v_cndmask_b32_e32 v18, v26, v25, vcc_lo
	v_add_co_u32 v25, vcc_lo, v16, 1
	s_wait_alu 0xfffd
	v_add_co_ci_u32_e64 v26, null, 0, v17, vcc_lo
	v_cmp_eq_u32_e32 vcc_lo, s53, v15
	s_wait_alu 0xfffd
	v_cndmask_b32_e32 v14, v27, v14, vcc_lo
	v_cmp_ne_u32_e32 vcc_lo, 0, v18
	s_wait_alu 0xfffd
	v_cndmask_b32_e32 v15, v26, v24, vcc_lo
	s_delay_alu instid0(VALU_DEP_3) | instskip(SKIP_2) | instid1(VALU_DEP_2)
	v_cmp_ne_u32_e64 s0, 0, v14
	v_cndmask_b32_e32 v14, v25, v19, vcc_lo
	s_wait_alu 0xf1ff
	v_cndmask_b32_e64 v15, v17, v15, s0
	s_delay_alu instid0(VALU_DEP_2) | instskip(NEXT) | instid1(VALU_DEP_2)
	v_cndmask_b32_e64 v14, v16, v14, s0
	v_xor_b32_e32 v15, v15, v3
	s_delay_alu instid0(VALU_DEP_2) | instskip(NEXT) | instid1(VALU_DEP_1)
	v_xor_b32_e32 v14, v14, v3
	v_sub_co_u32 v14, vcc_lo, v14, v3
	s_wait_alu 0xfffd
	s_delay_alu instid0(VALU_DEP_3)
	v_sub_co_ci_u32_e64 v15, null, v15, v3, vcc_lo
.LBB50_28:                              ;   in Loop: Header=BB50_22 Depth=2
	s_wait_alu 0xfffe
	s_and_not1_saveexec_b32 s0, s1
	s_cbranch_execz .LBB50_30
; %bb.29:                               ;   in Loop: Header=BB50_22 Depth=2
	v_cvt_f32_u32_e32 v3, s48
	s_sub_co_i32 s1, 0, s48
	s_delay_alu instid0(VALU_DEP_1) | instskip(NEXT) | instid1(TRANS32_DEP_1)
	v_rcp_iflag_f32_e32 v3, v3
	v_mul_f32_e32 v3, 0x4f7ffffe, v3
	s_delay_alu instid0(VALU_DEP_1) | instskip(SKIP_1) | instid1(VALU_DEP_1)
	v_cvt_u32_f32_e32 v3, v3
	s_wait_alu 0xfffe
	v_mul_lo_u32 v14, s1, v3
	s_delay_alu instid0(VALU_DEP_1) | instskip(NEXT) | instid1(VALU_DEP_1)
	v_mul_hi_u32 v14, v3, v14
	v_add_nc_u32_e32 v3, v3, v14
	s_delay_alu instid0(VALU_DEP_1) | instskip(NEXT) | instid1(VALU_DEP_1)
	v_mul_hi_u32 v3, v12, v3
	v_mul_lo_u32 v14, v3, s48
	v_add_nc_u32_e32 v15, 1, v3
	s_delay_alu instid0(VALU_DEP_2) | instskip(NEXT) | instid1(VALU_DEP_1)
	v_sub_nc_u32_e32 v14, v12, v14
	v_subrev_nc_u32_e32 v16, s48, v14
	v_cmp_le_u32_e32 vcc_lo, s48, v14
	s_wait_alu 0xfffd
	s_delay_alu instid0(VALU_DEP_2) | instskip(NEXT) | instid1(VALU_DEP_1)
	v_dual_cndmask_b32 v14, v14, v16 :: v_dual_cndmask_b32 v3, v3, v15
	v_cmp_le_u32_e32 vcc_lo, s48, v14
	s_delay_alu instid0(VALU_DEP_2) | instskip(SKIP_1) | instid1(VALU_DEP_1)
	v_add_nc_u32_e32 v15, 1, v3
	s_wait_alu 0xfffd
	v_dual_cndmask_b32 v14, v3, v15 :: v_dual_mov_b32 v15, v2
.LBB50_30:                              ;   in Loop: Header=BB50_22 Depth=2
	s_wait_alu 0xfffe
	s_or_b32 exec_lo, exec_lo, s0
	s_load_b64 s[52:53], s[40:41], 0x8
	s_load_b64 s[50:51], s[38:39], 0x10
                                        ; implicit-def: $vgpr16_vgpr17
	s_mov_b32 s0, exec_lo
	s_wait_kmcnt 0x0
	v_or_b32_e32 v3, s53, v15
	s_delay_alu instid0(VALU_DEP_1)
	v_cmpx_ne_u64_e32 0, v[2:3]
	s_wait_alu 0xfffe
	s_xor_b32 s1, exec_lo, s0
	s_cbranch_execz .LBB50_32
; %bb.31:                               ;   in Loop: Header=BB50_22 Depth=2
	s_ashr_i32 s54, s53, 31
	v_ashrrev_i32_e32 v3, 31, v15
	s_wait_alu 0xfffe
	s_mov_b32 s55, s54
	s_wait_alu 0xfffe
	s_add_nc_u64 s[56:57], s[52:53], s[54:55]
	v_add_co_u32 v16, vcc_lo, v14, v3
	s_wait_alu 0xfffe
	s_xor_b64 s[56:57], s[56:57], s[54:55]
	s_wait_alu 0xfffd
	v_add_co_ci_u32_e64 v17, null, v15, v3, vcc_lo
	s_wait_alu 0xfffe
	s_cvt_f32_u32 s0, s56
	s_cvt_f32_u32 s14, s57
	s_sub_nc_u64 s[60:61], 0, s[56:57]
	v_xor_b32_e32 v26, v16, v3
	v_xor_b32_e32 v27, v17, v3
	s_wait_alu 0xfffe
	s_fmamk_f32 s0, s14, 0x4f800000, s0
	v_xor_b32_e32 v3, s54, v3
	s_wait_alu 0xfffe
	s_delay_alu instid0(SALU_CYCLE_1) | instskip(NEXT) | instid1(TRANS32_DEP_1)
	v_s_rcp_f32 s0, s0
	s_mul_f32 s0, s0, 0x5f7ffffc
	s_wait_alu 0xfffe
	s_delay_alu instid0(SALU_CYCLE_2) | instskip(SKIP_1) | instid1(SALU_CYCLE_2)
	s_mul_f32 s14, s0, 0x2f800000
	s_wait_alu 0xfffe
	s_trunc_f32 s14, s14
	s_wait_alu 0xfffe
	s_delay_alu instid0(SALU_CYCLE_2) | instskip(SKIP_2) | instid1(SALU_CYCLE_1)
	s_fmamk_f32 s0, s14, 0xcf800000, s0
	s_cvt_u32_f32 s59, s14
	s_wait_alu 0xfffe
	s_cvt_u32_f32 s58, s0
	s_wait_alu 0xfffe
	s_delay_alu instid0(SALU_CYCLE_2) | instskip(NEXT) | instid1(SALU_CYCLE_1)
	s_mul_u64 s[66:67], s[60:61], s[58:59]
	s_mul_hi_u32 s69, s58, s67
	s_mul_i32 s68, s58, s67
	s_mul_hi_u32 s14, s58, s66
	s_mul_i32 s55, s59, s66
	s_wait_alu 0xfffe
	s_add_nc_u64 s[68:69], s[14:15], s[68:69]
	s_mul_hi_u32 s0, s59, s66
	s_mul_hi_u32 s70, s59, s67
	s_add_co_u32 s14, s68, s55
	s_wait_alu 0xfffe
	s_add_co_ci_u32 s14, s69, s0
	s_mul_i32 s66, s59, s67
	s_add_co_ci_u32 s67, s70, 0
	s_wait_alu 0xfffe
	s_add_nc_u64 s[66:67], s[14:15], s[66:67]
	s_delay_alu instid0(SALU_CYCLE_1)
	s_add_co_u32 s58, s58, s66
	s_cselect_b32 s0, -1, 0
	s_wait_alu 0xfffe
	s_cmp_lg_u32 s0, 0
	s_add_co_ci_u32 s59, s59, s67
	s_wait_alu 0xfffe
	s_mul_u64 s[60:61], s[60:61], s[58:59]
	s_wait_alu 0xfffe
	s_mul_hi_u32 s67, s58, s61
	s_mul_i32 s66, s58, s61
	s_mul_hi_u32 s14, s58, s60
	s_mul_i32 s55, s59, s60
	s_wait_alu 0xfffe
	s_add_nc_u64 s[66:67], s[14:15], s[66:67]
	s_mul_hi_u32 s0, s59, s60
	s_mul_hi_u32 s68, s59, s61
	s_add_co_u32 s14, s66, s55
	s_wait_alu 0xfffe
	s_add_co_ci_u32 s14, s67, s0
	s_mul_i32 s60, s59, s61
	s_add_co_ci_u32 s61, s68, 0
	s_wait_alu 0xfffe
	s_add_nc_u64 s[60:61], s[14:15], s[60:61]
	s_wait_alu 0xfffe
	s_add_co_u32 s0, s58, s60
	s_cselect_b32 s14, -1, 0
	s_wait_alu 0xfffe
	v_mul_hi_u32 v28, v26, s0
	s_cmp_lg_u32 s14, 0
	v_mad_co_u64_u32 v[18:19], null, v27, s0, 0
	s_add_co_ci_u32 s14, s59, s61
	s_wait_alu 0xfffe
	v_mad_co_u64_u32 v[16:17], null, v26, s14, 0
	v_mad_co_u64_u32 v[24:25], null, v27, s14, 0
	s_delay_alu instid0(VALU_DEP_2) | instskip(SKIP_1) | instid1(VALU_DEP_3)
	v_add_co_u32 v16, vcc_lo, v28, v16
	s_wait_alu 0xfffd
	v_add_co_ci_u32_e64 v17, null, 0, v17, vcc_lo
	s_delay_alu instid0(VALU_DEP_2) | instskip(SKIP_1) | instid1(VALU_DEP_2)
	v_add_co_u32 v16, vcc_lo, v16, v18
	s_wait_alu 0xfffd
	v_add_co_ci_u32_e32 v16, vcc_lo, v17, v19, vcc_lo
	s_wait_alu 0xfffd
	v_add_co_ci_u32_e32 v17, vcc_lo, 0, v25, vcc_lo
	s_delay_alu instid0(VALU_DEP_2) | instskip(SKIP_1) | instid1(VALU_DEP_2)
	v_add_co_u32 v18, vcc_lo, v16, v24
	s_wait_alu 0xfffd
	v_add_co_ci_u32_e64 v19, null, 0, v17, vcc_lo
	s_delay_alu instid0(VALU_DEP_2) | instskip(SKIP_1) | instid1(VALU_DEP_3)
	v_mul_lo_u32 v24, s57, v18
	v_mad_co_u64_u32 v[16:17], null, s56, v18, 0
	v_mul_lo_u32 v25, s56, v19
	s_delay_alu instid0(VALU_DEP_2) | instskip(NEXT) | instid1(VALU_DEP_2)
	v_sub_co_u32 v16, vcc_lo, v26, v16
	v_add3_u32 v17, v17, v25, v24
	v_add_co_u32 v25, s0, v18, 2
	s_wait_alu 0xf1ff
	v_add_co_ci_u32_e64 v26, null, 0, v19, s0
	s_delay_alu instid0(VALU_DEP_3) | instskip(SKIP_3) | instid1(VALU_DEP_3)
	v_sub_nc_u32_e32 v24, v27, v17
	v_sub_co_u32 v28, s0, v16, s56
	s_wait_alu 0xfffd
	v_sub_co_ci_u32_e64 v17, null, v27, v17, vcc_lo
	v_subrev_co_ci_u32_e64 v24, null, s57, v24, vcc_lo
	s_delay_alu instid0(VALU_DEP_3) | instskip(SKIP_1) | instid1(VALU_DEP_2)
	v_cmp_le_u32_e32 vcc_lo, s56, v28
	s_wait_alu 0xf1ff
	v_subrev_co_ci_u32_e64 v24, null, 0, v24, s0
	s_wait_alu 0xfffd
	v_cndmask_b32_e64 v27, 0, -1, vcc_lo
	s_delay_alu instid0(VALU_DEP_2)
	v_cmp_le_u32_e32 vcc_lo, s57, v24
	s_wait_alu 0xfffd
	v_cndmask_b32_e64 v28, 0, -1, vcc_lo
	v_cmp_le_u32_e32 vcc_lo, s56, v16
	s_wait_alu 0xfffd
	v_cndmask_b32_e64 v16, 0, -1, vcc_lo
	;; [unrolled: 3-line block ×3, first 2 shown]
	v_cmp_eq_u32_e32 vcc_lo, s57, v24
	s_wait_alu 0xfffd
	v_cndmask_b32_e32 v24, v28, v27, vcc_lo
	v_add_co_u32 v27, vcc_lo, v18, 1
	s_wait_alu 0xfffd
	v_add_co_ci_u32_e64 v28, null, 0, v19, vcc_lo
	v_cmp_eq_u32_e32 vcc_lo, s57, v17
	s_wait_alu 0xfffd
	v_cndmask_b32_e32 v16, v29, v16, vcc_lo
	v_cmp_ne_u32_e32 vcc_lo, 0, v24
	s_wait_alu 0xfffd
	v_cndmask_b32_e32 v17, v28, v26, vcc_lo
	s_delay_alu instid0(VALU_DEP_3) | instskip(SKIP_2) | instid1(VALU_DEP_2)
	v_cmp_ne_u32_e64 s0, 0, v16
	v_cndmask_b32_e32 v16, v27, v25, vcc_lo
	s_wait_alu 0xf1ff
	v_cndmask_b32_e64 v17, v19, v17, s0
	s_delay_alu instid0(VALU_DEP_2) | instskip(NEXT) | instid1(VALU_DEP_2)
	v_cndmask_b32_e64 v16, v18, v16, s0
	v_xor_b32_e32 v17, v17, v3
	s_delay_alu instid0(VALU_DEP_2) | instskip(NEXT) | instid1(VALU_DEP_1)
	v_xor_b32_e32 v16, v16, v3
	v_sub_co_u32 v16, vcc_lo, v16, v3
	s_wait_alu 0xfffd
	s_delay_alu instid0(VALU_DEP_3)
	v_sub_co_ci_u32_e64 v17, null, v17, v3, vcc_lo
.LBB50_32:                              ;   in Loop: Header=BB50_22 Depth=2
	s_wait_alu 0xfffe
	s_and_not1_saveexec_b32 s0, s1
	s_cbranch_execz .LBB50_34
; %bb.33:                               ;   in Loop: Header=BB50_22 Depth=2
	v_cvt_f32_u32_e32 v3, s52
	s_sub_co_i32 s1, 0, s52
	s_delay_alu instid0(VALU_DEP_1) | instskip(NEXT) | instid1(TRANS32_DEP_1)
	v_rcp_iflag_f32_e32 v3, v3
	v_mul_f32_e32 v3, 0x4f7ffffe, v3
	s_delay_alu instid0(VALU_DEP_1) | instskip(SKIP_1) | instid1(VALU_DEP_1)
	v_cvt_u32_f32_e32 v3, v3
	s_wait_alu 0xfffe
	v_mul_lo_u32 v16, s1, v3
	s_delay_alu instid0(VALU_DEP_1) | instskip(NEXT) | instid1(VALU_DEP_1)
	v_mul_hi_u32 v16, v3, v16
	v_add_nc_u32_e32 v3, v3, v16
	s_delay_alu instid0(VALU_DEP_1) | instskip(NEXT) | instid1(VALU_DEP_1)
	v_mul_hi_u32 v3, v14, v3
	v_mul_lo_u32 v16, v3, s52
	v_add_nc_u32_e32 v17, 1, v3
	s_delay_alu instid0(VALU_DEP_2) | instskip(NEXT) | instid1(VALU_DEP_1)
	v_sub_nc_u32_e32 v16, v14, v16
	v_subrev_nc_u32_e32 v18, s52, v16
	v_cmp_le_u32_e32 vcc_lo, s52, v16
	s_wait_alu 0xfffd
	s_delay_alu instid0(VALU_DEP_2) | instskip(NEXT) | instid1(VALU_DEP_1)
	v_dual_cndmask_b32 v16, v16, v18 :: v_dual_cndmask_b32 v3, v3, v17
	v_cmp_le_u32_e32 vcc_lo, s52, v16
	s_delay_alu instid0(VALU_DEP_2) | instskip(SKIP_1) | instid1(VALU_DEP_1)
	v_add_nc_u32_e32 v17, 1, v3
	s_wait_alu 0xfffd
	v_dual_cndmask_b32 v16, v3, v17 :: v_dual_mov_b32 v17, v2
.LBB50_34:                              ;   in Loop: Header=BB50_22 Depth=2
	s_wait_alu 0xfffe
	s_or_b32 exec_lo, exec_lo, s0
	s_load_b64 s[56:57], s[40:41], 0x0
	s_load_b64 s[54:55], s[38:39], 0x8
                                        ; implicit-def: $vgpr18_vgpr19
	s_mov_b32 s0, exec_lo
	s_wait_kmcnt 0x0
	v_or_b32_e32 v3, s57, v17
	s_delay_alu instid0(VALU_DEP_1)
	v_cmpx_ne_u64_e32 0, v[2:3]
	s_wait_alu 0xfffe
	s_xor_b32 s1, exec_lo, s0
	s_cbranch_execz .LBB50_36
; %bb.35:                               ;   in Loop: Header=BB50_22 Depth=2
	s_ashr_i32 s58, s57, 31
	v_ashrrev_i32_e32 v3, 31, v17
	s_wait_alu 0xfffe
	s_mov_b32 s59, s58
	s_wait_alu 0xfffe
	s_add_nc_u64 s[60:61], s[56:57], s[58:59]
	v_add_co_u32 v18, vcc_lo, v16, v3
	s_wait_alu 0xfffe
	s_xor_b64 s[60:61], s[60:61], s[58:59]
	s_wait_alu 0xfffd
	v_add_co_ci_u32_e64 v19, null, v17, v3, vcc_lo
	s_wait_alu 0xfffe
	s_cvt_f32_u32 s0, s60
	s_cvt_f32_u32 s14, s61
	s_sub_nc_u64 s[68:69], 0, s[60:61]
	v_xor_b32_e32 v28, v18, v3
	v_xor_b32_e32 v29, v19, v3
	s_wait_alu 0xfffe
	s_fmamk_f32 s0, s14, 0x4f800000, s0
	v_xor_b32_e32 v3, s58, v3
	s_wait_alu 0xfffe
	s_delay_alu instid0(SALU_CYCLE_1) | instskip(NEXT) | instid1(TRANS32_DEP_1)
	v_s_rcp_f32 s0, s0
	s_mul_f32 s0, s0, 0x5f7ffffc
	s_wait_alu 0xfffe
	s_delay_alu instid0(SALU_CYCLE_2) | instskip(SKIP_1) | instid1(SALU_CYCLE_2)
	s_mul_f32 s14, s0, 0x2f800000
	s_wait_alu 0xfffe
	s_trunc_f32 s14, s14
	s_wait_alu 0xfffe
	s_delay_alu instid0(SALU_CYCLE_2) | instskip(SKIP_2) | instid1(SALU_CYCLE_1)
	s_fmamk_f32 s0, s14, 0xcf800000, s0
	s_cvt_u32_f32 s67, s14
	s_wait_alu 0xfffe
	s_cvt_u32_f32 s66, s0
	s_delay_alu instid0(SALU_CYCLE_3) | instskip(NEXT) | instid1(SALU_CYCLE_1)
	s_mul_u64 s[70:71], s[68:69], s[66:67]
	s_mul_hi_u32 s73, s66, s71
	s_mul_i32 s72, s66, s71
	s_mul_hi_u32 s14, s66, s70
	s_mul_i32 s59, s67, s70
	s_wait_alu 0xfffe
	s_add_nc_u64 s[72:73], s[14:15], s[72:73]
	s_mul_hi_u32 s0, s67, s70
	s_mul_hi_u32 s74, s67, s71
	s_add_co_u32 s14, s72, s59
	s_wait_alu 0xfffe
	s_add_co_ci_u32 s14, s73, s0
	s_mul_i32 s70, s67, s71
	s_add_co_ci_u32 s71, s74, 0
	s_wait_alu 0xfffe
	s_add_nc_u64 s[70:71], s[14:15], s[70:71]
	s_delay_alu instid0(SALU_CYCLE_1) | instskip(SKIP_4) | instid1(SALU_CYCLE_1)
	s_add_co_u32 s66, s66, s70
	s_cselect_b32 s0, -1, 0
	s_wait_alu 0xfffe
	s_cmp_lg_u32 s0, 0
	s_add_co_ci_u32 s67, s67, s71
	s_mul_u64 s[68:69], s[68:69], s[66:67]
	s_delay_alu instid0(SALU_CYCLE_1)
	s_mul_hi_u32 s71, s66, s69
	s_mul_i32 s70, s66, s69
	s_mul_hi_u32 s14, s66, s68
	s_mul_i32 s59, s67, s68
	s_wait_alu 0xfffe
	s_add_nc_u64 s[70:71], s[14:15], s[70:71]
	s_mul_hi_u32 s0, s67, s68
	s_mul_hi_u32 s72, s67, s69
	s_add_co_u32 s14, s70, s59
	s_wait_alu 0xfffe
	s_add_co_ci_u32 s14, s71, s0
	s_mul_i32 s68, s67, s69
	s_add_co_ci_u32 s69, s72, 0
	s_wait_alu 0xfffe
	s_add_nc_u64 s[68:69], s[14:15], s[68:69]
	s_delay_alu instid0(SALU_CYCLE_1)
	s_add_co_u32 s0, s66, s68
	s_cselect_b32 s14, -1, 0
	s_wait_alu 0xfffe
	v_mul_hi_u32 v30, v28, s0
	s_cmp_lg_u32 s14, 0
	v_mad_co_u64_u32 v[24:25], null, v29, s0, 0
	s_add_co_ci_u32 s14, s67, s69
	s_wait_alu 0xfffe
	v_mad_co_u64_u32 v[18:19], null, v28, s14, 0
	v_mad_co_u64_u32 v[26:27], null, v29, s14, 0
	s_delay_alu instid0(VALU_DEP_2) | instskip(SKIP_1) | instid1(VALU_DEP_3)
	v_add_co_u32 v18, vcc_lo, v30, v18
	s_wait_alu 0xfffd
	v_add_co_ci_u32_e64 v19, null, 0, v19, vcc_lo
	s_delay_alu instid0(VALU_DEP_2) | instskip(SKIP_1) | instid1(VALU_DEP_2)
	v_add_co_u32 v18, vcc_lo, v18, v24
	s_wait_alu 0xfffd
	v_add_co_ci_u32_e32 v18, vcc_lo, v19, v25, vcc_lo
	s_wait_alu 0xfffd
	v_add_co_ci_u32_e32 v19, vcc_lo, 0, v27, vcc_lo
	s_delay_alu instid0(VALU_DEP_2) | instskip(SKIP_1) | instid1(VALU_DEP_2)
	v_add_co_u32 v24, vcc_lo, v18, v26
	s_wait_alu 0xfffd
	v_add_co_ci_u32_e64 v25, null, 0, v19, vcc_lo
	s_delay_alu instid0(VALU_DEP_2) | instskip(SKIP_1) | instid1(VALU_DEP_3)
	v_mul_lo_u32 v26, s61, v24
	v_mad_co_u64_u32 v[18:19], null, s60, v24, 0
	v_mul_lo_u32 v27, s60, v25
	s_delay_alu instid0(VALU_DEP_2) | instskip(NEXT) | instid1(VALU_DEP_2)
	v_sub_co_u32 v18, vcc_lo, v28, v18
	v_add3_u32 v19, v19, v27, v26
	v_add_co_u32 v27, s0, v24, 2
	s_wait_alu 0xf1ff
	v_add_co_ci_u32_e64 v28, null, 0, v25, s0
	s_delay_alu instid0(VALU_DEP_3) | instskip(SKIP_3) | instid1(VALU_DEP_3)
	v_sub_nc_u32_e32 v26, v29, v19
	v_sub_co_u32 v30, s0, v18, s60
	s_wait_alu 0xfffd
	v_sub_co_ci_u32_e64 v19, null, v29, v19, vcc_lo
	v_subrev_co_ci_u32_e64 v26, null, s61, v26, vcc_lo
	s_delay_alu instid0(VALU_DEP_3) | instskip(SKIP_1) | instid1(VALU_DEP_2)
	v_cmp_le_u32_e32 vcc_lo, s60, v30
	s_wait_alu 0xf1ff
	v_subrev_co_ci_u32_e64 v26, null, 0, v26, s0
	s_wait_alu 0xfffd
	v_cndmask_b32_e64 v29, 0, -1, vcc_lo
	s_delay_alu instid0(VALU_DEP_2)
	v_cmp_le_u32_e32 vcc_lo, s61, v26
	s_wait_alu 0xfffd
	v_cndmask_b32_e64 v30, 0, -1, vcc_lo
	v_cmp_le_u32_e32 vcc_lo, s60, v18
	s_wait_alu 0xfffd
	v_cndmask_b32_e64 v18, 0, -1, vcc_lo
	;; [unrolled: 3-line block ×3, first 2 shown]
	v_cmp_eq_u32_e32 vcc_lo, s61, v26
	s_wait_alu 0xfffd
	v_cndmask_b32_e32 v26, v30, v29, vcc_lo
	v_add_co_u32 v29, vcc_lo, v24, 1
	s_wait_alu 0xfffd
	v_add_co_ci_u32_e64 v30, null, 0, v25, vcc_lo
	v_cmp_eq_u32_e32 vcc_lo, s61, v19
	s_wait_alu 0xfffd
	v_cndmask_b32_e32 v18, v31, v18, vcc_lo
	v_cmp_ne_u32_e32 vcc_lo, 0, v26
	s_wait_alu 0xfffd
	v_cndmask_b32_e32 v19, v30, v28, vcc_lo
	s_delay_alu instid0(VALU_DEP_3) | instskip(SKIP_2) | instid1(VALU_DEP_2)
	v_cmp_ne_u32_e64 s0, 0, v18
	v_cndmask_b32_e32 v18, v29, v27, vcc_lo
	s_wait_alu 0xf1ff
	v_cndmask_b32_e64 v19, v25, v19, s0
	s_delay_alu instid0(VALU_DEP_2) | instskip(NEXT) | instid1(VALU_DEP_2)
	v_cndmask_b32_e64 v18, v24, v18, s0
	v_xor_b32_e32 v19, v19, v3
	s_delay_alu instid0(VALU_DEP_2) | instskip(NEXT) | instid1(VALU_DEP_1)
	v_xor_b32_e32 v18, v18, v3
	v_sub_co_u32 v18, vcc_lo, v18, v3
	s_wait_alu 0xfffd
	s_delay_alu instid0(VALU_DEP_3)
	v_sub_co_ci_u32_e64 v19, null, v19, v3, vcc_lo
.LBB50_36:                              ;   in Loop: Header=BB50_22 Depth=2
	s_wait_alu 0xfffe
	s_and_not1_saveexec_b32 s0, s1
	s_cbranch_execz .LBB50_21
; %bb.37:                               ;   in Loop: Header=BB50_22 Depth=2
	v_cvt_f32_u32_e32 v3, s56
	s_sub_co_i32 s1, 0, s56
	s_delay_alu instid0(VALU_DEP_1) | instskip(NEXT) | instid1(TRANS32_DEP_1)
	v_rcp_iflag_f32_e32 v3, v3
	v_mul_f32_e32 v3, 0x4f7ffffe, v3
	s_delay_alu instid0(VALU_DEP_1) | instskip(SKIP_1) | instid1(VALU_DEP_1)
	v_cvt_u32_f32_e32 v3, v3
	s_wait_alu 0xfffe
	v_mul_lo_u32 v18, s1, v3
	s_delay_alu instid0(VALU_DEP_1) | instskip(NEXT) | instid1(VALU_DEP_1)
	v_mul_hi_u32 v18, v3, v18
	v_add_nc_u32_e32 v3, v3, v18
	s_delay_alu instid0(VALU_DEP_1) | instskip(NEXT) | instid1(VALU_DEP_1)
	v_mul_hi_u32 v3, v16, v3
	v_mul_lo_u32 v18, v3, s56
	v_add_nc_u32_e32 v19, 1, v3
	s_delay_alu instid0(VALU_DEP_2) | instskip(NEXT) | instid1(VALU_DEP_1)
	v_sub_nc_u32_e32 v18, v16, v18
	v_subrev_nc_u32_e32 v24, s56, v18
	v_cmp_le_u32_e32 vcc_lo, s56, v18
	s_wait_alu 0xfffd
	s_delay_alu instid0(VALU_DEP_2) | instskip(NEXT) | instid1(VALU_DEP_1)
	v_dual_cndmask_b32 v18, v18, v24 :: v_dual_cndmask_b32 v3, v3, v19
	v_cmp_le_u32_e32 vcc_lo, s56, v18
	s_delay_alu instid0(VALU_DEP_2) | instskip(SKIP_1) | instid1(VALU_DEP_1)
	v_add_nc_u32_e32 v19, 1, v3
	s_wait_alu 0xfffd
	v_dual_cndmask_b32 v18, v3, v19 :: v_dual_mov_b32 v19, v2
	s_branch .LBB50_21
.LBB50_38:                              ;   in Loop: Header=BB50_3 Depth=1
	s_load_b64 s[38:39], s[24:25], 0x0
	s_wait_kmcnt 0x0
	v_cmp_gt_i64_e32 vcc_lo, s[38:39], v[4:5]
	s_and_b32 exec_lo, exec_lo, vcc_lo
	s_cbranch_execz .LBB50_2
; %bb.39:                               ;   in Loop: Header=BB50_3 Depth=1
	v_cmp_lt_i64_e32 vcc_lo, s[4:5], v[6:7]
	v_add_co_u32 v6, s0, s10, v8
	s_wait_alu 0xf1ff
	v_add_co_ci_u32_e64 v7, null, s11, v9, s0
	s_and_saveexec_b32 s0, vcc_lo
	s_cbranch_execz .LBB50_41
; %bb.40:                               ;   in Loop: Header=BB50_3 Depth=1
	global_store_b8 v[6:7], v2, off
.LBB50_41:                              ;   in Loop: Header=BB50_3 Depth=1
	s_wait_alu 0xfffe
	s_or_b32 exec_lo, exec_lo, s0
	v_add_co_u32 v8, vcc_lo, v4, 1
	s_wait_alu 0xfffd
	v_add_co_ci_u32_e64 v9, null, 0, v5, vcc_lo
	s_delay_alu instid0(VALU_DEP_1)
	v_cmp_gt_i64_e32 vcc_lo, s[38:39], v[8:9]
	s_and_b32 exec_lo, exec_lo, vcc_lo
	s_cbranch_execz .LBB50_2
; %bb.42:                               ;   in Loop: Header=BB50_3 Depth=1
	v_sub_co_u32 v8, vcc_lo, v8, v22
	s_wait_alu 0xfffd
	v_sub_co_ci_u32_e64 v9, null, v9, v23, vcc_lo
	s_mov_b32 s0, exec_lo
	v_cmpx_lt_i64_e64 s[4:5], v[8:9]
	s_cbranch_execz .LBB50_44
; %bb.43:                               ;   in Loop: Header=BB50_3 Depth=1
	v_add_co_u32 v8, vcc_lo, v6, s2
	s_wait_alu 0xfffd
	v_add_co_ci_u32_e64 v9, null, s3, v7, vcc_lo
	global_store_b8 v[8:9], v2, off
.LBB50_44:                              ;   in Loop: Header=BB50_3 Depth=1
	s_wait_alu 0xfffe
	s_or_b32 exec_lo, exec_lo, s0
	v_add_co_u32 v8, vcc_lo, v4, 2
	s_wait_alu 0xfffd
	v_add_co_ci_u32_e64 v9, null, 0, v5, vcc_lo
	s_delay_alu instid0(VALU_DEP_1)
	v_cmp_gt_i64_e32 vcc_lo, s[38:39], v[8:9]
	s_and_b32 exec_lo, exec_lo, vcc_lo
	s_cbranch_execz .LBB50_2
; %bb.45:                               ;   in Loop: Header=BB50_3 Depth=1
	v_sub_co_u32 v8, vcc_lo, v8, v22
	s_wait_alu 0xfffd
	v_sub_co_ci_u32_e64 v9, null, v9, v23, vcc_lo
	s_mov_b32 s0, exec_lo
	v_cmpx_lt_i64_e64 s[4:5], v[8:9]
	s_cbranch_execz .LBB50_47
; %bb.46:                               ;   in Loop: Header=BB50_3 Depth=1
	s_lshl_b64 s[40:41], s[2:3], 1
	s_wait_alu 0xfffe
	v_add_co_u32 v8, vcc_lo, v6, s40
	s_wait_alu 0xfffd
	v_add_co_ci_u32_e64 v9, null, s41, v7, vcc_lo
	global_store_b8 v[8:9], v2, off
.LBB50_47:                              ;   in Loop: Header=BB50_3 Depth=1
	s_wait_alu 0xfffe
	s_or_b32 exec_lo, exec_lo, s0
	v_add_co_u32 v3, vcc_lo, v4, 3
	s_wait_alu 0xfffd
	v_add_co_ci_u32_e64 v4, null, 0, v5, vcc_lo
	s_delay_alu instid0(VALU_DEP_2) | instskip(SKIP_1) | instid1(VALU_DEP_2)
	v_sub_co_u32 v8, vcc_lo, v3, v22
	s_wait_alu 0xfffd
	v_sub_co_ci_u32_e64 v9, null, v4, v23, vcc_lo
	v_cmp_gt_i64_e32 vcc_lo, s[38:39], v[3:4]
	s_delay_alu instid0(VALU_DEP_2)
	v_cmp_lt_i64_e64 s0, s[4:5], v[8:9]
	s_and_b32 s0, vcc_lo, s0
	s_wait_alu 0xfffe
	s_and_b32 exec_lo, exec_lo, s0
	s_cbranch_execz .LBB50_2
; %bb.48:                               ;   in Loop: Header=BB50_3 Depth=1
	v_mad_co_u64_u32 v[3:4], null, s2, 3, v[6:7]
	s_delay_alu instid0(VALU_DEP_1)
	v_mad_co_u64_u32 v[4:5], null, s3, 3, v[4:5]
	global_store_b8 v[3:4], v2, off
	s_branch .LBB50_2
.LBB50_49:
	s_endpgm
	.section	.rodata,"a",@progbits
	.p2align	6, 0x0
	.amdhsa_kernel _ZN2at6native16triu_tril_kernelIblLb0ELi4ELb1EEEvNS_4cuda6detail10TensorInfoIT_T0_EENS4_IKS5_S6_EEllS6_
		.amdhsa_group_segment_fixed_size 0
		.amdhsa_private_segment_fixed_size 0
		.amdhsa_kernarg_size 1112
		.amdhsa_user_sgpr_count 2
		.amdhsa_user_sgpr_dispatch_ptr 0
		.amdhsa_user_sgpr_queue_ptr 0
		.amdhsa_user_sgpr_kernarg_segment_ptr 1
		.amdhsa_user_sgpr_dispatch_id 0
		.amdhsa_user_sgpr_private_segment_size 0
		.amdhsa_wavefront_size32 1
		.amdhsa_uses_dynamic_stack 0
		.amdhsa_enable_private_segment 0
		.amdhsa_system_sgpr_workgroup_id_x 1
		.amdhsa_system_sgpr_workgroup_id_y 0
		.amdhsa_system_sgpr_workgroup_id_z 0
		.amdhsa_system_sgpr_workgroup_info 0
		.amdhsa_system_vgpr_workitem_id 0
		.amdhsa_next_free_vgpr 32
		.amdhsa_next_free_sgpr 75
		.amdhsa_reserve_vcc 1
		.amdhsa_float_round_mode_32 0
		.amdhsa_float_round_mode_16_64 0
		.amdhsa_float_denorm_mode_32 3
		.amdhsa_float_denorm_mode_16_64 3
		.amdhsa_fp16_overflow 0
		.amdhsa_workgroup_processor_mode 1
		.amdhsa_memory_ordered 1
		.amdhsa_forward_progress 1
		.amdhsa_inst_pref_size 68
		.amdhsa_round_robin_scheduling 0
		.amdhsa_exception_fp_ieee_invalid_op 0
		.amdhsa_exception_fp_denorm_src 0
		.amdhsa_exception_fp_ieee_div_zero 0
		.amdhsa_exception_fp_ieee_overflow 0
		.amdhsa_exception_fp_ieee_underflow 0
		.amdhsa_exception_fp_ieee_inexact 0
		.amdhsa_exception_int_div_zero 0
	.end_amdhsa_kernel
	.section	.text._ZN2at6native16triu_tril_kernelIblLb0ELi4ELb1EEEvNS_4cuda6detail10TensorInfoIT_T0_EENS4_IKS5_S6_EEllS6_,"axG",@progbits,_ZN2at6native16triu_tril_kernelIblLb0ELi4ELb1EEEvNS_4cuda6detail10TensorInfoIT_T0_EENS4_IKS5_S6_EEllS6_,comdat
.Lfunc_end50:
	.size	_ZN2at6native16triu_tril_kernelIblLb0ELi4ELb1EEEvNS_4cuda6detail10TensorInfoIT_T0_EENS4_IKS5_S6_EEllS6_, .Lfunc_end50-_ZN2at6native16triu_tril_kernelIblLb0ELi4ELb1EEEvNS_4cuda6detail10TensorInfoIT_T0_EENS4_IKS5_S6_EEllS6_
                                        ; -- End function
	.set _ZN2at6native16triu_tril_kernelIblLb0ELi4ELb1EEEvNS_4cuda6detail10TensorInfoIT_T0_EENS4_IKS5_S6_EEllS6_.num_vgpr, 32
	.set _ZN2at6native16triu_tril_kernelIblLb0ELi4ELb1EEEvNS_4cuda6detail10TensorInfoIT_T0_EENS4_IKS5_S6_EEllS6_.num_agpr, 0
	.set _ZN2at6native16triu_tril_kernelIblLb0ELi4ELb1EEEvNS_4cuda6detail10TensorInfoIT_T0_EENS4_IKS5_S6_EEllS6_.numbered_sgpr, 75
	.set _ZN2at6native16triu_tril_kernelIblLb0ELi4ELb1EEEvNS_4cuda6detail10TensorInfoIT_T0_EENS4_IKS5_S6_EEllS6_.num_named_barrier, 0
	.set _ZN2at6native16triu_tril_kernelIblLb0ELi4ELb1EEEvNS_4cuda6detail10TensorInfoIT_T0_EENS4_IKS5_S6_EEllS6_.private_seg_size, 0
	.set _ZN2at6native16triu_tril_kernelIblLb0ELi4ELb1EEEvNS_4cuda6detail10TensorInfoIT_T0_EENS4_IKS5_S6_EEllS6_.uses_vcc, 1
	.set _ZN2at6native16triu_tril_kernelIblLb0ELi4ELb1EEEvNS_4cuda6detail10TensorInfoIT_T0_EENS4_IKS5_S6_EEllS6_.uses_flat_scratch, 0
	.set _ZN2at6native16triu_tril_kernelIblLb0ELi4ELb1EEEvNS_4cuda6detail10TensorInfoIT_T0_EENS4_IKS5_S6_EEllS6_.has_dyn_sized_stack, 0
	.set _ZN2at6native16triu_tril_kernelIblLb0ELi4ELb1EEEvNS_4cuda6detail10TensorInfoIT_T0_EENS4_IKS5_S6_EEllS6_.has_recursion, 0
	.set _ZN2at6native16triu_tril_kernelIblLb0ELi4ELb1EEEvNS_4cuda6detail10TensorInfoIT_T0_EENS4_IKS5_S6_EEllS6_.has_indirect_call, 0
	.section	.AMDGPU.csdata,"",@progbits
; Kernel info:
; codeLenInByte = 8588
; TotalNumSgprs: 77
; NumVgprs: 32
; ScratchSize: 0
; MemoryBound: 0
; FloatMode: 240
; IeeeMode: 1
; LDSByteSize: 0 bytes/workgroup (compile time only)
; SGPRBlocks: 0
; VGPRBlocks: 3
; NumSGPRsForWavesPerEU: 77
; NumVGPRsForWavesPerEU: 32
; Occupancy: 16
; WaveLimiterHint : 0
; COMPUTE_PGM_RSRC2:SCRATCH_EN: 0
; COMPUTE_PGM_RSRC2:USER_SGPR: 2
; COMPUTE_PGM_RSRC2:TRAP_HANDLER: 0
; COMPUTE_PGM_RSRC2:TGID_X_EN: 1
; COMPUTE_PGM_RSRC2:TGID_Y_EN: 0
; COMPUTE_PGM_RSRC2:TGID_Z_EN: 0
; COMPUTE_PGM_RSRC2:TIDIG_COMP_CNT: 0
	.section	.text._ZN2at6native16triu_tril_kernelIblLb0ELi4ELb0EEEvNS_4cuda6detail10TensorInfoIT_T0_EENS4_IKS5_S6_EEllS6_,"axG",@progbits,_ZN2at6native16triu_tril_kernelIblLb0ELi4ELb0EEEvNS_4cuda6detail10TensorInfoIT_T0_EENS4_IKS5_S6_EEllS6_,comdat
	.protected	_ZN2at6native16triu_tril_kernelIblLb0ELi4ELb0EEEvNS_4cuda6detail10TensorInfoIT_T0_EENS4_IKS5_S6_EEllS6_ ; -- Begin function _ZN2at6native16triu_tril_kernelIblLb0ELi4ELb0EEEvNS_4cuda6detail10TensorInfoIT_T0_EENS4_IKS5_S6_EEllS6_
	.globl	_ZN2at6native16triu_tril_kernelIblLb0ELi4ELb0EEEvNS_4cuda6detail10TensorInfoIT_T0_EENS4_IKS5_S6_EEllS6_
	.p2align	8
	.type	_ZN2at6native16triu_tril_kernelIblLb0ELi4ELb0EEEvNS_4cuda6detail10TensorInfoIT_T0_EENS4_IKS5_S6_EEllS6_,@function
_ZN2at6native16triu_tril_kernelIblLb0ELi4ELb0EEEvNS_4cuda6detail10TensorInfoIT_T0_EENS4_IKS5_S6_EEllS6_: ; @_ZN2at6native16triu_tril_kernelIblLb0ELi4ELb0EEEvNS_4cuda6detail10TensorInfoIT_T0_EENS4_IKS5_S6_EEllS6_
; %bb.0:
	s_clause 0x1
	s_load_b32 s2, s[0:1], 0x364
	s_load_b128 s[8:11], s[0:1], 0x340
	v_mov_b32_e32 v2, 0
	s_mov_b32 s3, exec_lo
	s_delay_alu instid0(VALU_DEP_1)
	v_mov_b32_e32 v1, v2
	s_wait_kmcnt 0x0
	s_and_b32 s2, s2, 0xffff
	s_delay_alu instid0(VALU_DEP_1) | instid1(SALU_CYCLE_1)
	v_mad_co_u64_u32 v[0:1], null, s2, ttmp9, v[0:1]
	s_delay_alu instid0(VALU_DEP_1) | instskip(NEXT) | instid1(VALU_DEP_1)
	v_lshlrev_b64_e32 v[0:1], 2, v[0:1]
	v_cmpx_gt_i64_e64 s[10:11], v[0:1]
	s_cbranch_execz .LBB51_44
; %bb.1:
	s_clause 0x1
	s_load_b32 s40, s[0:1], 0x338
	s_load_b64 s[6:7], s[0:1], 0x1a0
	s_add_nc_u64 s[24:25], s[0:1], 0x1a0
	s_add_nc_u64 s[18:19], s[0:1], 0x358
	s_load_b64 s[26:27], s[0:1], 0x350
	s_mov_b32 s63, 0
	s_wait_kmcnt 0x0
	s_ashr_i32 s41, s40, 31
	s_add_co_i32 s30, s40, -3
	s_lshl_b64 s[20:21], s[40:41], 3
	s_ashr_i32 s31, s30, 31
	s_add_nc_u64 s[16:17], s[24:25], s[20:21]
	v_cmp_gt_i64_e64 s62, s[40:41], 2
	s_add_nc_u64 s[4:5], s[16:17], -8
	s_add_nc_u64 s[34:35], s[30:31], -1
	s_load_b128 s[12:15], s[4:5], 0x0
	s_load_b32 s3, s[18:19], 0x0
	s_clause 0x1
	s_load_b64 s[28:29], s[0:1], 0x0
	s_load_b128 s[16:19], s[16:17], 0xc0
	s_mov_b32 s5, 0
	s_add_nc_u64 s[40:41], s[0:1], 0xc8
	s_wait_kmcnt 0x0
	v_cvt_f32_u32_e32 v4, s12
	s_mul_i32 s4, s3, s2
	s_add_nc_u64 s[2:3], s[0:1], s[20:21]
	s_lshl_b32 s33, s4, 2
	s_load_b128 s[20:23], s[2:3], 0xc0
	v_cvt_f32_u32_e32 v3, s26
	v_rcp_iflag_f32_e32 v4, v4
	s_bitcmp0_b32 s30, 0
	s_cselect_b32 s60, -1, 0
	s_delay_alu instid0(VALU_DEP_1)
	v_rcp_iflag_f32_e32 v3, v3
	s_lshl_b64 s[2:3], s[30:31], 3
	s_cmp_lg_u32 s30, 0
	s_wait_alu 0xfffe
	s_add_nc_u64 s[36:37], s[24:25], s[2:3]
	s_add_nc_u64 s[38:39], s[0:1], s[2:3]
	s_cselect_b32 s61, -1, 0
	s_ashr_i32 s42, s27, 31
	s_delay_alu instid0(TRANS32_DEP_1) | instskip(NEXT) | instid1(VALU_DEP_1)
	v_dual_mul_f32 v4, 0x4f7ffffe, v4 :: v_dual_mul_f32 v3, 0x4f7ffffe, v3
	v_cvt_u32_f32_e32 v17, v4
	s_delay_alu instid0(VALU_DEP_2)
	v_cvt_u32_f32_e32 v16, v3
	s_branch .LBB51_3
.LBB51_2:                               ;   in Loop: Header=BB51_3 Depth=1
	s_wait_alu 0xfffe
	s_or_b32 exec_lo, exec_lo, s0
	v_add_co_u32 v0, vcc_lo, v0, s33
	s_wait_alu 0xfffd
	v_add_co_ci_u32_e64 v1, null, 0, v1, vcc_lo
	s_delay_alu instid0(VALU_DEP_1) | instskip(SKIP_1) | instid1(SALU_CYCLE_1)
	v_cmp_le_i64_e32 vcc_lo, s[10:11], v[0:1]
	s_or_b32 s63, vcc_lo, s63
	s_and_not1_b32 exec_lo, exec_lo, s63
	s_cbranch_execz .LBB51_44
.LBB51_3:                               ; =>This Loop Header: Depth=1
                                        ;     Child Loop BB51_21 Depth 2
	v_or_b32_e32 v3, s27, v1
                                        ; implicit-def: $vgpr6_vgpr7
	s_mov_b32 s0, exec_lo
	s_delay_alu instid0(VALU_DEP_1)
	v_cmpx_ne_u64_e32 0, v[2:3]
	s_wait_alu 0xfffe
	s_xor_b32 s1, exec_lo, s0
	s_cbranch_execz .LBB51_5
; %bb.4:                                ;   in Loop: Header=BB51_3 Depth=1
	s_mov_b32 s43, s42
	v_ashrrev_i32_e32 v9, 31, v1
	s_wait_alu 0xfffe
	s_add_nc_u64 s[2:3], s[26:27], s[42:43]
	s_wait_alu 0xfffe
	s_xor_b64 s[2:3], s[2:3], s[42:43]
	v_add_co_u32 v3, vcc_lo, v0, v9
	s_wait_alu 0xfffe
	s_cvt_f32_u32 s0, s2
	s_cvt_f32_u32 s4, s3
	s_sub_nc_u64 s[46:47], 0, s[2:3]
	s_wait_alu 0xfffd
	v_add_co_ci_u32_e64 v4, null, v1, v9, vcc_lo
	s_wait_alu 0xfffe
	s_fmamk_f32 s0, s4, 0x4f800000, s0
	v_xor_b32_e32 v10, v3, v9
	s_delay_alu instid0(VALU_DEP_2) | instskip(SKIP_2) | instid1(TRANS32_DEP_1)
	v_xor_b32_e32 v11, v4, v9
	s_wait_alu 0xfffe
	v_s_rcp_f32 s0, s0
	s_mul_f32 s0, s0, 0x5f7ffffc
	s_wait_alu 0xfffe
	s_delay_alu instid0(SALU_CYCLE_2) | instskip(SKIP_1) | instid1(SALU_CYCLE_2)
	s_mul_f32 s4, s0, 0x2f800000
	s_wait_alu 0xfffe
	s_trunc_f32 s4, s4
	s_wait_alu 0xfffe
	s_delay_alu instid0(SALU_CYCLE_2) | instskip(SKIP_2) | instid1(SALU_CYCLE_1)
	s_fmamk_f32 s0, s4, 0xcf800000, s0
	s_cvt_u32_f32 s45, s4
	s_wait_alu 0xfffe
	s_cvt_u32_f32 s44, s0
	s_wait_alu 0xfffe
	s_delay_alu instid0(SALU_CYCLE_2)
	s_mul_u64 s[48:49], s[46:47], s[44:45]
	s_wait_alu 0xfffe
	s_mul_hi_u32 s51, s44, s49
	s_mul_i32 s50, s44, s49
	s_mul_hi_u32 s4, s44, s48
	s_mul_i32 s43, s45, s48
	s_wait_alu 0xfffe
	s_add_nc_u64 s[50:51], s[4:5], s[50:51]
	s_mul_hi_u32 s0, s45, s48
	s_mul_hi_u32 s52, s45, s49
	s_wait_alu 0xfffe
	s_add_co_u32 s4, s50, s43
	s_add_co_ci_u32 s4, s51, s0
	s_mul_i32 s48, s45, s49
	s_add_co_ci_u32 s49, s52, 0
	s_wait_alu 0xfffe
	s_add_nc_u64 s[48:49], s[4:5], s[48:49]
	s_wait_alu 0xfffe
	s_add_co_u32 s44, s44, s48
	s_cselect_b32 s0, -1, 0
	s_wait_alu 0xfffe
	s_cmp_lg_u32 s0, 0
	s_add_co_ci_u32 s45, s45, s49
	s_wait_alu 0xfffe
	s_mul_u64 s[46:47], s[46:47], s[44:45]
	s_wait_alu 0xfffe
	s_mul_hi_u32 s49, s44, s47
	s_mul_i32 s48, s44, s47
	s_mul_hi_u32 s4, s44, s46
	s_mul_i32 s43, s45, s46
	s_wait_alu 0xfffe
	s_add_nc_u64 s[48:49], s[4:5], s[48:49]
	s_mul_hi_u32 s0, s45, s46
	s_mul_hi_u32 s50, s45, s47
	s_wait_alu 0xfffe
	s_add_co_u32 s4, s48, s43
	s_add_co_ci_u32 s4, s49, s0
	s_mul_i32 s46, s45, s47
	s_add_co_ci_u32 s47, s50, 0
	s_wait_alu 0xfffe
	s_add_nc_u64 s[46:47], s[4:5], s[46:47]
	s_wait_alu 0xfffe
	s_add_co_u32 s0, s44, s46
	s_cselect_b32 s4, -1, 0
	s_wait_alu 0xfffe
	v_mul_hi_u32 v12, v10, s0
	s_cmp_lg_u32 s4, 0
	v_mad_co_u64_u32 v[5:6], null, v11, s0, 0
	s_add_co_ci_u32 s4, s45, s47
	s_wait_alu 0xfffe
	v_mad_co_u64_u32 v[3:4], null, v10, s4, 0
	v_mad_co_u64_u32 v[7:8], null, v11, s4, 0
	s_delay_alu instid0(VALU_DEP_2) | instskip(SKIP_1) | instid1(VALU_DEP_3)
	v_add_co_u32 v3, vcc_lo, v12, v3
	s_wait_alu 0xfffd
	v_add_co_ci_u32_e64 v4, null, 0, v4, vcc_lo
	s_delay_alu instid0(VALU_DEP_2) | instskip(SKIP_1) | instid1(VALU_DEP_2)
	v_add_co_u32 v3, vcc_lo, v3, v5
	s_wait_alu 0xfffd
	v_add_co_ci_u32_e32 v3, vcc_lo, v4, v6, vcc_lo
	s_wait_alu 0xfffd
	v_add_co_ci_u32_e32 v4, vcc_lo, 0, v8, vcc_lo
	s_delay_alu instid0(VALU_DEP_2) | instskip(SKIP_1) | instid1(VALU_DEP_2)
	v_add_co_u32 v5, vcc_lo, v3, v7
	s_wait_alu 0xfffd
	v_add_co_ci_u32_e64 v6, null, 0, v4, vcc_lo
	s_delay_alu instid0(VALU_DEP_2) | instskip(SKIP_1) | instid1(VALU_DEP_3)
	v_mul_lo_u32 v7, s3, v5
	v_mad_co_u64_u32 v[3:4], null, s2, v5, 0
	v_mul_lo_u32 v8, s2, v6
	s_delay_alu instid0(VALU_DEP_2) | instskip(NEXT) | instid1(VALU_DEP_2)
	v_sub_co_u32 v3, vcc_lo, v10, v3
	v_add3_u32 v4, v4, v8, v7
	v_add_co_u32 v8, s0, v5, 2
	s_wait_alu 0xf1ff
	v_add_co_ci_u32_e64 v10, null, 0, v6, s0
	s_delay_alu instid0(VALU_DEP_3) | instskip(SKIP_3) | instid1(VALU_DEP_3)
	v_sub_nc_u32_e32 v7, v11, v4
	v_sub_co_u32 v12, s0, v3, s2
	s_wait_alu 0xfffd
	v_sub_co_ci_u32_e64 v4, null, v11, v4, vcc_lo
	v_subrev_co_ci_u32_e64 v7, null, s3, v7, vcc_lo
	s_delay_alu instid0(VALU_DEP_3) | instskip(SKIP_1) | instid1(VALU_DEP_2)
	v_cmp_le_u32_e32 vcc_lo, s2, v12
	s_wait_alu 0xf1ff
	v_subrev_co_ci_u32_e64 v7, null, 0, v7, s0
	s_wait_alu 0xfffd
	v_cndmask_b32_e64 v11, 0, -1, vcc_lo
	s_delay_alu instid0(VALU_DEP_2)
	v_cmp_le_u32_e32 vcc_lo, s3, v7
	s_wait_alu 0xfffd
	v_cndmask_b32_e64 v12, 0, -1, vcc_lo
	v_cmp_le_u32_e32 vcc_lo, s2, v3
	s_wait_alu 0xfffd
	v_cndmask_b32_e64 v3, 0, -1, vcc_lo
	;; [unrolled: 3-line block ×3, first 2 shown]
	v_cmp_eq_u32_e32 vcc_lo, s3, v7
	s_wait_alu 0xfffd
	v_cndmask_b32_e32 v7, v12, v11, vcc_lo
	v_add_co_u32 v11, vcc_lo, v5, 1
	s_wait_alu 0xfffd
	v_add_co_ci_u32_e64 v12, null, 0, v6, vcc_lo
	v_cmp_eq_u32_e32 vcc_lo, s3, v4
	s_wait_alu 0xfffd
	v_cndmask_b32_e32 v3, v13, v3, vcc_lo
	v_cmp_ne_u32_e32 vcc_lo, 0, v7
	v_xor_b32_e32 v7, s42, v9
	s_wait_alu 0xfffd
	v_cndmask_b32_e32 v4, v12, v10, vcc_lo
	v_cmp_ne_u32_e64 s0, 0, v3
	v_cndmask_b32_e32 v3, v11, v8, vcc_lo
	s_wait_alu 0xf1ff
	s_delay_alu instid0(VALU_DEP_2) | instskip(NEXT) | instid1(VALU_DEP_2)
	v_cndmask_b32_e64 v4, v6, v4, s0
	v_cndmask_b32_e64 v3, v5, v3, s0
	s_delay_alu instid0(VALU_DEP_2) | instskip(NEXT) | instid1(VALU_DEP_2)
	v_xor_b32_e32 v4, v4, v7
	v_xor_b32_e32 v3, v3, v7
	s_delay_alu instid0(VALU_DEP_1) | instskip(SKIP_1) | instid1(VALU_DEP_3)
	v_sub_co_u32 v6, vcc_lo, v3, v7
	s_wait_alu 0xfffd
	v_sub_co_ci_u32_e64 v7, null, v4, v7, vcc_lo
.LBB51_5:                               ;   in Loop: Header=BB51_3 Depth=1
	s_wait_alu 0xfffe
	s_and_not1_saveexec_b32 s0, s1
	s_cbranch_execz .LBB51_7
; %bb.6:                                ;   in Loop: Header=BB51_3 Depth=1
	s_sub_co_i32 s1, 0, s26
	v_mov_b32_e32 v7, v2
	s_wait_alu 0xfffe
	v_mul_lo_u32 v3, s1, v16
	s_delay_alu instid0(VALU_DEP_1) | instskip(NEXT) | instid1(VALU_DEP_1)
	v_mul_hi_u32 v3, v16, v3
	v_add_nc_u32_e32 v3, v16, v3
	s_delay_alu instid0(VALU_DEP_1) | instskip(NEXT) | instid1(VALU_DEP_1)
	v_mul_hi_u32 v3, v0, v3
	v_mul_lo_u32 v4, v3, s26
	s_delay_alu instid0(VALU_DEP_1) | instskip(NEXT) | instid1(VALU_DEP_1)
	v_sub_nc_u32_e32 v4, v0, v4
	v_subrev_nc_u32_e32 v6, s26, v4
	v_cmp_le_u32_e32 vcc_lo, s26, v4
	s_wait_alu 0xfffd
	s_delay_alu instid0(VALU_DEP_2) | instskip(NEXT) | instid1(VALU_DEP_1)
	v_dual_cndmask_b32 v4, v4, v6 :: v_dual_add_nc_u32 v5, 1, v3
	v_cndmask_b32_e32 v3, v3, v5, vcc_lo
	s_delay_alu instid0(VALU_DEP_2) | instskip(NEXT) | instid1(VALU_DEP_2)
	v_cmp_le_u32_e32 vcc_lo, s26, v4
	v_add_nc_u32_e32 v5, 1, v3
	s_wait_alu 0xfffd
	s_delay_alu instid0(VALU_DEP_1)
	v_cndmask_b32_e32 v6, v3, v5, vcc_lo
.LBB51_7:                               ;   in Loop: Header=BB51_3 Depth=1
	s_wait_alu 0xfffe
	s_or_b32 exec_lo, exec_lo, s0
	v_or_b32_e32 v3, s13, v7
                                        ; implicit-def: $vgpr10_vgpr11
	s_mov_b32 s0, exec_lo
	s_delay_alu instid0(VALU_DEP_1)
	v_cmpx_ne_u64_e32 0, v[2:3]
	s_wait_alu 0xfffe
	s_xor_b32 s1, exec_lo, s0
	s_cbranch_execz .LBB51_9
; %bb.8:                                ;   in Loop: Header=BB51_3 Depth=1
	s_ashr_i32 s2, s13, 31
	v_ashrrev_i32_e32 v5, 31, v7
	s_wait_alu 0xfffe
	s_mov_b32 s3, s2
	s_wait_alu 0xfffe
	s_add_nc_u64 s[44:45], s[12:13], s[2:3]
	v_add_co_u32 v3, vcc_lo, v6, v5
	s_wait_alu 0xfffe
	s_xor_b64 s[44:45], s[44:45], s[2:3]
	s_wait_alu 0xfffd
	v_add_co_ci_u32_e64 v4, null, v7, v5, vcc_lo
	s_wait_alu 0xfffe
	s_cvt_f32_u32 s0, s44
	s_cvt_f32_u32 s3, s45
	s_sub_nc_u64 s[48:49], 0, s[44:45]
	v_xor_b32_e32 v12, v3, v5
	v_xor_b32_e32 v13, v4, v5
	s_wait_alu 0xfffe
	s_fmamk_f32 s0, s3, 0x4f800000, s0
	v_xor_b32_e32 v5, s2, v5
	s_wait_alu 0xfffe
	s_delay_alu instid0(SALU_CYCLE_1) | instskip(NEXT) | instid1(TRANS32_DEP_1)
	v_s_rcp_f32 s0, s0
	s_mul_f32 s0, s0, 0x5f7ffffc
	s_wait_alu 0xfffe
	s_delay_alu instid0(SALU_CYCLE_2) | instskip(SKIP_1) | instid1(SALU_CYCLE_2)
	s_mul_f32 s3, s0, 0x2f800000
	s_wait_alu 0xfffe
	s_trunc_f32 s3, s3
	s_wait_alu 0xfffe
	s_delay_alu instid0(SALU_CYCLE_2) | instskip(SKIP_2) | instid1(SALU_CYCLE_1)
	s_fmamk_f32 s0, s3, 0xcf800000, s0
	s_cvt_u32_f32 s47, s3
	s_wait_alu 0xfffe
	s_cvt_u32_f32 s46, s0
	s_wait_alu 0xfffe
	s_delay_alu instid0(SALU_CYCLE_2)
	s_mul_u64 s[50:51], s[48:49], s[46:47]
	s_wait_alu 0xfffe
	s_mul_hi_u32 s53, s46, s51
	s_mul_i32 s52, s46, s51
	s_mul_hi_u32 s4, s46, s50
	s_mul_i32 s3, s47, s50
	s_wait_alu 0xfffe
	s_add_nc_u64 s[52:53], s[4:5], s[52:53]
	s_mul_hi_u32 s0, s47, s50
	s_mul_hi_u32 s43, s47, s51
	s_wait_alu 0xfffe
	s_add_co_u32 s3, s52, s3
	s_add_co_ci_u32 s4, s53, s0
	s_mul_i32 s50, s47, s51
	s_add_co_ci_u32 s51, s43, 0
	s_wait_alu 0xfffe
	s_add_nc_u64 s[50:51], s[4:5], s[50:51]
	s_wait_alu 0xfffe
	s_add_co_u32 s46, s46, s50
	s_cselect_b32 s0, -1, 0
	s_wait_alu 0xfffe
	s_cmp_lg_u32 s0, 0
	s_add_co_ci_u32 s47, s47, s51
	s_wait_alu 0xfffe
	s_mul_u64 s[48:49], s[48:49], s[46:47]
	s_wait_alu 0xfffe
	s_mul_hi_u32 s51, s46, s49
	s_mul_i32 s50, s46, s49
	s_mul_hi_u32 s4, s46, s48
	s_mul_i32 s3, s47, s48
	s_wait_alu 0xfffe
	s_add_nc_u64 s[50:51], s[4:5], s[50:51]
	s_mul_hi_u32 s0, s47, s48
	s_mul_hi_u32 s43, s47, s49
	s_wait_alu 0xfffe
	s_add_co_u32 s3, s50, s3
	s_add_co_ci_u32 s4, s51, s0
	s_mul_i32 s48, s47, s49
	s_add_co_ci_u32 s49, s43, 0
	s_wait_alu 0xfffe
	s_add_nc_u64 s[48:49], s[4:5], s[48:49]
	s_wait_alu 0xfffe
	s_add_co_u32 s0, s46, s48
	s_cselect_b32 s3, -1, 0
	s_wait_alu 0xfffe
	v_mul_hi_u32 v14, v12, s0
	s_cmp_lg_u32 s3, 0
	v_mad_co_u64_u32 v[8:9], null, v13, s0, 0
	s_add_co_ci_u32 s3, s47, s49
	s_wait_alu 0xfffe
	v_mad_co_u64_u32 v[3:4], null, v12, s3, 0
	v_mad_co_u64_u32 v[10:11], null, v13, s3, 0
	s_delay_alu instid0(VALU_DEP_2) | instskip(SKIP_1) | instid1(VALU_DEP_3)
	v_add_co_u32 v3, vcc_lo, v14, v3
	s_wait_alu 0xfffd
	v_add_co_ci_u32_e64 v4, null, 0, v4, vcc_lo
	s_delay_alu instid0(VALU_DEP_2) | instskip(SKIP_1) | instid1(VALU_DEP_2)
	v_add_co_u32 v3, vcc_lo, v3, v8
	s_wait_alu 0xfffd
	v_add_co_ci_u32_e32 v3, vcc_lo, v4, v9, vcc_lo
	s_wait_alu 0xfffd
	v_add_co_ci_u32_e32 v4, vcc_lo, 0, v11, vcc_lo
	s_delay_alu instid0(VALU_DEP_2) | instskip(SKIP_1) | instid1(VALU_DEP_2)
	v_add_co_u32 v8, vcc_lo, v3, v10
	s_wait_alu 0xfffd
	v_add_co_ci_u32_e64 v9, null, 0, v4, vcc_lo
	s_delay_alu instid0(VALU_DEP_2) | instskip(SKIP_1) | instid1(VALU_DEP_3)
	v_mul_lo_u32 v10, s45, v8
	v_mad_co_u64_u32 v[3:4], null, s44, v8, 0
	v_mul_lo_u32 v11, s44, v9
	s_delay_alu instid0(VALU_DEP_2) | instskip(NEXT) | instid1(VALU_DEP_2)
	v_sub_co_u32 v3, vcc_lo, v12, v3
	v_add3_u32 v4, v4, v11, v10
	v_add_co_u32 v11, s0, v8, 2
	s_wait_alu 0xf1ff
	v_add_co_ci_u32_e64 v12, null, 0, v9, s0
	s_delay_alu instid0(VALU_DEP_3) | instskip(SKIP_3) | instid1(VALU_DEP_3)
	v_sub_nc_u32_e32 v10, v13, v4
	v_sub_co_u32 v14, s0, v3, s44
	s_wait_alu 0xfffd
	v_sub_co_ci_u32_e64 v4, null, v13, v4, vcc_lo
	v_subrev_co_ci_u32_e64 v10, null, s45, v10, vcc_lo
	s_delay_alu instid0(VALU_DEP_3) | instskip(SKIP_1) | instid1(VALU_DEP_2)
	v_cmp_le_u32_e32 vcc_lo, s44, v14
	s_wait_alu 0xf1ff
	v_subrev_co_ci_u32_e64 v10, null, 0, v10, s0
	s_wait_alu 0xfffd
	v_cndmask_b32_e64 v13, 0, -1, vcc_lo
	s_delay_alu instid0(VALU_DEP_2)
	v_cmp_le_u32_e32 vcc_lo, s45, v10
	s_wait_alu 0xfffd
	v_cndmask_b32_e64 v14, 0, -1, vcc_lo
	v_cmp_le_u32_e32 vcc_lo, s44, v3
	s_wait_alu 0xfffd
	v_cndmask_b32_e64 v3, 0, -1, vcc_lo
	;; [unrolled: 3-line block ×3, first 2 shown]
	v_cmp_eq_u32_e32 vcc_lo, s45, v10
	s_wait_alu 0xfffd
	v_cndmask_b32_e32 v10, v14, v13, vcc_lo
	v_add_co_u32 v13, vcc_lo, v8, 1
	s_wait_alu 0xfffd
	v_add_co_ci_u32_e64 v14, null, 0, v9, vcc_lo
	v_cmp_eq_u32_e32 vcc_lo, s45, v4
	s_wait_alu 0xfffd
	v_cndmask_b32_e32 v3, v15, v3, vcc_lo
	v_cmp_ne_u32_e32 vcc_lo, 0, v10
	s_delay_alu instid0(VALU_DEP_2) | instskip(SKIP_3) | instid1(VALU_DEP_1)
	v_cmp_ne_u32_e64 s0, 0, v3
	s_wait_alu 0xfffd
	v_dual_cndmask_b32 v4, v14, v12 :: v_dual_cndmask_b32 v3, v13, v11
	s_wait_alu 0xf1ff
	v_cndmask_b32_e64 v4, v9, v4, s0
	s_delay_alu instid0(VALU_DEP_2) | instskip(NEXT) | instid1(VALU_DEP_2)
	v_cndmask_b32_e64 v3, v8, v3, s0
	v_xor_b32_e32 v4, v4, v5
	s_delay_alu instid0(VALU_DEP_2) | instskip(NEXT) | instid1(VALU_DEP_1)
	v_xor_b32_e32 v3, v3, v5
	v_sub_co_u32 v10, vcc_lo, v3, v5
	s_wait_alu 0xfffd
	s_delay_alu instid0(VALU_DEP_3)
	v_sub_co_ci_u32_e64 v11, null, v4, v5, vcc_lo
.LBB51_9:                               ;   in Loop: Header=BB51_3 Depth=1
	s_wait_alu 0xfffe
	s_and_not1_saveexec_b32 s0, s1
	s_cbranch_execz .LBB51_11
; %bb.10:                               ;   in Loop: Header=BB51_3 Depth=1
	s_sub_co_i32 s1, 0, s12
	v_mov_b32_e32 v11, v2
	s_wait_alu 0xfffe
	v_mul_lo_u32 v3, s1, v17
	s_delay_alu instid0(VALU_DEP_1) | instskip(NEXT) | instid1(VALU_DEP_1)
	v_mul_hi_u32 v3, v17, v3
	v_add_nc_u32_e32 v3, v17, v3
	s_delay_alu instid0(VALU_DEP_1) | instskip(NEXT) | instid1(VALU_DEP_1)
	v_mul_hi_u32 v3, v6, v3
	v_mul_lo_u32 v4, v3, s12
	v_add_nc_u32_e32 v5, 1, v3
	s_delay_alu instid0(VALU_DEP_2) | instskip(NEXT) | instid1(VALU_DEP_1)
	v_sub_nc_u32_e32 v4, v6, v4
	v_subrev_nc_u32_e32 v8, s12, v4
	v_cmp_le_u32_e32 vcc_lo, s12, v4
	s_wait_alu 0xfffd
	s_delay_alu instid0(VALU_DEP_2) | instskip(NEXT) | instid1(VALU_DEP_1)
	v_dual_cndmask_b32 v4, v4, v8 :: v_dual_cndmask_b32 v3, v3, v5
	v_cmp_le_u32_e32 vcc_lo, s12, v4
	s_delay_alu instid0(VALU_DEP_2) | instskip(SKIP_1) | instid1(VALU_DEP_1)
	v_add_nc_u32_e32 v5, 1, v3
	s_wait_alu 0xfffd
	v_cndmask_b32_e32 v10, v3, v5, vcc_lo
.LBB51_11:                              ;   in Loop: Header=BB51_3 Depth=1
	s_wait_alu 0xfffe
	s_or_b32 exec_lo, exec_lo, s0
	v_mul_lo_u32 v5, v7, s26
	v_mul_lo_u32 v12, v6, s27
	v_mad_co_u64_u32 v[3:4], null, v6, s26, 0
	v_mul_lo_u32 v13, v11, s12
	v_mul_lo_u32 v14, v10, s13
	v_mad_co_u64_u32 v[8:9], null, v10, s12, 0
	s_delay_alu instid0(VALU_DEP_4) | instskip(SKIP_1) | instid1(VALU_DEP_3)
	v_add3_u32 v5, v4, v12, v5
	v_sub_co_u32 v4, vcc_lo, v0, v3
	v_add3_u32 v3, v9, v14, v13
	s_wait_alu 0xfffd
	s_delay_alu instid0(VALU_DEP_3) | instskip(NEXT) | instid1(VALU_DEP_3)
	v_sub_co_ci_u32_e64 v5, null, v1, v5, vcc_lo
	v_mul_lo_u32 v9, s19, v4
	v_mad_co_u64_u32 v[12:13], null, s18, v4, 0
	s_wait_kmcnt 0x0
	v_mul_lo_u32 v20, s23, v4
	v_mul_lo_u32 v21, s18, v5
	;; [unrolled: 1-line block ×3, first 2 shown]
	v_mad_co_u64_u32 v[14:15], null, s22, v4, 0
	v_sub_co_u32 v18, vcc_lo, v6, v8
	s_wait_alu 0xfffd
	v_sub_co_ci_u32_e64 v19, null, v7, v3, vcc_lo
	v_add3_u32 v13, v13, v21, v9
	s_delay_alu instid0(VALU_DEP_3) | instskip(SKIP_1) | instid1(VALU_DEP_4)
	v_mul_lo_u32 v3, s17, v18
	v_add3_u32 v15, v15, v22, v20
	v_mul_lo_u32 v21, s16, v19
	s_and_not1_b32 vcc_lo, exec_lo, s62
	v_mad_co_u64_u32 v[8:9], null, s16, v18, v[12:13]
	v_mul_lo_u32 v12, s20, v19
	v_mul_lo_u32 v13, s21, v18
	v_mad_co_u64_u32 v[6:7], null, s20, v18, v[14:15]
	s_delay_alu instid0(VALU_DEP_4) | instskip(NEXT) | instid1(VALU_DEP_2)
	v_add3_u32 v9, v3, v9, v21
	v_add3_u32 v7, v13, v7, v12
	s_wait_alu 0xfffe
	s_cbranch_vccnz .LBB51_29
; %bb.12:                               ;   in Loop: Header=BB51_3 Depth=1
	s_and_not1_b32 vcc_lo, exec_lo, s60
	s_wait_alu 0xfffe
	s_cbranch_vccnz .LBB51_18
; %bb.13:                               ;   in Loop: Header=BB51_3 Depth=1
	s_load_b64 s[2:3], s[36:37], 0x8
                                        ; implicit-def: $vgpr12_vgpr13
	s_mov_b32 s0, exec_lo
	s_wait_kmcnt 0x0
	v_or_b32_e32 v3, s3, v11
	s_delay_alu instid0(VALU_DEP_1)
	v_cmpx_ne_u64_e32 0, v[2:3]
	s_wait_alu 0xfffe
	s_xor_b32 s1, exec_lo, s0
	s_cbranch_execz .LBB51_15
; %bb.14:                               ;   in Loop: Header=BB51_3 Depth=1
	s_ashr_i32 s44, s3, 31
	v_ashrrev_i32_e32 v3, 31, v11
	s_wait_alu 0xfffe
	s_mov_b32 s45, s44
	s_wait_alu 0xfffe
	s_add_nc_u64 s[46:47], s[2:3], s[44:45]
	v_add_co_u32 v12, vcc_lo, v10, v3
	s_wait_alu 0xfffe
	s_xor_b64 s[46:47], s[46:47], s[44:45]
	s_wait_alu 0xfffd
	v_add_co_ci_u32_e64 v13, null, v11, v3, vcc_lo
	s_wait_alu 0xfffe
	s_cvt_f32_u32 s0, s46
	s_cvt_f32_u32 s4, s47
	s_sub_nc_u64 s[50:51], 0, s[46:47]
	v_xor_b32_e32 v22, v12, v3
	v_xor_b32_e32 v23, v13, v3
	s_wait_alu 0xfffe
	s_fmamk_f32 s0, s4, 0x4f800000, s0
	v_xor_b32_e32 v3, s44, v3
	s_wait_alu 0xfffe
	s_delay_alu instid0(SALU_CYCLE_1) | instskip(NEXT) | instid1(TRANS32_DEP_1)
	v_s_rcp_f32 s0, s0
	s_mul_f32 s0, s0, 0x5f7ffffc
	s_wait_alu 0xfffe
	s_delay_alu instid0(SALU_CYCLE_2) | instskip(SKIP_1) | instid1(SALU_CYCLE_2)
	s_mul_f32 s4, s0, 0x2f800000
	s_wait_alu 0xfffe
	s_trunc_f32 s4, s4
	s_wait_alu 0xfffe
	s_delay_alu instid0(SALU_CYCLE_2) | instskip(SKIP_2) | instid1(SALU_CYCLE_1)
	s_fmamk_f32 s0, s4, 0xcf800000, s0
	s_cvt_u32_f32 s49, s4
	s_wait_alu 0xfffe
	s_cvt_u32_f32 s48, s0
	s_wait_alu 0xfffe
	s_delay_alu instid0(SALU_CYCLE_2)
	s_mul_u64 s[52:53], s[50:51], s[48:49]
	s_wait_alu 0xfffe
	s_mul_hi_u32 s55, s48, s53
	s_mul_i32 s54, s48, s53
	s_mul_hi_u32 s4, s48, s52
	s_mul_i32 s43, s49, s52
	s_wait_alu 0xfffe
	s_add_nc_u64 s[54:55], s[4:5], s[54:55]
	s_mul_hi_u32 s0, s49, s52
	s_mul_hi_u32 s45, s49, s53
	s_wait_alu 0xfffe
	s_add_co_u32 s4, s54, s43
	s_add_co_ci_u32 s4, s55, s0
	s_mul_i32 s52, s49, s53
	s_add_co_ci_u32 s53, s45, 0
	s_wait_alu 0xfffe
	s_add_nc_u64 s[52:53], s[4:5], s[52:53]
	s_wait_alu 0xfffe
	s_add_co_u32 s48, s48, s52
	s_cselect_b32 s0, -1, 0
	s_wait_alu 0xfffe
	s_cmp_lg_u32 s0, 0
	s_add_co_ci_u32 s49, s49, s53
	s_wait_alu 0xfffe
	s_mul_u64 s[50:51], s[50:51], s[48:49]
	s_wait_alu 0xfffe
	s_mul_hi_u32 s53, s48, s51
	s_mul_i32 s52, s48, s51
	s_mul_hi_u32 s4, s48, s50
	s_mul_i32 s43, s49, s50
	s_wait_alu 0xfffe
	s_add_nc_u64 s[52:53], s[4:5], s[52:53]
	s_mul_hi_u32 s0, s49, s50
	s_mul_hi_u32 s45, s49, s51
	s_wait_alu 0xfffe
	s_add_co_u32 s4, s52, s43
	s_add_co_ci_u32 s4, s53, s0
	s_mul_i32 s50, s49, s51
	s_add_co_ci_u32 s51, s45, 0
	s_wait_alu 0xfffe
	s_add_nc_u64 s[50:51], s[4:5], s[50:51]
	s_wait_alu 0xfffe
	s_add_co_u32 s0, s48, s50
	s_cselect_b32 s4, -1, 0
	s_wait_alu 0xfffe
	v_mul_hi_u32 v24, v22, s0
	s_cmp_lg_u32 s4, 0
	v_mad_co_u64_u32 v[14:15], null, v23, s0, 0
	s_add_co_ci_u32 s4, s49, s51
	s_wait_alu 0xfffe
	v_mad_co_u64_u32 v[12:13], null, v22, s4, 0
	v_mad_co_u64_u32 v[20:21], null, v23, s4, 0
	s_delay_alu instid0(VALU_DEP_2) | instskip(SKIP_1) | instid1(VALU_DEP_3)
	v_add_co_u32 v12, vcc_lo, v24, v12
	s_wait_alu 0xfffd
	v_add_co_ci_u32_e64 v13, null, 0, v13, vcc_lo
	s_delay_alu instid0(VALU_DEP_2) | instskip(SKIP_1) | instid1(VALU_DEP_2)
	v_add_co_u32 v12, vcc_lo, v12, v14
	s_wait_alu 0xfffd
	v_add_co_ci_u32_e32 v12, vcc_lo, v13, v15, vcc_lo
	s_wait_alu 0xfffd
	v_add_co_ci_u32_e32 v13, vcc_lo, 0, v21, vcc_lo
	s_delay_alu instid0(VALU_DEP_2) | instskip(SKIP_1) | instid1(VALU_DEP_2)
	v_add_co_u32 v14, vcc_lo, v12, v20
	s_wait_alu 0xfffd
	v_add_co_ci_u32_e64 v15, null, 0, v13, vcc_lo
	s_delay_alu instid0(VALU_DEP_2) | instskip(SKIP_1) | instid1(VALU_DEP_3)
	v_mul_lo_u32 v20, s47, v14
	v_mad_co_u64_u32 v[12:13], null, s46, v14, 0
	v_mul_lo_u32 v21, s46, v15
	s_delay_alu instid0(VALU_DEP_2) | instskip(NEXT) | instid1(VALU_DEP_2)
	v_sub_co_u32 v12, vcc_lo, v22, v12
	v_add3_u32 v13, v13, v21, v20
	v_add_co_u32 v21, s0, v14, 2
	s_wait_alu 0xf1ff
	v_add_co_ci_u32_e64 v22, null, 0, v15, s0
	s_delay_alu instid0(VALU_DEP_3) | instskip(SKIP_3) | instid1(VALU_DEP_3)
	v_sub_nc_u32_e32 v20, v23, v13
	v_sub_co_u32 v24, s0, v12, s46
	s_wait_alu 0xfffd
	v_sub_co_ci_u32_e64 v13, null, v23, v13, vcc_lo
	v_subrev_co_ci_u32_e64 v20, null, s47, v20, vcc_lo
	s_delay_alu instid0(VALU_DEP_3) | instskip(SKIP_1) | instid1(VALU_DEP_2)
	v_cmp_le_u32_e32 vcc_lo, s46, v24
	s_wait_alu 0xf1ff
	v_subrev_co_ci_u32_e64 v20, null, 0, v20, s0
	s_wait_alu 0xfffd
	v_cndmask_b32_e64 v23, 0, -1, vcc_lo
	s_delay_alu instid0(VALU_DEP_2)
	v_cmp_le_u32_e32 vcc_lo, s47, v20
	s_wait_alu 0xfffd
	v_cndmask_b32_e64 v24, 0, -1, vcc_lo
	v_cmp_le_u32_e32 vcc_lo, s46, v12
	s_wait_alu 0xfffd
	v_cndmask_b32_e64 v12, 0, -1, vcc_lo
	;; [unrolled: 3-line block ×3, first 2 shown]
	v_cmp_eq_u32_e32 vcc_lo, s47, v20
	s_wait_alu 0xfffd
	v_cndmask_b32_e32 v20, v24, v23, vcc_lo
	v_add_co_u32 v23, vcc_lo, v14, 1
	s_wait_alu 0xfffd
	v_add_co_ci_u32_e64 v24, null, 0, v15, vcc_lo
	v_cmp_eq_u32_e32 vcc_lo, s47, v13
	s_wait_alu 0xfffd
	v_cndmask_b32_e32 v12, v25, v12, vcc_lo
	v_cmp_ne_u32_e32 vcc_lo, 0, v20
	s_wait_alu 0xfffd
	v_cndmask_b32_e32 v13, v24, v22, vcc_lo
	s_delay_alu instid0(VALU_DEP_3) | instskip(SKIP_2) | instid1(VALU_DEP_2)
	v_cmp_ne_u32_e64 s0, 0, v12
	v_cndmask_b32_e32 v12, v23, v21, vcc_lo
	s_wait_alu 0xf1ff
	v_cndmask_b32_e64 v13, v15, v13, s0
	s_delay_alu instid0(VALU_DEP_2) | instskip(NEXT) | instid1(VALU_DEP_2)
	v_cndmask_b32_e64 v12, v14, v12, s0
	v_xor_b32_e32 v13, v13, v3
	s_delay_alu instid0(VALU_DEP_2) | instskip(NEXT) | instid1(VALU_DEP_1)
	v_xor_b32_e32 v12, v12, v3
	v_sub_co_u32 v12, vcc_lo, v12, v3
	s_wait_alu 0xfffd
	s_delay_alu instid0(VALU_DEP_3)
	v_sub_co_ci_u32_e64 v13, null, v13, v3, vcc_lo
.LBB51_15:                              ;   in Loop: Header=BB51_3 Depth=1
	s_wait_alu 0xfffe
	s_and_not1_saveexec_b32 s0, s1
	s_cbranch_execz .LBB51_17
; %bb.16:                               ;   in Loop: Header=BB51_3 Depth=1
	v_cvt_f32_u32_e32 v3, s2
	s_sub_co_i32 s1, 0, s2
	s_delay_alu instid0(VALU_DEP_1) | instskip(NEXT) | instid1(TRANS32_DEP_1)
	v_rcp_iflag_f32_e32 v3, v3
	v_mul_f32_e32 v3, 0x4f7ffffe, v3
	s_delay_alu instid0(VALU_DEP_1) | instskip(SKIP_1) | instid1(VALU_DEP_1)
	v_cvt_u32_f32_e32 v3, v3
	s_wait_alu 0xfffe
	v_mul_lo_u32 v12, s1, v3
	s_delay_alu instid0(VALU_DEP_1) | instskip(NEXT) | instid1(VALU_DEP_1)
	v_mul_hi_u32 v12, v3, v12
	v_add_nc_u32_e32 v3, v3, v12
	s_delay_alu instid0(VALU_DEP_1) | instskip(NEXT) | instid1(VALU_DEP_1)
	v_mul_hi_u32 v3, v10, v3
	v_mul_lo_u32 v12, v3, s2
	v_add_nc_u32_e32 v13, 1, v3
	s_delay_alu instid0(VALU_DEP_2) | instskip(NEXT) | instid1(VALU_DEP_1)
	v_sub_nc_u32_e32 v12, v10, v12
	v_subrev_nc_u32_e32 v14, s2, v12
	v_cmp_le_u32_e32 vcc_lo, s2, v12
	s_wait_alu 0xfffd
	s_delay_alu instid0(VALU_DEP_2) | instskip(NEXT) | instid1(VALU_DEP_1)
	v_dual_cndmask_b32 v12, v12, v14 :: v_dual_cndmask_b32 v3, v3, v13
	v_cmp_le_u32_e32 vcc_lo, s2, v12
	s_delay_alu instid0(VALU_DEP_2) | instskip(SKIP_1) | instid1(VALU_DEP_1)
	v_add_nc_u32_e32 v13, 1, v3
	s_wait_alu 0xfffd
	v_dual_cndmask_b32 v12, v3, v13 :: v_dual_mov_b32 v13, v2
.LBB51_17:                              ;   in Loop: Header=BB51_3 Depth=1
	s_wait_alu 0xfffe
	s_or_b32 exec_lo, exec_lo, s0
	s_delay_alu instid0(VALU_DEP_1) | instskip(NEXT) | instid1(VALU_DEP_2)
	v_mul_lo_u32 v3, v13, s2
	v_mul_lo_u32 v20, v12, s3
	s_load_b64 s[0:1], s[36:37], 0xd0
	v_mad_co_u64_u32 v[14:15], null, v12, s2, 0
	s_load_b64 s[2:3], s[38:39], 0xd0
	v_add3_u32 v3, v15, v20, v3
	v_sub_co_u32 v10, vcc_lo, v10, v14
	s_wait_alu 0xfffd
	s_delay_alu instid0(VALU_DEP_2) | instskip(SKIP_1) | instid1(VALU_DEP_1)
	v_sub_co_ci_u32_e64 v3, null, v11, v3, vcc_lo
	s_wait_kmcnt 0x0
	v_mul_lo_u32 v11, s0, v3
	v_mul_lo_u32 v14, s1, v10
	v_mad_co_u64_u32 v[8:9], null, s0, v10, v[8:9]
	v_mul_lo_u32 v3, s2, v3
	v_mul_lo_u32 v15, s3, v10
	v_mad_co_u64_u32 v[6:7], null, s2, v10, v[6:7]
	s_mov_b64 s[0:1], s[34:35]
	v_add3_u32 v9, v14, v9, v11
	v_dual_mov_b32 v10, v12 :: v_dual_mov_b32 v11, v13
	v_add3_u32 v7, v15, v7, v3
	s_and_not1_b32 vcc_lo, exec_lo, s61
	s_wait_alu 0xfffe
	s_cbranch_vccz .LBB51_19
	s_branch .LBB51_29
.LBB51_18:                              ;   in Loop: Header=BB51_3 Depth=1
	s_mov_b64 s[0:1], s[30:31]
	s_and_not1_b32 vcc_lo, exec_lo, s61
	s_wait_alu 0xfffe
	s_cbranch_vccnz .LBB51_29
.LBB51_19:                              ;   in Loop: Header=BB51_3 Depth=1
	s_lshl_b64 s[44:45], s[0:1], 3
	s_add_nc_u64 s[46:47], s[0:1], 1
	s_wait_alu 0xfffe
	s_add_nc_u64 s[2:3], s[40:41], s[44:45]
	s_add_nc_u64 s[44:45], s[24:25], s[44:45]
	s_branch .LBB51_21
.LBB51_20:                              ;   in Loop: Header=BB51_21 Depth=2
	s_wait_alu 0xfffe
	s_or_b32 exec_lo, exec_lo, s0
	v_mul_lo_u32 v3, v13, s48
	v_mul_lo_u32 v24, v12, s49
	v_mad_co_u64_u32 v[20:21], null, v12, s48, 0
	s_load_b64 s[0:1], s[44:45], 0xc8
	s_load_b64 s[48:49], s[2:3], 0x0
	v_mul_lo_u32 v25, v15, s54
	v_mul_lo_u32 v26, v14, s55
	v_mad_co_u64_u32 v[22:23], null, v14, s54, 0
	v_add3_u32 v3, v21, v24, v3
	v_sub_co_u32 v10, vcc_lo, v10, v20
	s_add_nc_u64 s[46:47], s[46:47], -2
	s_add_nc_u64 s[2:3], s[2:3], -16
	s_wait_alu 0xfffd
	v_sub_co_ci_u32_e64 v3, null, v11, v3, vcc_lo
	v_mul_lo_u32 v11, s53, v10
	v_mad_co_u64_u32 v[8:9], null, s52, v10, v[8:9]
	s_delay_alu instid0(VALU_DEP_3)
	v_mul_lo_u32 v20, s52, v3
	v_mul_lo_u32 v21, s51, v10
	v_mad_co_u64_u32 v[6:7], null, s50, v10, v[6:7]
	v_mul_lo_u32 v3, s50, v3
	v_add3_u32 v10, v23, v26, v25
	s_wait_alu 0xfffe
	s_cmp_eq_u64 s[46:47], 0
	s_add_nc_u64 s[44:45], s[44:45], -16
	v_add3_u32 v9, v11, v9, v20
	v_sub_co_u32 v11, vcc_lo, v12, v22
	s_wait_alu 0xfffd
	v_sub_co_ci_u32_e64 v10, null, v13, v10, vcc_lo
	v_add3_u32 v7, v21, v7, v3
	s_wait_kmcnt 0x0
	v_mad_co_u64_u32 v[8:9], null, s0, v11, v[8:9]
	s_delay_alu instid0(VALU_DEP_3) | instskip(SKIP_4) | instid1(VALU_DEP_4)
	v_mul_lo_u32 v3, s0, v10
	v_mul_lo_u32 v12, s1, v11
	;; [unrolled: 1-line block ×4, first 2 shown]
	v_mad_co_u64_u32 v[6:7], null, s48, v11, v[6:7]
	v_add3_u32 v9, v12, v9, v3
	s_delay_alu instid0(VALU_DEP_2)
	v_add3_u32 v7, v13, v7, v10
	v_dual_mov_b32 v10, v14 :: v_dual_mov_b32 v11, v15
	s_cbranch_scc1 .LBB51_29
.LBB51_21:                              ;   Parent Loop BB51_3 Depth=1
                                        ; =>  This Inner Loop Header: Depth=2
	s_load_b64 s[48:49], s[44:45], 0x8
                                        ; implicit-def: $vgpr12_vgpr13
	s_mov_b32 s0, exec_lo
	s_wait_kmcnt 0x0
	v_or_b32_e32 v3, s49, v11
	s_delay_alu instid0(VALU_DEP_1)
	v_cmpx_ne_u64_e32 0, v[2:3]
	s_wait_alu 0xfffe
	s_xor_b32 s1, exec_lo, s0
	s_cbranch_execz .LBB51_23
; %bb.22:                               ;   in Loop: Header=BB51_21 Depth=2
	s_ashr_i32 s50, s49, 31
	v_ashrrev_i32_e32 v3, 31, v11
	s_wait_alu 0xfffe
	s_mov_b32 s51, s50
	s_wait_alu 0xfffe
	s_add_nc_u64 s[52:53], s[48:49], s[50:51]
	v_add_co_u32 v12, vcc_lo, v10, v3
	s_wait_alu 0xfffe
	s_xor_b64 s[52:53], s[52:53], s[50:51]
	s_wait_alu 0xfffd
	v_add_co_ci_u32_e64 v13, null, v11, v3, vcc_lo
	s_wait_alu 0xfffe
	s_cvt_f32_u32 s0, s52
	s_cvt_f32_u32 s4, s53
	s_sub_nc_u64 s[56:57], 0, s[52:53]
	v_xor_b32_e32 v22, v12, v3
	v_xor_b32_e32 v23, v13, v3
	s_wait_alu 0xfffe
	s_fmamk_f32 s0, s4, 0x4f800000, s0
	v_xor_b32_e32 v3, s50, v3
	s_wait_alu 0xfffe
	s_delay_alu instid0(SALU_CYCLE_1) | instskip(NEXT) | instid1(TRANS32_DEP_1)
	v_s_rcp_f32 s0, s0
	s_mul_f32 s0, s0, 0x5f7ffffc
	s_wait_alu 0xfffe
	s_delay_alu instid0(SALU_CYCLE_2) | instskip(SKIP_1) | instid1(SALU_CYCLE_2)
	s_mul_f32 s4, s0, 0x2f800000
	s_wait_alu 0xfffe
	s_trunc_f32 s4, s4
	s_wait_alu 0xfffe
	s_delay_alu instid0(SALU_CYCLE_2) | instskip(SKIP_2) | instid1(SALU_CYCLE_1)
	s_fmamk_f32 s0, s4, 0xcf800000, s0
	s_cvt_u32_f32 s55, s4
	s_wait_alu 0xfffe
	s_cvt_u32_f32 s54, s0
	s_wait_alu 0xfffe
	s_delay_alu instid0(SALU_CYCLE_2)
	s_mul_u64 s[58:59], s[56:57], s[54:55]
	s_wait_alu 0xfffe
	s_mul_hi_u32 s65, s54, s59
	s_mul_i32 s64, s54, s59
	s_mul_hi_u32 s4, s54, s58
	s_mul_i32 s43, s55, s58
	s_wait_alu 0xfffe
	s_add_nc_u64 s[64:65], s[4:5], s[64:65]
	s_mul_hi_u32 s0, s55, s58
	s_mul_hi_u32 s51, s55, s59
	s_add_co_u32 s4, s64, s43
	s_wait_alu 0xfffe
	s_add_co_ci_u32 s4, s65, s0
	s_mul_i32 s58, s55, s59
	s_add_co_ci_u32 s59, s51, 0
	s_wait_alu 0xfffe
	s_add_nc_u64 s[58:59], s[4:5], s[58:59]
	s_wait_alu 0xfffe
	s_add_co_u32 s54, s54, s58
	s_cselect_b32 s0, -1, 0
	s_wait_alu 0xfffe
	s_cmp_lg_u32 s0, 0
	s_add_co_ci_u32 s55, s55, s59
	s_wait_alu 0xfffe
	s_mul_u64 s[56:57], s[56:57], s[54:55]
	s_wait_alu 0xfffe
	s_mul_hi_u32 s59, s54, s57
	s_mul_i32 s58, s54, s57
	s_mul_hi_u32 s4, s54, s56
	s_mul_i32 s43, s55, s56
	s_wait_alu 0xfffe
	s_add_nc_u64 s[58:59], s[4:5], s[58:59]
	s_mul_hi_u32 s0, s55, s56
	s_mul_hi_u32 s51, s55, s57
	s_wait_alu 0xfffe
	s_add_co_u32 s4, s58, s43
	s_add_co_ci_u32 s4, s59, s0
	s_mul_i32 s56, s55, s57
	s_add_co_ci_u32 s57, s51, 0
	s_wait_alu 0xfffe
	s_add_nc_u64 s[56:57], s[4:5], s[56:57]
	s_wait_alu 0xfffe
	s_add_co_u32 s0, s54, s56
	s_cselect_b32 s4, -1, 0
	s_wait_alu 0xfffe
	v_mul_hi_u32 v24, v22, s0
	s_cmp_lg_u32 s4, 0
	v_mad_co_u64_u32 v[14:15], null, v23, s0, 0
	s_add_co_ci_u32 s4, s55, s57
	s_wait_alu 0xfffe
	v_mad_co_u64_u32 v[12:13], null, v22, s4, 0
	v_mad_co_u64_u32 v[20:21], null, v23, s4, 0
	s_delay_alu instid0(VALU_DEP_2) | instskip(SKIP_1) | instid1(VALU_DEP_3)
	v_add_co_u32 v12, vcc_lo, v24, v12
	s_wait_alu 0xfffd
	v_add_co_ci_u32_e64 v13, null, 0, v13, vcc_lo
	s_delay_alu instid0(VALU_DEP_2) | instskip(SKIP_1) | instid1(VALU_DEP_2)
	v_add_co_u32 v12, vcc_lo, v12, v14
	s_wait_alu 0xfffd
	v_add_co_ci_u32_e32 v12, vcc_lo, v13, v15, vcc_lo
	s_wait_alu 0xfffd
	v_add_co_ci_u32_e32 v13, vcc_lo, 0, v21, vcc_lo
	s_delay_alu instid0(VALU_DEP_2) | instskip(SKIP_1) | instid1(VALU_DEP_2)
	v_add_co_u32 v14, vcc_lo, v12, v20
	s_wait_alu 0xfffd
	v_add_co_ci_u32_e64 v15, null, 0, v13, vcc_lo
	s_delay_alu instid0(VALU_DEP_2) | instskip(SKIP_1) | instid1(VALU_DEP_3)
	v_mul_lo_u32 v20, s53, v14
	v_mad_co_u64_u32 v[12:13], null, s52, v14, 0
	v_mul_lo_u32 v21, s52, v15
	s_delay_alu instid0(VALU_DEP_2) | instskip(NEXT) | instid1(VALU_DEP_2)
	v_sub_co_u32 v12, vcc_lo, v22, v12
	v_add3_u32 v13, v13, v21, v20
	v_add_co_u32 v21, s0, v14, 2
	s_wait_alu 0xf1ff
	v_add_co_ci_u32_e64 v22, null, 0, v15, s0
	s_delay_alu instid0(VALU_DEP_3) | instskip(SKIP_3) | instid1(VALU_DEP_3)
	v_sub_nc_u32_e32 v20, v23, v13
	v_sub_co_u32 v24, s0, v12, s52
	s_wait_alu 0xfffd
	v_sub_co_ci_u32_e64 v13, null, v23, v13, vcc_lo
	v_subrev_co_ci_u32_e64 v20, null, s53, v20, vcc_lo
	s_delay_alu instid0(VALU_DEP_3) | instskip(SKIP_1) | instid1(VALU_DEP_2)
	v_cmp_le_u32_e32 vcc_lo, s52, v24
	s_wait_alu 0xf1ff
	v_subrev_co_ci_u32_e64 v20, null, 0, v20, s0
	s_wait_alu 0xfffd
	v_cndmask_b32_e64 v23, 0, -1, vcc_lo
	s_delay_alu instid0(VALU_DEP_2)
	v_cmp_le_u32_e32 vcc_lo, s53, v20
	s_wait_alu 0xfffd
	v_cndmask_b32_e64 v24, 0, -1, vcc_lo
	v_cmp_le_u32_e32 vcc_lo, s52, v12
	s_wait_alu 0xfffd
	v_cndmask_b32_e64 v12, 0, -1, vcc_lo
	;; [unrolled: 3-line block ×3, first 2 shown]
	v_cmp_eq_u32_e32 vcc_lo, s53, v20
	s_wait_alu 0xfffd
	v_cndmask_b32_e32 v20, v24, v23, vcc_lo
	v_add_co_u32 v23, vcc_lo, v14, 1
	s_wait_alu 0xfffd
	v_add_co_ci_u32_e64 v24, null, 0, v15, vcc_lo
	v_cmp_eq_u32_e32 vcc_lo, s53, v13
	s_wait_alu 0xfffd
	v_cndmask_b32_e32 v12, v25, v12, vcc_lo
	v_cmp_ne_u32_e32 vcc_lo, 0, v20
	s_wait_alu 0xfffd
	v_cndmask_b32_e32 v13, v24, v22, vcc_lo
	s_delay_alu instid0(VALU_DEP_3) | instskip(SKIP_2) | instid1(VALU_DEP_2)
	v_cmp_ne_u32_e64 s0, 0, v12
	v_cndmask_b32_e32 v12, v23, v21, vcc_lo
	s_wait_alu 0xf1ff
	v_cndmask_b32_e64 v13, v15, v13, s0
	s_delay_alu instid0(VALU_DEP_2) | instskip(NEXT) | instid1(VALU_DEP_2)
	v_cndmask_b32_e64 v12, v14, v12, s0
	v_xor_b32_e32 v13, v13, v3
	s_delay_alu instid0(VALU_DEP_2) | instskip(NEXT) | instid1(VALU_DEP_1)
	v_xor_b32_e32 v12, v12, v3
	v_sub_co_u32 v12, vcc_lo, v12, v3
	s_wait_alu 0xfffd
	s_delay_alu instid0(VALU_DEP_3)
	v_sub_co_ci_u32_e64 v13, null, v13, v3, vcc_lo
.LBB51_23:                              ;   in Loop: Header=BB51_21 Depth=2
	s_wait_alu 0xfffe
	s_and_not1_saveexec_b32 s0, s1
	s_cbranch_execz .LBB51_25
; %bb.24:                               ;   in Loop: Header=BB51_21 Depth=2
	v_cvt_f32_u32_e32 v3, s48
	s_sub_co_i32 s1, 0, s48
	s_delay_alu instid0(VALU_DEP_1) | instskip(NEXT) | instid1(TRANS32_DEP_1)
	v_rcp_iflag_f32_e32 v3, v3
	v_mul_f32_e32 v3, 0x4f7ffffe, v3
	s_delay_alu instid0(VALU_DEP_1) | instskip(SKIP_1) | instid1(VALU_DEP_1)
	v_cvt_u32_f32_e32 v3, v3
	s_wait_alu 0xfffe
	v_mul_lo_u32 v12, s1, v3
	s_delay_alu instid0(VALU_DEP_1) | instskip(NEXT) | instid1(VALU_DEP_1)
	v_mul_hi_u32 v12, v3, v12
	v_add_nc_u32_e32 v3, v3, v12
	s_delay_alu instid0(VALU_DEP_1) | instskip(NEXT) | instid1(VALU_DEP_1)
	v_mul_hi_u32 v3, v10, v3
	v_mul_lo_u32 v12, v3, s48
	v_add_nc_u32_e32 v13, 1, v3
	s_delay_alu instid0(VALU_DEP_2) | instskip(NEXT) | instid1(VALU_DEP_1)
	v_sub_nc_u32_e32 v12, v10, v12
	v_subrev_nc_u32_e32 v14, s48, v12
	v_cmp_le_u32_e32 vcc_lo, s48, v12
	s_wait_alu 0xfffd
	s_delay_alu instid0(VALU_DEP_2) | instskip(NEXT) | instid1(VALU_DEP_1)
	v_dual_cndmask_b32 v12, v12, v14 :: v_dual_cndmask_b32 v3, v3, v13
	v_cmp_le_u32_e32 vcc_lo, s48, v12
	s_delay_alu instid0(VALU_DEP_2) | instskip(SKIP_1) | instid1(VALU_DEP_1)
	v_add_nc_u32_e32 v13, 1, v3
	s_wait_alu 0xfffd
	v_dual_cndmask_b32 v12, v3, v13 :: v_dual_mov_b32 v13, v2
.LBB51_25:                              ;   in Loop: Header=BB51_21 Depth=2
	s_wait_alu 0xfffe
	s_or_b32 exec_lo, exec_lo, s0
	s_clause 0x1
	s_load_b64 s[54:55], s[44:45], 0x0
	s_load_b64 s[52:53], s[44:45], 0xd0
	;; [unrolled: 1-line block ×3, first 2 shown]
                                        ; implicit-def: $vgpr14_vgpr15
	s_mov_b32 s0, exec_lo
	s_wait_kmcnt 0x0
	v_or_b32_e32 v3, s55, v13
	s_delay_alu instid0(VALU_DEP_1)
	v_cmpx_ne_u64_e32 0, v[2:3]
	s_wait_alu 0xfffe
	s_xor_b32 s1, exec_lo, s0
	s_cbranch_execz .LBB51_27
; %bb.26:                               ;   in Loop: Header=BB51_21 Depth=2
	s_ashr_i32 s56, s55, 31
	v_ashrrev_i32_e32 v3, 31, v13
	s_wait_alu 0xfffe
	s_mov_b32 s57, s56
	s_wait_alu 0xfffe
	s_add_nc_u64 s[58:59], s[54:55], s[56:57]
	v_add_co_u32 v14, vcc_lo, v12, v3
	s_wait_alu 0xfffe
	s_xor_b64 s[58:59], s[58:59], s[56:57]
	s_wait_alu 0xfffd
	v_add_co_ci_u32_e64 v15, null, v13, v3, vcc_lo
	s_wait_alu 0xfffe
	s_cvt_f32_u32 s0, s58
	s_cvt_f32_u32 s4, s59
	s_sub_nc_u64 s[66:67], 0, s[58:59]
	v_xor_b32_e32 v24, v14, v3
	v_xor_b32_e32 v25, v15, v3
	s_wait_alu 0xfffe
	s_fmamk_f32 s0, s4, 0x4f800000, s0
	v_xor_b32_e32 v3, s56, v3
	s_wait_alu 0xfffe
	s_delay_alu instid0(SALU_CYCLE_1) | instskip(NEXT) | instid1(TRANS32_DEP_1)
	v_s_rcp_f32 s0, s0
	s_mul_f32 s0, s0, 0x5f7ffffc
	s_wait_alu 0xfffe
	s_delay_alu instid0(SALU_CYCLE_2) | instskip(SKIP_1) | instid1(SALU_CYCLE_2)
	s_mul_f32 s4, s0, 0x2f800000
	s_wait_alu 0xfffe
	s_trunc_f32 s4, s4
	s_wait_alu 0xfffe
	s_delay_alu instid0(SALU_CYCLE_2) | instskip(SKIP_2) | instid1(SALU_CYCLE_1)
	s_fmamk_f32 s0, s4, 0xcf800000, s0
	s_cvt_u32_f32 s65, s4
	s_wait_alu 0xfffe
	s_cvt_u32_f32 s64, s0
	s_delay_alu instid0(SALU_CYCLE_3) | instskip(NEXT) | instid1(SALU_CYCLE_1)
	s_mul_u64 s[68:69], s[66:67], s[64:65]
	s_mul_hi_u32 s71, s64, s69
	s_mul_i32 s70, s64, s69
	s_mul_hi_u32 s4, s64, s68
	s_mul_i32 s43, s65, s68
	s_wait_alu 0xfffe
	s_add_nc_u64 s[70:71], s[4:5], s[70:71]
	s_mul_hi_u32 s0, s65, s68
	s_mul_hi_u32 s57, s65, s69
	s_add_co_u32 s4, s70, s43
	s_wait_alu 0xfffe
	s_add_co_ci_u32 s4, s71, s0
	s_mul_i32 s68, s65, s69
	s_add_co_ci_u32 s69, s57, 0
	s_wait_alu 0xfffe
	s_add_nc_u64 s[68:69], s[4:5], s[68:69]
	s_delay_alu instid0(SALU_CYCLE_1) | instskip(SKIP_4) | instid1(SALU_CYCLE_1)
	s_add_co_u32 s64, s64, s68
	s_cselect_b32 s0, -1, 0
	s_wait_alu 0xfffe
	s_cmp_lg_u32 s0, 0
	s_add_co_ci_u32 s65, s65, s69
	s_mul_u64 s[66:67], s[66:67], s[64:65]
	s_delay_alu instid0(SALU_CYCLE_1)
	s_mul_hi_u32 s69, s64, s67
	s_mul_i32 s68, s64, s67
	s_mul_hi_u32 s4, s64, s66
	s_mul_i32 s43, s65, s66
	s_wait_alu 0xfffe
	s_add_nc_u64 s[68:69], s[4:5], s[68:69]
	s_mul_hi_u32 s0, s65, s66
	s_mul_hi_u32 s57, s65, s67
	s_add_co_u32 s4, s68, s43
	s_wait_alu 0xfffe
	s_add_co_ci_u32 s4, s69, s0
	s_mul_i32 s66, s65, s67
	s_add_co_ci_u32 s67, s57, 0
	s_wait_alu 0xfffe
	s_add_nc_u64 s[66:67], s[4:5], s[66:67]
	s_delay_alu instid0(SALU_CYCLE_1)
	s_add_co_u32 s0, s64, s66
	s_cselect_b32 s4, -1, 0
	s_wait_alu 0xfffe
	v_mul_hi_u32 v26, v24, s0
	s_cmp_lg_u32 s4, 0
	v_mad_co_u64_u32 v[20:21], null, v25, s0, 0
	s_add_co_ci_u32 s4, s65, s67
	s_wait_alu 0xfffe
	v_mad_co_u64_u32 v[14:15], null, v24, s4, 0
	v_mad_co_u64_u32 v[22:23], null, v25, s4, 0
	s_delay_alu instid0(VALU_DEP_2) | instskip(SKIP_1) | instid1(VALU_DEP_3)
	v_add_co_u32 v14, vcc_lo, v26, v14
	s_wait_alu 0xfffd
	v_add_co_ci_u32_e64 v15, null, 0, v15, vcc_lo
	s_delay_alu instid0(VALU_DEP_2) | instskip(SKIP_1) | instid1(VALU_DEP_2)
	v_add_co_u32 v14, vcc_lo, v14, v20
	s_wait_alu 0xfffd
	v_add_co_ci_u32_e32 v14, vcc_lo, v15, v21, vcc_lo
	s_wait_alu 0xfffd
	v_add_co_ci_u32_e32 v15, vcc_lo, 0, v23, vcc_lo
	s_delay_alu instid0(VALU_DEP_2) | instskip(SKIP_1) | instid1(VALU_DEP_2)
	v_add_co_u32 v20, vcc_lo, v14, v22
	s_wait_alu 0xfffd
	v_add_co_ci_u32_e64 v21, null, 0, v15, vcc_lo
	s_delay_alu instid0(VALU_DEP_2) | instskip(SKIP_1) | instid1(VALU_DEP_3)
	v_mul_lo_u32 v22, s59, v20
	v_mad_co_u64_u32 v[14:15], null, s58, v20, 0
	v_mul_lo_u32 v23, s58, v21
	s_delay_alu instid0(VALU_DEP_2) | instskip(NEXT) | instid1(VALU_DEP_2)
	v_sub_co_u32 v14, vcc_lo, v24, v14
	v_add3_u32 v15, v15, v23, v22
	v_add_co_u32 v23, s0, v20, 2
	s_wait_alu 0xf1ff
	v_add_co_ci_u32_e64 v24, null, 0, v21, s0
	s_delay_alu instid0(VALU_DEP_3) | instskip(SKIP_3) | instid1(VALU_DEP_3)
	v_sub_nc_u32_e32 v22, v25, v15
	v_sub_co_u32 v26, s0, v14, s58
	s_wait_alu 0xfffd
	v_sub_co_ci_u32_e64 v15, null, v25, v15, vcc_lo
	v_subrev_co_ci_u32_e64 v22, null, s59, v22, vcc_lo
	s_delay_alu instid0(VALU_DEP_3) | instskip(SKIP_1) | instid1(VALU_DEP_2)
	v_cmp_le_u32_e32 vcc_lo, s58, v26
	s_wait_alu 0xf1ff
	v_subrev_co_ci_u32_e64 v22, null, 0, v22, s0
	s_wait_alu 0xfffd
	v_cndmask_b32_e64 v25, 0, -1, vcc_lo
	s_delay_alu instid0(VALU_DEP_2)
	v_cmp_le_u32_e32 vcc_lo, s59, v22
	s_wait_alu 0xfffd
	v_cndmask_b32_e64 v26, 0, -1, vcc_lo
	v_cmp_le_u32_e32 vcc_lo, s58, v14
	s_wait_alu 0xfffd
	v_cndmask_b32_e64 v14, 0, -1, vcc_lo
	;; [unrolled: 3-line block ×3, first 2 shown]
	v_cmp_eq_u32_e32 vcc_lo, s59, v22
	s_wait_alu 0xfffd
	v_cndmask_b32_e32 v22, v26, v25, vcc_lo
	v_add_co_u32 v25, vcc_lo, v20, 1
	s_wait_alu 0xfffd
	v_add_co_ci_u32_e64 v26, null, 0, v21, vcc_lo
	v_cmp_eq_u32_e32 vcc_lo, s59, v15
	s_wait_alu 0xfffd
	v_cndmask_b32_e32 v14, v27, v14, vcc_lo
	v_cmp_ne_u32_e32 vcc_lo, 0, v22
	s_wait_alu 0xfffd
	v_cndmask_b32_e32 v15, v26, v24, vcc_lo
	s_delay_alu instid0(VALU_DEP_3) | instskip(SKIP_2) | instid1(VALU_DEP_2)
	v_cmp_ne_u32_e64 s0, 0, v14
	v_cndmask_b32_e32 v14, v25, v23, vcc_lo
	s_wait_alu 0xf1ff
	v_cndmask_b32_e64 v15, v21, v15, s0
	s_delay_alu instid0(VALU_DEP_2) | instskip(NEXT) | instid1(VALU_DEP_2)
	v_cndmask_b32_e64 v14, v20, v14, s0
	v_xor_b32_e32 v15, v15, v3
	s_delay_alu instid0(VALU_DEP_2) | instskip(NEXT) | instid1(VALU_DEP_1)
	v_xor_b32_e32 v14, v14, v3
	v_sub_co_u32 v14, vcc_lo, v14, v3
	s_wait_alu 0xfffd
	s_delay_alu instid0(VALU_DEP_3)
	v_sub_co_ci_u32_e64 v15, null, v15, v3, vcc_lo
.LBB51_27:                              ;   in Loop: Header=BB51_21 Depth=2
	s_wait_alu 0xfffe
	s_and_not1_saveexec_b32 s0, s1
	s_cbranch_execz .LBB51_20
; %bb.28:                               ;   in Loop: Header=BB51_21 Depth=2
	v_cvt_f32_u32_e32 v3, s54
	s_sub_co_i32 s1, 0, s54
	s_delay_alu instid0(VALU_DEP_1) | instskip(NEXT) | instid1(TRANS32_DEP_1)
	v_rcp_iflag_f32_e32 v3, v3
	v_mul_f32_e32 v3, 0x4f7ffffe, v3
	s_delay_alu instid0(VALU_DEP_1) | instskip(SKIP_1) | instid1(VALU_DEP_1)
	v_cvt_u32_f32_e32 v3, v3
	s_wait_alu 0xfffe
	v_mul_lo_u32 v14, s1, v3
	s_delay_alu instid0(VALU_DEP_1) | instskip(NEXT) | instid1(VALU_DEP_1)
	v_mul_hi_u32 v14, v3, v14
	v_add_nc_u32_e32 v3, v3, v14
	s_delay_alu instid0(VALU_DEP_1) | instskip(NEXT) | instid1(VALU_DEP_1)
	v_mul_hi_u32 v3, v12, v3
	v_mul_lo_u32 v14, v3, s54
	v_add_nc_u32_e32 v15, 1, v3
	s_delay_alu instid0(VALU_DEP_2) | instskip(NEXT) | instid1(VALU_DEP_1)
	v_sub_nc_u32_e32 v14, v12, v14
	v_subrev_nc_u32_e32 v20, s54, v14
	v_cmp_le_u32_e32 vcc_lo, s54, v14
	s_wait_alu 0xfffd
	s_delay_alu instid0(VALU_DEP_2) | instskip(NEXT) | instid1(VALU_DEP_1)
	v_dual_cndmask_b32 v14, v14, v20 :: v_dual_cndmask_b32 v3, v3, v15
	v_cmp_le_u32_e32 vcc_lo, s54, v14
	s_delay_alu instid0(VALU_DEP_2) | instskip(SKIP_1) | instid1(VALU_DEP_1)
	v_add_nc_u32_e32 v15, 1, v3
	s_wait_alu 0xfffd
	v_dual_cndmask_b32 v14, v3, v15 :: v_dual_mov_b32 v15, v2
	s_branch .LBB51_20
.LBB51_29:                              ;   in Loop: Header=BB51_3 Depth=1
	v_sub_co_u32 v10, vcc_lo, v4, v18
	s_wait_alu 0xfffd
	v_sub_co_ci_u32_e64 v11, null, v5, v19, vcc_lo
	v_mov_b32_e32 v12, 0
	s_mov_b32 s43, exec_lo
	s_delay_alu instid0(VALU_DEP_2)
	v_cmpx_ge_i64_e64 s[8:9], v[10:11]
	s_cbranch_execz .LBB51_39
; %bb.30:                               ;   in Loop: Header=BB51_3 Depth=1
	v_mov_b32_e32 v3, 0
	s_mov_b32 s0, exec_lo
	v_cmpx_gt_i64_e64 s[14:15], v[4:5]
	s_cbranch_execz .LBB51_38
; %bb.31:                               ;   in Loop: Header=BB51_3 Depth=1
	v_add_co_u32 v8, vcc_lo, s6, v8
	s_wait_alu 0xfffd
	v_add_co_ci_u32_e64 v9, null, s7, v9, vcc_lo
	v_add_co_u32 v12, vcc_lo, v4, 1
	s_wait_alu 0xfffd
	v_add_co_ci_u32_e64 v13, null, 0, v5, vcc_lo
	global_load_u8 v3, v[8:9], off
	s_mov_b32 s1, exec_lo
	v_cmpx_gt_i64_e64 s[14:15], v[12:13]
	s_wait_alu 0xfffe
	s_xor_b32 s1, exec_lo, s1
	s_cbranch_execz .LBB51_37
; %bb.32:                               ;   in Loop: Header=BB51_3 Depth=1
	v_add_co_u32 v8, vcc_lo, v8, s18
	s_wait_alu 0xfffd
	v_add_co_ci_u32_e64 v9, null, s19, v9, vcc_lo
	s_mov_b32 s2, exec_lo
	global_load_u8 v12, v[8:9], off
	s_wait_loadcnt 0x0
	v_lshlrev_b16 v14, 8, v12
	v_add_co_u32 v12, vcc_lo, v4, 2
	s_wait_alu 0xfffd
	v_add_co_ci_u32_e64 v13, null, 0, v5, vcc_lo
	s_delay_alu instid0(VALU_DEP_3) | instskip(NEXT) | instid1(VALU_DEP_1)
	v_or_b32_e32 v3, v3, v14
	v_and_b32_e32 v3, 0xffff, v3
	s_delay_alu instid0(VALU_DEP_3)
	v_cmpx_gt_i64_e64 s[14:15], v[12:13]
	s_wait_alu 0xfffe
	s_xor_b32 s2, exec_lo, s2
	s_cbranch_execz .LBB51_36
; %bb.33:                               ;   in Loop: Header=BB51_3 Depth=1
	v_add_co_u32 v8, vcc_lo, v8, s18
	s_wait_alu 0xfffd
	v_add_co_ci_u32_e64 v9, null, s19, v9, vcc_lo
	v_add_co_u32 v12, vcc_lo, v4, 3
	s_wait_alu 0xfffd
	v_add_co_ci_u32_e64 v13, null, 0, v5, vcc_lo
	global_load_u8 v14, v[8:9], off
	s_mov_b32 s3, exec_lo
	s_wait_loadcnt 0x0
	v_lshl_or_b32 v3, v14, 16, v3
	v_cmpx_gt_i64_e64 s[14:15], v[12:13]
	s_wait_alu 0xfffe
	s_xor_b32 s3, exec_lo, s3
	s_cbranch_execz .LBB51_35
; %bb.34:                               ;   in Loop: Header=BB51_3 Depth=1
	v_add_co_u32 v8, vcc_lo, v8, s18
	s_wait_alu 0xfffd
	v_add_co_ci_u32_e64 v9, null, s19, v9, vcc_lo
	global_load_u8 v8, v[8:9], off
	v_lshrrev_b32_e32 v9, 16, v3
	s_wait_loadcnt 0x0
	v_lshlrev_b16 v8, 8, v8
	s_delay_alu instid0(VALU_DEP_1) | instskip(NEXT) | instid1(VALU_DEP_1)
	v_or_b32_e32 v8, v9, v8
	v_lshlrev_b32_e32 v8, 16, v8
	s_delay_alu instid0(VALU_DEP_1)
	v_and_or_b32 v3, 0xffff, v3, v8
.LBB51_35:                              ;   in Loop: Header=BB51_3 Depth=1
	s_wait_alu 0xfffe
	s_or_b32 exec_lo, exec_lo, s3
.LBB51_36:                              ;   in Loop: Header=BB51_3 Depth=1
	s_wait_alu 0xfffe
	s_or_b32 exec_lo, exec_lo, s2
.LBB51_37:                              ;   in Loop: Header=BB51_3 Depth=1
	s_wait_alu 0xfffe
	s_or_b32 exec_lo, exec_lo, s1
.LBB51_38:                              ;   in Loop: Header=BB51_3 Depth=1
	s_wait_alu 0xfffe
	s_or_b32 exec_lo, exec_lo, s0
	v_add_co_u32 v8, vcc_lo, v10, 1
	s_wait_alu 0xfffd
	v_add_co_ci_u32_e64 v9, null, 0, v11, vcc_lo
	s_wait_loadcnt 0x0
	v_lshrrev_b16 v12, 8, v3
	v_and_b32_e32 v13, 0x1000000, v3
	v_and_b32_e32 v14, 0x10000, v3
	v_cmp_ge_i64_e32 vcc_lo, s[8:9], v[8:9]
	v_add_co_u32 v8, s0, v10, 3
	v_and_b32_e32 v12, 1, v12
	s_wait_alu 0xf1ff
	v_add_co_ci_u32_e64 v9, null, 0, v11, s0
	v_add_co_u32 v10, s0, v10, 2
	s_wait_alu 0xf1ff
	v_add_co_ci_u32_e64 v11, null, 0, v11, s0
	v_cmp_eq_u32_e64 s0, 1, v12
	v_cmp_ge_i64_e64 s1, s[8:9], v[8:9]
	v_cmp_ne_u32_e64 s2, 0, v13
	s_delay_alu instid0(VALU_DEP_4)
	v_cmp_ge_i64_e64 s4, s[8:9], v[10:11]
	v_cmp_ne_u32_e64 s3, 0, v14
	s_and_b32 s0, vcc_lo, s0
	v_and_b32_e32 v3, 1, v3
	s_wait_alu 0xfffe
	v_cndmask_b32_e64 v8, 0, 1, s0
	s_and_b32 s0, s1, s2
	s_wait_alu 0xfffe
	v_cndmask_b32_e64 v9, 0, 1, s0
	s_and_b32 s0, s4, s3
	v_lshlrev_b16 v8, 8, v8
	s_wait_alu 0xfffe
	v_cndmask_b32_e64 v10, 0, 1, s0
	v_lshlrev_b16 v9, 8, v9
	s_delay_alu instid0(VALU_DEP_3) | instskip(NEXT) | instid1(VALU_DEP_2)
	v_or_b32_e32 v3, v3, v8
	v_or_b32_e32 v8, v10, v9
	s_delay_alu instid0(VALU_DEP_2) | instskip(NEXT) | instid1(VALU_DEP_2)
	v_and_b32_e32 v3, 0xffff, v3
	v_lshlrev_b32_e32 v8, 16, v8
	s_delay_alu instid0(VALU_DEP_1)
	v_or_b32_e32 v12, v3, v8
.LBB51_39:                              ;   in Loop: Header=BB51_3 Depth=1
	s_wait_alu 0xfffe
	s_or_b32 exec_lo, exec_lo, s43
	s_delay_alu instid0(SALU_CYCLE_1)
	s_mov_b32 s0, exec_lo
	v_cmpx_gt_i64_e64 s[14:15], v[4:5]
	s_cbranch_execz .LBB51_2
; %bb.40:                               ;   in Loop: Header=BB51_3 Depth=1
	v_add_co_u32 v8, vcc_lo, v4, 1
	s_wait_alu 0xfffd
	v_add_co_ci_u32_e64 v9, null, 0, v5, vcc_lo
	v_add_co_u32 v6, vcc_lo, s28, v6
	s_wait_alu 0xfffd
	v_add_co_ci_u32_e64 v7, null, s29, v7, vcc_lo
	s_mov_b32 s1, exec_lo
	global_store_b8 v[6:7], v12, off
	v_cmpx_gt_i64_e64 s[14:15], v[8:9]
	s_wait_alu 0xfffe
	s_xor_b32 s1, exec_lo, s1
	s_cbranch_execz .LBB51_2
; %bb.41:                               ;   in Loop: Header=BB51_3 Depth=1
	v_add_co_u32 v8, vcc_lo, v4, 2
	s_wait_alu 0xfffd
	v_add_co_ci_u32_e64 v9, null, 0, v5, vcc_lo
	v_add_co_u32 v6, vcc_lo, v6, s22
	v_lshrrev_b32_e32 v3, 8, v12
	s_wait_alu 0xfffd
	v_add_co_ci_u32_e64 v7, null, s23, v7, vcc_lo
	s_mov_b32 s1, exec_lo
	global_store_b8 v[6:7], v3, off
	v_cmpx_gt_i64_e64 s[14:15], v[8:9]
	s_wait_alu 0xfffe
	s_xor_b32 s1, exec_lo, s1
	s_cbranch_execz .LBB51_2
; %bb.42:                               ;   in Loop: Header=BB51_3 Depth=1
	v_add_co_u32 v8, vcc_lo, v4, 3
	s_wait_alu 0xfffd
	v_add_co_ci_u32_e64 v9, null, 0, v5, vcc_lo
	v_add_co_u32 v3, vcc_lo, v6, s22
	s_wait_alu 0xfffd
	v_add_co_ci_u32_e64 v4, null, s23, v7, vcc_lo
	s_mov_b32 s1, exec_lo
	global_store_d16_hi_b8 v[3:4], v12, off
	v_cmpx_gt_i64_e64 s[14:15], v[8:9]
	s_wait_alu 0xfffe
	s_xor_b32 s1, exec_lo, s1
	s_cbranch_execz .LBB51_2
; %bb.43:                               ;   in Loop: Header=BB51_3 Depth=1
	v_add_co_u32 v3, vcc_lo, v3, s22
	v_lshrrev_b32_e32 v5, 24, v12
	s_wait_alu 0xfffd
	v_add_co_ci_u32_e64 v4, null, s23, v4, vcc_lo
	global_store_b8 v[3:4], v5, off
	s_branch .LBB51_2
.LBB51_44:
	s_endpgm
	.section	.rodata,"a",@progbits
	.p2align	6, 0x0
	.amdhsa_kernel _ZN2at6native16triu_tril_kernelIblLb0ELi4ELb0EEEvNS_4cuda6detail10TensorInfoIT_T0_EENS4_IKS5_S6_EEllS6_
		.amdhsa_group_segment_fixed_size 0
		.amdhsa_private_segment_fixed_size 0
		.amdhsa_kernarg_size 1112
		.amdhsa_user_sgpr_count 2
		.amdhsa_user_sgpr_dispatch_ptr 0
		.amdhsa_user_sgpr_queue_ptr 0
		.amdhsa_user_sgpr_kernarg_segment_ptr 1
		.amdhsa_user_sgpr_dispatch_id 0
		.amdhsa_user_sgpr_private_segment_size 0
		.amdhsa_wavefront_size32 1
		.amdhsa_uses_dynamic_stack 0
		.amdhsa_enable_private_segment 0
		.amdhsa_system_sgpr_workgroup_id_x 1
		.amdhsa_system_sgpr_workgroup_id_y 0
		.amdhsa_system_sgpr_workgroup_id_z 0
		.amdhsa_system_sgpr_workgroup_info 0
		.amdhsa_system_vgpr_workitem_id 0
		.amdhsa_next_free_vgpr 28
		.amdhsa_next_free_sgpr 72
		.amdhsa_reserve_vcc 1
		.amdhsa_float_round_mode_32 0
		.amdhsa_float_round_mode_16_64 0
		.amdhsa_float_denorm_mode_32 3
		.amdhsa_float_denorm_mode_16_64 3
		.amdhsa_fp16_overflow 0
		.amdhsa_workgroup_processor_mode 1
		.amdhsa_memory_ordered 1
		.amdhsa_forward_progress 1
		.amdhsa_inst_pref_size 56
		.amdhsa_round_robin_scheduling 0
		.amdhsa_exception_fp_ieee_invalid_op 0
		.amdhsa_exception_fp_denorm_src 0
		.amdhsa_exception_fp_ieee_div_zero 0
		.amdhsa_exception_fp_ieee_overflow 0
		.amdhsa_exception_fp_ieee_underflow 0
		.amdhsa_exception_fp_ieee_inexact 0
		.amdhsa_exception_int_div_zero 0
	.end_amdhsa_kernel
	.section	.text._ZN2at6native16triu_tril_kernelIblLb0ELi4ELb0EEEvNS_4cuda6detail10TensorInfoIT_T0_EENS4_IKS5_S6_EEllS6_,"axG",@progbits,_ZN2at6native16triu_tril_kernelIblLb0ELi4ELb0EEEvNS_4cuda6detail10TensorInfoIT_T0_EENS4_IKS5_S6_EEllS6_,comdat
.Lfunc_end51:
	.size	_ZN2at6native16triu_tril_kernelIblLb0ELi4ELb0EEEvNS_4cuda6detail10TensorInfoIT_T0_EENS4_IKS5_S6_EEllS6_, .Lfunc_end51-_ZN2at6native16triu_tril_kernelIblLb0ELi4ELb0EEEvNS_4cuda6detail10TensorInfoIT_T0_EENS4_IKS5_S6_EEllS6_
                                        ; -- End function
	.set _ZN2at6native16triu_tril_kernelIblLb0ELi4ELb0EEEvNS_4cuda6detail10TensorInfoIT_T0_EENS4_IKS5_S6_EEllS6_.num_vgpr, 28
	.set _ZN2at6native16triu_tril_kernelIblLb0ELi4ELb0EEEvNS_4cuda6detail10TensorInfoIT_T0_EENS4_IKS5_S6_EEllS6_.num_agpr, 0
	.set _ZN2at6native16triu_tril_kernelIblLb0ELi4ELb0EEEvNS_4cuda6detail10TensorInfoIT_T0_EENS4_IKS5_S6_EEllS6_.numbered_sgpr, 72
	.set _ZN2at6native16triu_tril_kernelIblLb0ELi4ELb0EEEvNS_4cuda6detail10TensorInfoIT_T0_EENS4_IKS5_S6_EEllS6_.num_named_barrier, 0
	.set _ZN2at6native16triu_tril_kernelIblLb0ELi4ELb0EEEvNS_4cuda6detail10TensorInfoIT_T0_EENS4_IKS5_S6_EEllS6_.private_seg_size, 0
	.set _ZN2at6native16triu_tril_kernelIblLb0ELi4ELb0EEEvNS_4cuda6detail10TensorInfoIT_T0_EENS4_IKS5_S6_EEllS6_.uses_vcc, 1
	.set _ZN2at6native16triu_tril_kernelIblLb0ELi4ELb0EEEvNS_4cuda6detail10TensorInfoIT_T0_EENS4_IKS5_S6_EEllS6_.uses_flat_scratch, 0
	.set _ZN2at6native16triu_tril_kernelIblLb0ELi4ELb0EEEvNS_4cuda6detail10TensorInfoIT_T0_EENS4_IKS5_S6_EEllS6_.has_dyn_sized_stack, 0
	.set _ZN2at6native16triu_tril_kernelIblLb0ELi4ELb0EEEvNS_4cuda6detail10TensorInfoIT_T0_EENS4_IKS5_S6_EEllS6_.has_recursion, 0
	.set _ZN2at6native16triu_tril_kernelIblLb0ELi4ELb0EEEvNS_4cuda6detail10TensorInfoIT_T0_EENS4_IKS5_S6_EEllS6_.has_indirect_call, 0
	.section	.AMDGPU.csdata,"",@progbits
; Kernel info:
; codeLenInByte = 7056
; TotalNumSgprs: 74
; NumVgprs: 28
; ScratchSize: 0
; MemoryBound: 0
; FloatMode: 240
; IeeeMode: 1
; LDSByteSize: 0 bytes/workgroup (compile time only)
; SGPRBlocks: 0
; VGPRBlocks: 3
; NumSGPRsForWavesPerEU: 74
; NumVGPRsForWavesPerEU: 28
; Occupancy: 16
; WaveLimiterHint : 0
; COMPUTE_PGM_RSRC2:SCRATCH_EN: 0
; COMPUTE_PGM_RSRC2:USER_SGPR: 2
; COMPUTE_PGM_RSRC2:TRAP_HANDLER: 0
; COMPUTE_PGM_RSRC2:TGID_X_EN: 1
; COMPUTE_PGM_RSRC2:TGID_Y_EN: 0
; COMPUTE_PGM_RSRC2:TGID_Z_EN: 0
; COMPUTE_PGM_RSRC2:TIDIG_COMP_CNT: 0
	.section	.text._ZN2at6native16triu_tril_kernelIhiLb1ELi4ELb1EEEvNS_4cuda6detail10TensorInfoIT_T0_EENS4_IKS5_S6_EEllS6_,"axG",@progbits,_ZN2at6native16triu_tril_kernelIhiLb1ELi4ELb1EEEvNS_4cuda6detail10TensorInfoIT_T0_EENS4_IKS5_S6_EEllS6_,comdat
	.protected	_ZN2at6native16triu_tril_kernelIhiLb1ELi4ELb1EEEvNS_4cuda6detail10TensorInfoIT_T0_EENS4_IKS5_S6_EEllS6_ ; -- Begin function _ZN2at6native16triu_tril_kernelIhiLb1ELi4ELb1EEEvNS_4cuda6detail10TensorInfoIT_T0_EENS4_IKS5_S6_EEllS6_
	.globl	_ZN2at6native16triu_tril_kernelIhiLb1ELi4ELb1EEEvNS_4cuda6detail10TensorInfoIT_T0_EENS4_IKS5_S6_EEllS6_
	.p2align	8
	.type	_ZN2at6native16triu_tril_kernelIhiLb1ELi4ELb1EEEvNS_4cuda6detail10TensorInfoIT_T0_EENS4_IKS5_S6_EEllS6_,@function
_ZN2at6native16triu_tril_kernelIhiLb1ELi4ELb1EEEvNS_4cuda6detail10TensorInfoIT_T0_EENS4_IKS5_S6_EEllS6_: ; @_ZN2at6native16triu_tril_kernelIhiLb1ELi4ELb1EEEvNS_4cuda6detail10TensorInfoIT_T0_EENS4_IKS5_S6_EEllS6_
; %bb.0:
	s_clause 0x1
	s_load_b32 s2, s[0:1], 0x1d4
	s_load_b128 s[4:7], s[0:1], 0x1b0
	v_mov_b32_e32 v2, 0
	s_mov_b32 s3, exec_lo
	s_delay_alu instid0(VALU_DEP_1)
	v_mov_b32_e32 v1, v2
	s_wait_kmcnt 0x0
	s_and_b32 s2, s2, 0xffff
	s_delay_alu instid0(VALU_DEP_1) | instid1(SALU_CYCLE_1)
	v_mad_co_u64_u32 v[0:1], null, s2, ttmp9, v[0:1]
	s_delay_alu instid0(VALU_DEP_1) | instskip(NEXT) | instid1(VALU_DEP_1)
	v_lshlrev_b64_e32 v[0:1], 2, v[0:1]
	v_cmpx_gt_i64_e64 s[6:7], v[0:1]
	s_cbranch_execz .LBB52_66
; %bb.1:
	s_clause 0x1
	s_load_b32 s20, s[0:1], 0x1a8
	s_load_b32 s8, s[0:1], 0x1c0
	s_add_nc_u64 s[12:13], s[0:1], 0x1c8
	s_add_nc_u64 s[10:11], s[0:1], 0xd8
	s_load_b32 s3, s[12:13], 0x0
	s_mov_b32 s19, 0
	s_mov_b32 s57, 0
	s_wait_kmcnt 0x0
	s_ashr_i32 s21, s20, 31
	v_cvt_f32_u32_e32 v3, s8
	s_lshl_b64 s[22:23], s[20:21], 2
	s_add_co_i32 s9, s20, 6
	s_add_nc_u64 s[12:13], s[10:11], s[22:23]
	s_mul_i32 s3, s3, s2
	s_clause 0x1
	s_load_b32 s14, s[12:13], 0x0
	s_load_b64 s[16:17], s[0:1], 0x0
	v_rcp_iflag_f32_e32 v3, v3
	s_and_b32 s18, s20, 7
	s_add_co_i32 s33, s20, -3
	s_and_b32 s52, s9, 7
	s_lshl_b32 s53, s3, 2
	s_ashr_i32 s9, s8, 31
	v_cmp_gt_i64_e64 s56, s[20:21], 2
	s_add_nc_u64 s[20:21], s[0:1], s[22:23]
	s_wait_kmcnt 0x0
	v_cvt_f32_u32_e32 v4, s14
	s_ashr_i32 s15, s14, 31
	s_cmp_lg_u32 s18, 2
	s_cselect_b32 s54, -1, 0
	s_delay_alu instid0(VALU_DEP_1)
	v_rcp_iflag_f32_e32 v4, v4
	v_mul_f32_e32 v3, 0x4f7ffffe, v3
	s_cmp_gt_u32 s33, 6
	s_cselect_b32 s55, -1, 0
	s_sub_co_i32 s2, 0, s8
	s_wait_alu 0xfffe
	s_ashr_i32 s22, s9, 31
	s_ashr_i32 s24, s15, 31
	s_delay_alu instid0(TRANS32_DEP_1) | instskip(SKIP_1) | instid1(VALU_DEP_2)
	v_mul_f32_e32 v4, 0x4f7ffffe, v4
	v_cvt_u32_f32_e32 v3, v3
	v_cvt_u32_f32_e32 v24, v4
	s_delay_alu instid0(VALU_DEP_2) | instskip(NEXT) | instid1(VALU_DEP_1)
	v_mul_lo_u32 v5, s2, v3
	v_mul_hi_u32 v5, v3, v5
	s_delay_alu instid0(VALU_DEP_1)
	v_add_nc_u32_e32 v25, v3, v5
	s_branch .LBB52_3
.LBB52_2:                               ;   in Loop: Header=BB52_3 Depth=1
	s_wait_alu 0xfffe
	s_or_b32 exec_lo, exec_lo, s23
	v_add_co_u32 v0, vcc_lo, v0, s53
	s_wait_alu 0xfffd
	v_add_co_ci_u32_e64 v1, null, 0, v1, vcc_lo
	s_delay_alu instid0(VALU_DEP_1) | instskip(SKIP_1) | instid1(SALU_CYCLE_1)
	v_cmp_le_i64_e32 vcc_lo, s[6:7], v[0:1]
	s_or_b32 s57, vcc_lo, s57
	s_and_not1_b32 exec_lo, exec_lo, s57
	s_cbranch_execz .LBB52_66
.LBB52_3:                               ; =>This Loop Header: Depth=1
                                        ;     Child Loop BB52_16 Depth 2
                                        ;     Child Loop BB52_22 Depth 2
	v_or_b32_e32 v3, s9, v1
                                        ; implicit-def: $vgpr4_vgpr5
	s_mov_b32 s2, exec_lo
	s_delay_alu instid0(VALU_DEP_1)
	v_cmpx_ne_u64_e32 0, v[2:3]
	s_wait_alu 0xfffe
	s_xor_b32 s3, exec_lo, s2
	s_cbranch_execz .LBB52_5
; %bb.4:                                ;   in Loop: Header=BB52_3 Depth=1
	s_mov_b32 s23, s22
	v_ashrrev_i32_e32 v9, 31, v1
	s_wait_alu 0xfffe
	s_add_nc_u64 s[26:27], s[8:9], s[22:23]
	s_wait_alu 0xfffe
	s_xor_b64 s[26:27], s[26:27], s[22:23]
	v_add_co_u32 v3, vcc_lo, v0, v9
	s_wait_alu 0xfffe
	s_cvt_f32_u32 s2, s26
	s_cvt_f32_u32 s18, s27
	s_sub_nc_u64 s[30:31], 0, s[26:27]
	s_wait_alu 0xfffd
	v_add_co_ci_u32_e64 v4, null, v1, v9, vcc_lo
	s_wait_alu 0xfffe
	s_fmamk_f32 s2, s18, 0x4f800000, s2
	v_xor_b32_e32 v10, v3, v9
	s_delay_alu instid0(VALU_DEP_2) | instskip(SKIP_2) | instid1(TRANS32_DEP_1)
	v_xor_b32_e32 v11, v4, v9
	s_wait_alu 0xfffe
	v_s_rcp_f32 s2, s2
	s_mul_f32 s2, s2, 0x5f7ffffc
	s_wait_alu 0xfffe
	s_delay_alu instid0(SALU_CYCLE_2) | instskip(SKIP_1) | instid1(SALU_CYCLE_2)
	s_mul_f32 s18, s2, 0x2f800000
	s_wait_alu 0xfffe
	s_trunc_f32 s18, s18
	s_wait_alu 0xfffe
	s_delay_alu instid0(SALU_CYCLE_2) | instskip(SKIP_2) | instid1(SALU_CYCLE_1)
	s_fmamk_f32 s2, s18, 0xcf800000, s2
	s_cvt_u32_f32 s29, s18
	s_wait_alu 0xfffe
	s_cvt_u32_f32 s28, s2
	s_wait_alu 0xfffe
	s_delay_alu instid0(SALU_CYCLE_2)
	s_mul_u64 s[34:35], s[30:31], s[28:29]
	s_wait_alu 0xfffe
	s_mul_hi_u32 s37, s28, s35
	s_mul_i32 s36, s28, s35
	s_mul_hi_u32 s18, s28, s34
	s_mul_i32 s23, s29, s34
	s_wait_alu 0xfffe
	s_add_nc_u64 s[36:37], s[18:19], s[36:37]
	s_mul_hi_u32 s2, s29, s34
	s_mul_hi_u32 s25, s29, s35
	s_wait_alu 0xfffe
	s_add_co_u32 s18, s36, s23
	s_add_co_ci_u32 s18, s37, s2
	s_mul_i32 s34, s29, s35
	s_add_co_ci_u32 s35, s25, 0
	s_wait_alu 0xfffe
	s_add_nc_u64 s[34:35], s[18:19], s[34:35]
	s_wait_alu 0xfffe
	s_add_co_u32 s28, s28, s34
	s_cselect_b32 s2, -1, 0
	s_wait_alu 0xfffe
	s_cmp_lg_u32 s2, 0
	s_add_co_ci_u32 s29, s29, s35
	s_wait_alu 0xfffe
	s_mul_u64 s[30:31], s[30:31], s[28:29]
	s_wait_alu 0xfffe
	s_mul_hi_u32 s35, s28, s31
	s_mul_i32 s34, s28, s31
	s_mul_hi_u32 s18, s28, s30
	s_mul_i32 s23, s29, s30
	s_wait_alu 0xfffe
	s_add_nc_u64 s[34:35], s[18:19], s[34:35]
	s_mul_hi_u32 s2, s29, s30
	s_mul_hi_u32 s25, s29, s31
	s_wait_alu 0xfffe
	s_add_co_u32 s18, s34, s23
	s_add_co_ci_u32 s18, s35, s2
	s_mul_i32 s30, s29, s31
	s_add_co_ci_u32 s31, s25, 0
	s_wait_alu 0xfffe
	s_add_nc_u64 s[30:31], s[18:19], s[30:31]
	s_wait_alu 0xfffe
	s_add_co_u32 s2, s28, s30
	s_cselect_b32 s18, -1, 0
	s_wait_alu 0xfffe
	v_mul_hi_u32 v12, v10, s2
	s_cmp_lg_u32 s18, 0
	v_mad_co_u64_u32 v[5:6], null, v11, s2, 0
	s_add_co_ci_u32 s18, s29, s31
	s_wait_alu 0xfffe
	v_mad_co_u64_u32 v[3:4], null, v10, s18, 0
	v_mad_co_u64_u32 v[7:8], null, v11, s18, 0
	s_delay_alu instid0(VALU_DEP_2) | instskip(SKIP_1) | instid1(VALU_DEP_3)
	v_add_co_u32 v3, vcc_lo, v12, v3
	s_wait_alu 0xfffd
	v_add_co_ci_u32_e64 v4, null, 0, v4, vcc_lo
	s_delay_alu instid0(VALU_DEP_2) | instskip(SKIP_1) | instid1(VALU_DEP_2)
	v_add_co_u32 v3, vcc_lo, v3, v5
	s_wait_alu 0xfffd
	v_add_co_ci_u32_e32 v3, vcc_lo, v4, v6, vcc_lo
	s_wait_alu 0xfffd
	v_add_co_ci_u32_e32 v4, vcc_lo, 0, v8, vcc_lo
	s_delay_alu instid0(VALU_DEP_2) | instskip(SKIP_1) | instid1(VALU_DEP_2)
	v_add_co_u32 v5, vcc_lo, v3, v7
	s_wait_alu 0xfffd
	v_add_co_ci_u32_e64 v6, null, 0, v4, vcc_lo
	s_delay_alu instid0(VALU_DEP_2) | instskip(SKIP_1) | instid1(VALU_DEP_3)
	v_mul_lo_u32 v7, s27, v5
	v_mad_co_u64_u32 v[3:4], null, s26, v5, 0
	v_mul_lo_u32 v8, s26, v6
	s_delay_alu instid0(VALU_DEP_2) | instskip(NEXT) | instid1(VALU_DEP_2)
	v_sub_co_u32 v3, vcc_lo, v10, v3
	v_add3_u32 v4, v4, v8, v7
	v_add_co_u32 v8, s2, v5, 2
	s_wait_alu 0xf1ff
	v_add_co_ci_u32_e64 v10, null, 0, v6, s2
	s_delay_alu instid0(VALU_DEP_3) | instskip(SKIP_3) | instid1(VALU_DEP_3)
	v_sub_nc_u32_e32 v7, v11, v4
	v_sub_co_u32 v12, s2, v3, s26
	s_wait_alu 0xfffd
	v_sub_co_ci_u32_e64 v4, null, v11, v4, vcc_lo
	v_subrev_co_ci_u32_e64 v7, null, s27, v7, vcc_lo
	s_delay_alu instid0(VALU_DEP_3) | instskip(SKIP_1) | instid1(VALU_DEP_2)
	v_cmp_le_u32_e32 vcc_lo, s26, v12
	s_wait_alu 0xf1ff
	v_subrev_co_ci_u32_e64 v7, null, 0, v7, s2
	s_wait_alu 0xfffd
	v_cndmask_b32_e64 v11, 0, -1, vcc_lo
	s_delay_alu instid0(VALU_DEP_2)
	v_cmp_le_u32_e32 vcc_lo, s27, v7
	s_wait_alu 0xfffd
	v_cndmask_b32_e64 v12, 0, -1, vcc_lo
	v_cmp_le_u32_e32 vcc_lo, s26, v3
	s_wait_alu 0xfffd
	v_cndmask_b32_e64 v3, 0, -1, vcc_lo
	;; [unrolled: 3-line block ×3, first 2 shown]
	v_cmp_eq_u32_e32 vcc_lo, s27, v7
	s_wait_alu 0xfffd
	v_cndmask_b32_e32 v7, v12, v11, vcc_lo
	v_add_co_u32 v11, vcc_lo, v5, 1
	s_wait_alu 0xfffd
	v_add_co_ci_u32_e64 v12, null, 0, v6, vcc_lo
	v_cmp_eq_u32_e32 vcc_lo, s27, v4
	s_wait_alu 0xfffd
	v_cndmask_b32_e32 v3, v13, v3, vcc_lo
	v_cmp_ne_u32_e32 vcc_lo, 0, v7
	v_xor_b32_e32 v7, s22, v9
	s_wait_alu 0xfffd
	v_cndmask_b32_e32 v4, v12, v10, vcc_lo
	v_cmp_ne_u32_e64 s2, 0, v3
	v_cndmask_b32_e32 v3, v11, v8, vcc_lo
	s_wait_alu 0xf1ff
	s_delay_alu instid0(VALU_DEP_2) | instskip(NEXT) | instid1(VALU_DEP_2)
	v_cndmask_b32_e64 v4, v6, v4, s2
	v_cndmask_b32_e64 v3, v5, v3, s2
	s_delay_alu instid0(VALU_DEP_2) | instskip(NEXT) | instid1(VALU_DEP_2)
	v_xor_b32_e32 v5, v4, v7
	v_xor_b32_e32 v3, v3, v7
	s_delay_alu instid0(VALU_DEP_1) | instskip(SKIP_1) | instid1(VALU_DEP_3)
	v_sub_co_u32 v4, vcc_lo, v3, v7
	s_wait_alu 0xfffd
	v_sub_co_ci_u32_e64 v5, null, v5, v7, vcc_lo
.LBB52_5:                               ;   in Loop: Header=BB52_3 Depth=1
	s_wait_alu 0xfffe
	s_and_not1_saveexec_b32 s2, s3
	s_cbranch_execz .LBB52_7
; %bb.6:                                ;   in Loop: Header=BB52_3 Depth=1
	v_mul_hi_u32 v3, v0, v25
	s_delay_alu instid0(VALU_DEP_1) | instskip(NEXT) | instid1(VALU_DEP_1)
	v_mul_lo_u32 v4, v3, s8
	v_sub_nc_u32_e32 v4, v0, v4
	s_delay_alu instid0(VALU_DEP_1) | instskip(SKIP_2) | instid1(VALU_DEP_2)
	v_subrev_nc_u32_e32 v6, s8, v4
	v_cmp_le_u32_e32 vcc_lo, s8, v4
	s_wait_alu 0xfffd
	v_dual_cndmask_b32 v4, v4, v6 :: v_dual_add_nc_u32 v5, 1, v3
	s_delay_alu instid0(VALU_DEP_1) | instskip(NEXT) | instid1(VALU_DEP_2)
	v_cndmask_b32_e32 v3, v3, v5, vcc_lo
	v_cmp_le_u32_e32 vcc_lo, s8, v4
	s_delay_alu instid0(VALU_DEP_2) | instskip(SKIP_1) | instid1(VALU_DEP_1)
	v_add_nc_u32_e32 v5, 1, v3
	s_wait_alu 0xfffd
	v_dual_cndmask_b32 v4, v3, v5 :: v_dual_mov_b32 v5, v2
.LBB52_7:                               ;   in Loop: Header=BB52_3 Depth=1
	s_wait_alu 0xfffe
	s_or_b32 exec_lo, exec_lo, s2
	s_delay_alu instid0(VALU_DEP_1) | instskip(SKIP_1) | instid1(VALU_DEP_1)
	v_or_b32_e32 v3, s15, v5
                                        ; implicit-def: $vgpr6_vgpr7
	s_mov_b32 s2, exec_lo
	v_cmpx_ne_u64_e32 0, v[2:3]
	s_wait_alu 0xfffe
	s_xor_b32 s3, exec_lo, s2
	s_cbranch_execz .LBB52_9
; %bb.8:                                ;   in Loop: Header=BB52_3 Depth=1
	s_mov_b32 s25, s24
	v_ashrrev_i32_e32 v3, 31, v5
	s_wait_alu 0xfffe
	s_add_nc_u64 s[26:27], s[14:15], s[24:25]
	s_wait_alu 0xfffe
	s_xor_b64 s[26:27], s[26:27], s[24:25]
	v_add_co_u32 v6, vcc_lo, v4, v3
	s_wait_alu 0xfffe
	s_cvt_f32_u32 s2, s26
	s_cvt_f32_u32 s18, s27
	s_sub_nc_u64 s[30:31], 0, s[26:27]
	s_wait_alu 0xfffd
	v_add_co_ci_u32_e64 v5, null, v5, v3, vcc_lo
	s_wait_alu 0xfffe
	s_fmamk_f32 s2, s18, 0x4f800000, s2
	v_xor_b32_e32 v11, v6, v3
	s_delay_alu instid0(VALU_DEP_2) | instskip(SKIP_3) | instid1(TRANS32_DEP_1)
	v_xor_b32_e32 v12, v5, v3
	s_wait_alu 0xfffe
	v_s_rcp_f32 s2, s2
	v_xor_b32_e32 v3, s24, v3
	s_mul_f32 s2, s2, 0x5f7ffffc
	s_wait_alu 0xfffe
	s_delay_alu instid0(SALU_CYCLE_2) | instskip(SKIP_1) | instid1(SALU_CYCLE_2)
	s_mul_f32 s18, s2, 0x2f800000
	s_wait_alu 0xfffe
	s_trunc_f32 s18, s18
	s_wait_alu 0xfffe
	s_delay_alu instid0(SALU_CYCLE_2) | instskip(SKIP_2) | instid1(SALU_CYCLE_1)
	s_fmamk_f32 s2, s18, 0xcf800000, s2
	s_cvt_u32_f32 s29, s18
	s_wait_alu 0xfffe
	s_cvt_u32_f32 s28, s2
	s_wait_alu 0xfffe
	s_delay_alu instid0(SALU_CYCLE_2)
	s_mul_u64 s[34:35], s[30:31], s[28:29]
	s_wait_alu 0xfffe
	s_mul_hi_u32 s37, s28, s35
	s_mul_i32 s36, s28, s35
	s_mul_hi_u32 s18, s28, s34
	s_mul_i32 s23, s29, s34
	s_wait_alu 0xfffe
	s_add_nc_u64 s[36:37], s[18:19], s[36:37]
	s_mul_hi_u32 s2, s29, s34
	s_mul_hi_u32 s25, s29, s35
	s_wait_alu 0xfffe
	s_add_co_u32 s18, s36, s23
	s_add_co_ci_u32 s18, s37, s2
	s_mul_i32 s34, s29, s35
	s_add_co_ci_u32 s35, s25, 0
	s_wait_alu 0xfffe
	s_add_nc_u64 s[34:35], s[18:19], s[34:35]
	s_wait_alu 0xfffe
	s_add_co_u32 s28, s28, s34
	s_cselect_b32 s2, -1, 0
	s_wait_alu 0xfffe
	s_cmp_lg_u32 s2, 0
	s_add_co_ci_u32 s29, s29, s35
	s_wait_alu 0xfffe
	s_mul_u64 s[30:31], s[30:31], s[28:29]
	s_wait_alu 0xfffe
	s_mul_hi_u32 s35, s28, s31
	s_mul_i32 s34, s28, s31
	s_mul_hi_u32 s18, s28, s30
	s_mul_i32 s23, s29, s30
	s_wait_alu 0xfffe
	s_add_nc_u64 s[34:35], s[18:19], s[34:35]
	s_mul_hi_u32 s2, s29, s30
	s_mul_hi_u32 s25, s29, s31
	s_wait_alu 0xfffe
	s_add_co_u32 s18, s34, s23
	s_add_co_ci_u32 s18, s35, s2
	s_mul_i32 s30, s29, s31
	s_add_co_ci_u32 s31, s25, 0
	s_wait_alu 0xfffe
	s_add_nc_u64 s[30:31], s[18:19], s[30:31]
	s_wait_alu 0xfffe
	s_add_co_u32 s2, s28, s30
	s_cselect_b32 s18, -1, 0
	s_wait_alu 0xfffe
	v_mul_hi_u32 v13, v11, s2
	s_cmp_lg_u32 s18, 0
	v_mad_co_u64_u32 v[7:8], null, v12, s2, 0
	s_add_co_ci_u32 s18, s29, s31
	s_wait_alu 0xfffe
	v_mad_co_u64_u32 v[5:6], null, v11, s18, 0
	v_mad_co_u64_u32 v[9:10], null, v12, s18, 0
	s_delay_alu instid0(VALU_DEP_2) | instskip(SKIP_1) | instid1(VALU_DEP_3)
	v_add_co_u32 v5, vcc_lo, v13, v5
	s_wait_alu 0xfffd
	v_add_co_ci_u32_e64 v6, null, 0, v6, vcc_lo
	s_delay_alu instid0(VALU_DEP_2) | instskip(SKIP_1) | instid1(VALU_DEP_2)
	v_add_co_u32 v5, vcc_lo, v5, v7
	s_wait_alu 0xfffd
	v_add_co_ci_u32_e32 v5, vcc_lo, v6, v8, vcc_lo
	s_wait_alu 0xfffd
	v_add_co_ci_u32_e32 v6, vcc_lo, 0, v10, vcc_lo
	s_delay_alu instid0(VALU_DEP_2) | instskip(SKIP_1) | instid1(VALU_DEP_2)
	v_add_co_u32 v7, vcc_lo, v5, v9
	s_wait_alu 0xfffd
	v_add_co_ci_u32_e64 v8, null, 0, v6, vcc_lo
	s_delay_alu instid0(VALU_DEP_2) | instskip(SKIP_1) | instid1(VALU_DEP_3)
	v_mul_lo_u32 v9, s27, v7
	v_mad_co_u64_u32 v[5:6], null, s26, v7, 0
	v_mul_lo_u32 v10, s26, v8
	s_delay_alu instid0(VALU_DEP_2) | instskip(NEXT) | instid1(VALU_DEP_2)
	v_sub_co_u32 v5, vcc_lo, v11, v5
	v_add3_u32 v6, v6, v10, v9
	v_add_co_u32 v10, s2, v7, 2
	s_wait_alu 0xf1ff
	v_add_co_ci_u32_e64 v11, null, 0, v8, s2
	s_delay_alu instid0(VALU_DEP_3) | instskip(SKIP_3) | instid1(VALU_DEP_3)
	v_sub_nc_u32_e32 v9, v12, v6
	v_sub_co_u32 v13, s2, v5, s26
	s_wait_alu 0xfffd
	v_sub_co_ci_u32_e64 v6, null, v12, v6, vcc_lo
	v_subrev_co_ci_u32_e64 v9, null, s27, v9, vcc_lo
	s_delay_alu instid0(VALU_DEP_3) | instskip(SKIP_1) | instid1(VALU_DEP_2)
	v_cmp_le_u32_e32 vcc_lo, s26, v13
	s_wait_alu 0xf1ff
	v_subrev_co_ci_u32_e64 v9, null, 0, v9, s2
	s_wait_alu 0xfffd
	v_cndmask_b32_e64 v12, 0, -1, vcc_lo
	s_delay_alu instid0(VALU_DEP_2)
	v_cmp_le_u32_e32 vcc_lo, s27, v9
	s_wait_alu 0xfffd
	v_cndmask_b32_e64 v13, 0, -1, vcc_lo
	v_cmp_le_u32_e32 vcc_lo, s26, v5
	s_wait_alu 0xfffd
	v_cndmask_b32_e64 v5, 0, -1, vcc_lo
	;; [unrolled: 3-line block ×3, first 2 shown]
	v_cmp_eq_u32_e32 vcc_lo, s27, v9
	s_wait_alu 0xfffd
	v_cndmask_b32_e32 v9, v13, v12, vcc_lo
	v_add_co_u32 v12, vcc_lo, v7, 1
	s_wait_alu 0xfffd
	v_add_co_ci_u32_e64 v13, null, 0, v8, vcc_lo
	v_cmp_eq_u32_e32 vcc_lo, s27, v6
	s_wait_alu 0xfffd
	v_cndmask_b32_e32 v5, v14, v5, vcc_lo
	v_cmp_ne_u32_e32 vcc_lo, 0, v9
	s_wait_alu 0xfffd
	v_cndmask_b32_e32 v6, v13, v11, vcc_lo
	s_delay_alu instid0(VALU_DEP_3) | instskip(SKIP_2) | instid1(VALU_DEP_2)
	v_cmp_ne_u32_e64 s2, 0, v5
	v_cndmask_b32_e32 v5, v12, v10, vcc_lo
	s_wait_alu 0xf1ff
	v_cndmask_b32_e64 v6, v8, v6, s2
	s_delay_alu instid0(VALU_DEP_2) | instskip(NEXT) | instid1(VALU_DEP_2)
	v_cndmask_b32_e64 v5, v7, v5, s2
	v_xor_b32_e32 v7, v6, v3
	s_delay_alu instid0(VALU_DEP_2) | instskip(NEXT) | instid1(VALU_DEP_1)
	v_xor_b32_e32 v5, v5, v3
	v_sub_co_u32 v6, vcc_lo, v5, v3
	s_wait_alu 0xfffd
	s_delay_alu instid0(VALU_DEP_3)
	v_sub_co_ci_u32_e64 v7, null, v7, v3, vcc_lo
.LBB52_9:                               ;   in Loop: Header=BB52_3 Depth=1
	s_wait_alu 0xfffe
	s_and_not1_saveexec_b32 s2, s3
	s_cbranch_execz .LBB52_11
; %bb.10:                               ;   in Loop: Header=BB52_3 Depth=1
	s_sub_co_i32 s3, 0, s14
	s_wait_alu 0xfffe
	v_mul_lo_u32 v3, s3, v24
	s_delay_alu instid0(VALU_DEP_1) | instskip(NEXT) | instid1(VALU_DEP_1)
	v_mul_hi_u32 v3, v24, v3
	v_add_nc_u32_e32 v3, v24, v3
	s_delay_alu instid0(VALU_DEP_1) | instskip(NEXT) | instid1(VALU_DEP_1)
	v_mul_hi_u32 v3, v4, v3
	v_mul_lo_u32 v5, v3, s14
	v_add_nc_u32_e32 v6, 1, v3
	s_delay_alu instid0(VALU_DEP_2) | instskip(NEXT) | instid1(VALU_DEP_1)
	v_sub_nc_u32_e32 v5, v4, v5
	v_subrev_nc_u32_e32 v7, s14, v5
	v_cmp_le_u32_e32 vcc_lo, s14, v5
	s_wait_alu 0xfffd
	s_delay_alu instid0(VALU_DEP_2) | instskip(SKIP_2) | instid1(VALU_DEP_3)
	v_cndmask_b32_e32 v5, v5, v7, vcc_lo
	v_mov_b32_e32 v7, v2
	v_cndmask_b32_e32 v3, v3, v6, vcc_lo
	v_cmp_le_u32_e32 vcc_lo, s14, v5
	s_delay_alu instid0(VALU_DEP_2) | instskip(SKIP_1) | instid1(VALU_DEP_1)
	v_add_nc_u32_e32 v6, 1, v3
	s_wait_alu 0xfffd
	v_cndmask_b32_e32 v6, v3, v6, vcc_lo
.LBB52_11:                              ;   in Loop: Header=BB52_3 Depth=1
	s_wait_alu 0xfffe
	s_or_b32 exec_lo, exec_lo, s2
	v_mad_co_u64_u32 v[8:9], null, v4, s8, 0
	s_delay_alu instid0(VALU_DEP_2) | instskip(SKIP_3) | instid1(VALU_DEP_1)
	v_mad_co_u64_u32 v[9:10], null, v6, s14, 0
	s_mov_b32 s23, exec_lo
	v_sub_co_u32 v27, null, v0, v8
	v_sub_co_u32 v26, null, v4, v9
	v_sub_nc_u32_e32 v3, v27, v26
	s_delay_alu instid0(VALU_DEP_1) | instskip(NEXT) | instid1(VALU_DEP_1)
	v_ashrrev_i32_e32 v4, 31, v3
	v_cmpx_gt_i64_e64 s[4:5], v[3:4]
	s_cbranch_execz .LBB52_2
; %bb.12:                               ;   in Loop: Header=BB52_3 Depth=1
	s_load_b64 s[2:3], s[20:21], 0x64
	s_and_not1_b32 vcc_lo, exec_lo, s56
	s_wait_kmcnt 0x0
	v_mul_lo_u32 v3, s3, v27
	s_delay_alu instid0(VALU_DEP_1)
	v_mad_co_u64_u32 v[4:5], null, s2, v26, v[3:4]
	s_wait_alu 0xfffe
	s_cbranch_vccnz .LBB52_56
; %bb.13:                               ;   in Loop: Header=BB52_3 Depth=1
	s_mov_b32 s25, s52
	s_and_not1_b32 vcc_lo, exec_lo, s54
	s_mov_b32 s18, s33
	s_mov_b32 s2, s33
	s_wait_alu 0xfffe
	s_cbranch_vccz .LBB52_16
; %bb.14:                               ;   in Loop: Header=BB52_3 Depth=1
	s_and_not1_b32 vcc_lo, exec_lo, s55
	s_wait_alu 0xfffe
	s_cbranch_vccz .LBB52_21
	s_branch .LBB52_56
.LBB52_15:                              ;   in Loop: Header=BB52_16 Depth=2
	s_wait_alu 0xfffe
	s_or_b32 exec_lo, exec_lo, s2
	s_add_nc_u64 s[26:27], s[0:1], s[26:27]
	v_mul_lo_u32 v3, v8, s28
	s_load_b32 s2, s[26:27], 0x6c
	s_add_co_i32 s25, s25, -1
	s_add_co_i32 s18, s18, -1
	s_wait_alu 0xfffe
	s_cmp_lg_u32 s25, 0
	s_delay_alu instid0(VALU_DEP_1) | instskip(SKIP_2) | instid1(VALU_DEP_2)
	v_sub_nc_u32_e32 v3, v6, v3
	v_dual_mov_b32 v6, v8 :: v_dual_mov_b32 v7, v9
	s_wait_kmcnt 0x0
	v_mad_co_u64_u32 v[4:5], null, s2, v3, v[4:5]
	s_cbranch_scc0 .LBB52_20
.LBB52_16:                              ;   Parent Loop BB52_3 Depth=1
                                        ; =>  This Inner Loop Header: Depth=2
	s_lshl_b64 s[26:27], s[18:19], 2
                                        ; implicit-def: $vgpr8_vgpr9
	s_mov_b32 s2, exec_lo
	s_wait_alu 0xfffe
	s_add_nc_u64 s[28:29], s[10:11], s[26:27]
	s_load_b32 s28, s[28:29], 0x8
	s_wait_kmcnt 0x0
	s_ashr_i32 s29, s28, 31
	s_wait_alu 0xfffe
	v_or_b32_e32 v3, s29, v7
	s_delay_alu instid0(VALU_DEP_1)
	v_cmpx_ne_u64_e32 0, v[2:3]
	s_xor_b32 s36, exec_lo, s2
	s_cbranch_execz .LBB52_18
; %bb.17:                               ;   in Loop: Header=BB52_16 Depth=2
	s_ashr_i32 s30, s29, 31
	s_mov_b32 s43, s19
	s_wait_alu 0xfffe
	s_mov_b32 s31, s30
	s_mov_b32 s47, s19
	s_wait_alu 0xfffe
	s_add_nc_u64 s[34:35], s[28:29], s[30:31]
	v_ashrrev_i32_e32 v3, 31, v7
	s_wait_alu 0xfffe
	s_xor_b64 s[34:35], s[34:35], s[30:31]
	s_wait_alu 0xfffe
	s_cvt_f32_u32 s2, s34
	s_cvt_f32_u32 s29, s35
	s_sub_nc_u64 s[40:41], 0, s[34:35]
	v_add_co_u32 v5, vcc_lo, v6, v3
	s_wait_alu 0xfffe
	s_fmamk_f32 s2, s29, 0x4f800000, s2
	s_wait_alu 0xfffd
	v_add_co_ci_u32_e64 v7, null, v7, v3, vcc_lo
	v_xor_b32_e32 v5, v5, v3
	s_wait_alu 0xfffe
	v_s_rcp_f32 s2, s2
	s_delay_alu instid0(VALU_DEP_2) | instskip(SKIP_1) | instid1(TRANS32_DEP_1)
	v_xor_b32_e32 v13, v7, v3
	v_xor_b32_e32 v3, s30, v3
	s_mul_f32 s2, s2, 0x5f7ffffc
	s_wait_alu 0xfffe
	s_delay_alu instid0(SALU_CYCLE_2) | instskip(SKIP_1) | instid1(SALU_CYCLE_2)
	s_mul_f32 s29, s2, 0x2f800000
	s_wait_alu 0xfffe
	s_trunc_f32 s29, s29
	s_wait_alu 0xfffe
	s_delay_alu instid0(SALU_CYCLE_2) | instskip(SKIP_2) | instid1(SALU_CYCLE_1)
	s_fmamk_f32 s2, s29, 0xcf800000, s2
	s_cvt_u32_f32 s39, s29
	s_wait_alu 0xfffe
	s_cvt_u32_f32 s38, s2
	s_wait_alu 0xfffe
	s_delay_alu instid0(SALU_CYCLE_2)
	s_mul_u64 s[44:45], s[40:41], s[38:39]
	s_wait_alu 0xfffe
	s_mul_hi_u32 s49, s38, s45
	s_mul_i32 s48, s38, s45
	s_mul_hi_u32 s42, s38, s44
	s_mul_i32 s29, s39, s44
	s_wait_alu 0xfffe
	s_add_nc_u64 s[42:43], s[42:43], s[48:49]
	s_mul_hi_u32 s2, s39, s44
	s_mul_hi_u32 s31, s39, s45
	s_wait_alu 0xfffe
	s_add_co_u32 s29, s42, s29
	s_add_co_ci_u32 s46, s43, s2
	s_mul_i32 s44, s39, s45
	s_add_co_ci_u32 s45, s31, 0
	s_wait_alu 0xfffe
	s_add_nc_u64 s[42:43], s[46:47], s[44:45]
	s_mov_b32 s45, s19
	s_wait_alu 0xfffe
	s_add_co_u32 s38, s38, s42
	s_cselect_b32 s2, -1, 0
	s_wait_alu 0xfffe
	s_cmp_lg_u32 s2, 0
	s_add_co_ci_u32 s39, s39, s43
	s_mov_b32 s43, s19
	s_wait_alu 0xfffe
	s_mul_u64 s[40:41], s[40:41], s[38:39]
	s_wait_alu 0xfffe
	s_mul_hi_u32 s47, s38, s41
	s_mul_i32 s46, s38, s41
	s_mul_hi_u32 s44, s38, s40
	s_mul_i32 s29, s39, s40
	s_wait_alu 0xfffe
	s_add_nc_u64 s[44:45], s[44:45], s[46:47]
	s_mul_hi_u32 s2, s39, s40
	s_mul_hi_u32 s31, s39, s41
	s_wait_alu 0xfffe
	s_add_co_u32 s29, s44, s29
	s_add_co_ci_u32 s42, s45, s2
	s_mul_i32 s40, s39, s41
	s_add_co_ci_u32 s41, s31, 0
	s_wait_alu 0xfffe
	s_add_nc_u64 s[40:41], s[42:43], s[40:41]
	s_wait_alu 0xfffe
	s_add_co_u32 s2, s38, s40
	s_cselect_b32 s29, -1, 0
	s_wait_alu 0xfffe
	v_mul_hi_u32 v14, v5, s2
	s_cmp_lg_u32 s29, 0
	v_mad_co_u64_u32 v[9:10], null, v13, s2, 0
	s_add_co_ci_u32 s29, s39, s41
	s_wait_alu 0xfffe
	v_mad_co_u64_u32 v[7:8], null, v5, s29, 0
	v_mad_co_u64_u32 v[11:12], null, v13, s29, 0
	s_delay_alu instid0(VALU_DEP_2) | instskip(SKIP_1) | instid1(VALU_DEP_3)
	v_add_co_u32 v7, vcc_lo, v14, v7
	s_wait_alu 0xfffd
	v_add_co_ci_u32_e64 v8, null, 0, v8, vcc_lo
	s_delay_alu instid0(VALU_DEP_2) | instskip(SKIP_1) | instid1(VALU_DEP_2)
	v_add_co_u32 v7, vcc_lo, v7, v9
	s_wait_alu 0xfffd
	v_add_co_ci_u32_e32 v7, vcc_lo, v8, v10, vcc_lo
	s_wait_alu 0xfffd
	v_add_co_ci_u32_e32 v8, vcc_lo, 0, v12, vcc_lo
	s_delay_alu instid0(VALU_DEP_2) | instskip(SKIP_1) | instid1(VALU_DEP_2)
	v_add_co_u32 v9, vcc_lo, v7, v11
	s_wait_alu 0xfffd
	v_add_co_ci_u32_e64 v10, null, 0, v8, vcc_lo
	s_delay_alu instid0(VALU_DEP_2) | instskip(SKIP_1) | instid1(VALU_DEP_3)
	v_mul_lo_u32 v11, s35, v9
	v_mad_co_u64_u32 v[7:8], null, s34, v9, 0
	v_mul_lo_u32 v12, s34, v10
	s_delay_alu instid0(VALU_DEP_2) | instskip(NEXT) | instid1(VALU_DEP_2)
	v_sub_co_u32 v5, vcc_lo, v5, v7
	v_add3_u32 v8, v8, v12, v11
	s_delay_alu instid0(VALU_DEP_1) | instskip(SKIP_2) | instid1(VALU_DEP_2)
	v_sub_nc_u32_e32 v11, v13, v8
	s_wait_alu 0xfffd
	v_sub_co_ci_u32_e64 v8, null, v13, v8, vcc_lo
	v_subrev_co_ci_u32_e64 v7, null, s35, v11, vcc_lo
	v_add_co_u32 v11, s2, v9, 2
	s_wait_alu 0xf1ff
	v_add_co_ci_u32_e64 v12, null, 0, v10, s2
	v_sub_co_u32 v14, s2, v5, s34
	s_wait_alu 0xf1ff
	v_subrev_co_ci_u32_e64 v7, null, 0, v7, s2
	s_delay_alu instid0(VALU_DEP_2) | instskip(SKIP_2) | instid1(VALU_DEP_3)
	v_cmp_le_u32_e32 vcc_lo, s34, v14
	s_wait_alu 0xfffd
	v_cndmask_b32_e64 v13, 0, -1, vcc_lo
	v_cmp_le_u32_e32 vcc_lo, s35, v7
	s_wait_alu 0xfffd
	v_cndmask_b32_e64 v14, 0, -1, vcc_lo
	;; [unrolled: 3-line block ×4, first 2 shown]
	v_cmp_eq_u32_e32 vcc_lo, s35, v7
	s_wait_alu 0xfffd
	v_cndmask_b32_e32 v7, v14, v13, vcc_lo
	v_add_co_u32 v13, vcc_lo, v9, 1
	s_wait_alu 0xfffd
	v_add_co_ci_u32_e64 v14, null, 0, v10, vcc_lo
	v_cmp_eq_u32_e32 vcc_lo, s35, v8
	s_wait_alu 0xfffd
	v_cndmask_b32_e32 v5, v15, v5, vcc_lo
	v_cmp_ne_u32_e32 vcc_lo, 0, v7
	s_delay_alu instid0(VALU_DEP_2) | instskip(SKIP_4) | instid1(VALU_DEP_2)
	v_cmp_ne_u32_e64 s2, 0, v5
	s_wait_alu 0xfffd
	v_cndmask_b32_e32 v5, v13, v11, vcc_lo
	v_cndmask_b32_e32 v7, v14, v12, vcc_lo
	s_wait_alu 0xf1ff
	v_cndmask_b32_e64 v5, v9, v5, s2
	s_delay_alu instid0(VALU_DEP_2) | instskip(NEXT) | instid1(VALU_DEP_2)
	v_cndmask_b32_e64 v7, v10, v7, s2
	v_xor_b32_e32 v5, v5, v3
	s_delay_alu instid0(VALU_DEP_2) | instskip(NEXT) | instid1(VALU_DEP_2)
	v_xor_b32_e32 v7, v7, v3
	v_sub_co_u32 v8, vcc_lo, v5, v3
	s_wait_alu 0xfffd
	s_delay_alu instid0(VALU_DEP_2)
	v_sub_co_ci_u32_e64 v9, null, v7, v3, vcc_lo
.LBB52_18:                              ;   in Loop: Header=BB52_16 Depth=2
	s_wait_alu 0xfffe
	s_and_not1_saveexec_b32 s2, s36
	s_cbranch_execz .LBB52_15
; %bb.19:                               ;   in Loop: Header=BB52_16 Depth=2
	v_cvt_f32_u32_e32 v3, s28
	s_sub_co_i32 s29, 0, s28
	v_mov_b32_e32 v9, v2
	s_delay_alu instid0(VALU_DEP_2) | instskip(NEXT) | instid1(TRANS32_DEP_1)
	v_rcp_iflag_f32_e32 v3, v3
	v_mul_f32_e32 v3, 0x4f7ffffe, v3
	s_delay_alu instid0(VALU_DEP_1) | instskip(SKIP_1) | instid1(VALU_DEP_1)
	v_cvt_u32_f32_e32 v3, v3
	s_wait_alu 0xfffe
	v_mul_lo_u32 v5, s29, v3
	s_delay_alu instid0(VALU_DEP_1) | instskip(NEXT) | instid1(VALU_DEP_1)
	v_mul_hi_u32 v5, v3, v5
	v_add_nc_u32_e32 v3, v3, v5
	s_delay_alu instid0(VALU_DEP_1) | instskip(NEXT) | instid1(VALU_DEP_1)
	v_mul_hi_u32 v3, v6, v3
	v_mul_lo_u32 v5, v3, s28
	v_add_nc_u32_e32 v7, 1, v3
	s_delay_alu instid0(VALU_DEP_2) | instskip(NEXT) | instid1(VALU_DEP_1)
	v_sub_nc_u32_e32 v5, v6, v5
	v_cmp_le_u32_e32 vcc_lo, s28, v5
	v_subrev_nc_u32_e32 v8, s28, v5
	s_wait_alu 0xfffd
	v_cndmask_b32_e32 v3, v3, v7, vcc_lo
	s_delay_alu instid0(VALU_DEP_1) | instskip(NEXT) | instid1(VALU_DEP_3)
	v_add_nc_u32_e32 v7, 1, v3
	v_cndmask_b32_e32 v5, v5, v8, vcc_lo
	s_delay_alu instid0(VALU_DEP_1) | instskip(SKIP_1) | instid1(VALU_DEP_3)
	v_cmp_le_u32_e32 vcc_lo, s28, v5
	s_wait_alu 0xfffd
	v_cndmask_b32_e32 v8, v3, v7, vcc_lo
	s_branch .LBB52_15
.LBB52_20:                              ;   in Loop: Header=BB52_3 Depth=1
	s_mov_b32 s2, s18
	s_and_not1_b32 vcc_lo, exec_lo, s55
	s_wait_alu 0xfffe
	s_cbranch_vccnz .LBB52_56
.LBB52_21:                              ;   in Loop: Header=BB52_3 Depth=1
	s_add_co_i32 s26, s2, -7
.LBB52_22:                              ;   Parent Loop BB52_3 Depth=1
                                        ; =>  This Inner Loop Header: Depth=2
	s_wait_alu 0xfffe
	s_add_co_i32 s18, s26, 7
                                        ; implicit-def: $vgpr8_vgpr9
	s_mov_b32 s2, exec_lo
	s_wait_alu 0xfffe
	s_lshl_b64 s[34:35], s[18:19], 2
	s_wait_alu 0xfffe
	s_add_nc_u64 s[28:29], s[10:11], s[34:35]
	s_load_b32 s28, s[28:29], 0x8
	s_wait_kmcnt 0x0
	s_ashr_i32 s29, s28, 31
	s_wait_alu 0xfffe
	v_or_b32_e32 v3, s29, v7
	s_delay_alu instid0(VALU_DEP_1)
	v_cmpx_ne_u64_e32 0, v[2:3]
	s_xor_b32 s25, exec_lo, s2
	s_cbranch_execz .LBB52_24
; %bb.23:                               ;   in Loop: Header=BB52_22 Depth=2
	s_ashr_i32 s30, s29, 31
	v_ashrrev_i32_e32 v3, 31, v7
	s_wait_alu 0xfffe
	s_mov_b32 s31, s30
	s_wait_alu 0xfffe
	s_add_nc_u64 s[36:37], s[28:29], s[30:31]
	v_add_co_u32 v5, vcc_lo, v6, v3
	s_wait_alu 0xfffe
	s_xor_b64 s[36:37], s[36:37], s[30:31]
	s_wait_alu 0xfffd
	v_add_co_ci_u32_e64 v7, null, v7, v3, vcc_lo
	s_wait_alu 0xfffe
	s_cvt_f32_u32 s2, s36
	s_cvt_f32_u32 s18, s37
	s_sub_nc_u64 s[40:41], 0, s[36:37]
	v_xor_b32_e32 v5, v5, v3
	v_xor_b32_e32 v13, v7, v3
	s_wait_alu 0xfffe
	s_fmamk_f32 s2, s18, 0x4f800000, s2
	v_xor_b32_e32 v3, s30, v3
	s_wait_alu 0xfffe
	s_delay_alu instid0(SALU_CYCLE_1) | instskip(NEXT) | instid1(TRANS32_DEP_1)
	v_s_rcp_f32 s2, s2
	s_mul_f32 s2, s2, 0x5f7ffffc
	s_wait_alu 0xfffe
	s_delay_alu instid0(SALU_CYCLE_2) | instskip(SKIP_1) | instid1(SALU_CYCLE_2)
	s_mul_f32 s18, s2, 0x2f800000
	s_wait_alu 0xfffe
	s_trunc_f32 s18, s18
	s_wait_alu 0xfffe
	s_delay_alu instid0(SALU_CYCLE_2) | instskip(SKIP_2) | instid1(SALU_CYCLE_1)
	s_fmamk_f32 s2, s18, 0xcf800000, s2
	s_cvt_u32_f32 s39, s18
	s_wait_alu 0xfffe
	s_cvt_u32_f32 s38, s2
	s_wait_alu 0xfffe
	s_delay_alu instid0(SALU_CYCLE_2)
	s_mul_u64 s[42:43], s[40:41], s[38:39]
	s_wait_alu 0xfffe
	s_mul_hi_u32 s45, s38, s43
	s_mul_i32 s44, s38, s43
	s_mul_hi_u32 s18, s38, s42
	s_mul_i32 s27, s39, s42
	s_wait_alu 0xfffe
	s_add_nc_u64 s[44:45], s[18:19], s[44:45]
	s_mul_hi_u32 s2, s39, s42
	s_mul_hi_u32 s29, s39, s43
	s_wait_alu 0xfffe
	s_add_co_u32 s18, s44, s27
	s_add_co_ci_u32 s18, s45, s2
	s_mul_i32 s42, s39, s43
	s_add_co_ci_u32 s43, s29, 0
	s_wait_alu 0xfffe
	s_add_nc_u64 s[42:43], s[18:19], s[42:43]
	s_wait_alu 0xfffe
	s_add_co_u32 s38, s38, s42
	s_cselect_b32 s2, -1, 0
	s_wait_alu 0xfffe
	s_cmp_lg_u32 s2, 0
	s_add_co_ci_u32 s39, s39, s43
	s_wait_alu 0xfffe
	s_mul_u64 s[40:41], s[40:41], s[38:39]
	s_wait_alu 0xfffe
	s_mul_hi_u32 s43, s38, s41
	s_mul_i32 s42, s38, s41
	s_mul_hi_u32 s18, s38, s40
	s_mul_i32 s27, s39, s40
	s_wait_alu 0xfffe
	s_add_nc_u64 s[42:43], s[18:19], s[42:43]
	s_mul_hi_u32 s2, s39, s40
	s_mul_hi_u32 s29, s39, s41
	s_wait_alu 0xfffe
	s_add_co_u32 s18, s42, s27
	s_add_co_ci_u32 s18, s43, s2
	s_mul_i32 s40, s39, s41
	s_add_co_ci_u32 s41, s29, 0
	s_wait_alu 0xfffe
	s_add_nc_u64 s[40:41], s[18:19], s[40:41]
	s_wait_alu 0xfffe
	s_add_co_u32 s2, s38, s40
	s_cselect_b32 s18, -1, 0
	s_wait_alu 0xfffe
	v_mul_hi_u32 v14, v5, s2
	s_cmp_lg_u32 s18, 0
	v_mad_co_u64_u32 v[9:10], null, v13, s2, 0
	s_add_co_ci_u32 s18, s39, s41
	s_wait_alu 0xfffe
	v_mad_co_u64_u32 v[7:8], null, v5, s18, 0
	v_mad_co_u64_u32 v[11:12], null, v13, s18, 0
	s_delay_alu instid0(VALU_DEP_2) | instskip(SKIP_1) | instid1(VALU_DEP_3)
	v_add_co_u32 v7, vcc_lo, v14, v7
	s_wait_alu 0xfffd
	v_add_co_ci_u32_e64 v8, null, 0, v8, vcc_lo
	s_delay_alu instid0(VALU_DEP_2) | instskip(SKIP_1) | instid1(VALU_DEP_2)
	v_add_co_u32 v7, vcc_lo, v7, v9
	s_wait_alu 0xfffd
	v_add_co_ci_u32_e32 v7, vcc_lo, v8, v10, vcc_lo
	s_wait_alu 0xfffd
	v_add_co_ci_u32_e32 v8, vcc_lo, 0, v12, vcc_lo
	s_delay_alu instid0(VALU_DEP_2) | instskip(SKIP_1) | instid1(VALU_DEP_2)
	v_add_co_u32 v9, vcc_lo, v7, v11
	s_wait_alu 0xfffd
	v_add_co_ci_u32_e64 v10, null, 0, v8, vcc_lo
	s_delay_alu instid0(VALU_DEP_2) | instskip(SKIP_1) | instid1(VALU_DEP_3)
	v_mul_lo_u32 v11, s37, v9
	v_mad_co_u64_u32 v[7:8], null, s36, v9, 0
	v_mul_lo_u32 v12, s36, v10
	s_delay_alu instid0(VALU_DEP_2) | instskip(NEXT) | instid1(VALU_DEP_2)
	v_sub_co_u32 v5, vcc_lo, v5, v7
	v_add3_u32 v8, v8, v12, v11
	s_delay_alu instid0(VALU_DEP_1) | instskip(SKIP_2) | instid1(VALU_DEP_2)
	v_sub_nc_u32_e32 v11, v13, v8
	s_wait_alu 0xfffd
	v_sub_co_ci_u32_e64 v8, null, v13, v8, vcc_lo
	v_subrev_co_ci_u32_e64 v7, null, s37, v11, vcc_lo
	v_add_co_u32 v11, s2, v9, 2
	s_wait_alu 0xf1ff
	v_add_co_ci_u32_e64 v12, null, 0, v10, s2
	v_sub_co_u32 v14, s2, v5, s36
	s_wait_alu 0xf1ff
	v_subrev_co_ci_u32_e64 v7, null, 0, v7, s2
	s_delay_alu instid0(VALU_DEP_2) | instskip(SKIP_2) | instid1(VALU_DEP_3)
	v_cmp_le_u32_e32 vcc_lo, s36, v14
	s_wait_alu 0xfffd
	v_cndmask_b32_e64 v13, 0, -1, vcc_lo
	v_cmp_le_u32_e32 vcc_lo, s37, v7
	s_wait_alu 0xfffd
	v_cndmask_b32_e64 v14, 0, -1, vcc_lo
	;; [unrolled: 3-line block ×4, first 2 shown]
	v_cmp_eq_u32_e32 vcc_lo, s37, v7
	s_wait_alu 0xfffd
	v_cndmask_b32_e32 v7, v14, v13, vcc_lo
	v_add_co_u32 v13, vcc_lo, v9, 1
	s_wait_alu 0xfffd
	v_add_co_ci_u32_e64 v14, null, 0, v10, vcc_lo
	v_cmp_eq_u32_e32 vcc_lo, s37, v8
	s_wait_alu 0xfffd
	v_cndmask_b32_e32 v5, v15, v5, vcc_lo
	v_cmp_ne_u32_e32 vcc_lo, 0, v7
	s_delay_alu instid0(VALU_DEP_2) | instskip(SKIP_4) | instid1(VALU_DEP_2)
	v_cmp_ne_u32_e64 s2, 0, v5
	s_wait_alu 0xfffd
	v_cndmask_b32_e32 v5, v13, v11, vcc_lo
	v_cndmask_b32_e32 v7, v14, v12, vcc_lo
	s_wait_alu 0xf1ff
	v_cndmask_b32_e64 v5, v9, v5, s2
	s_delay_alu instid0(VALU_DEP_2) | instskip(NEXT) | instid1(VALU_DEP_2)
	v_cndmask_b32_e64 v7, v10, v7, s2
	v_xor_b32_e32 v5, v5, v3
	s_delay_alu instid0(VALU_DEP_2) | instskip(NEXT) | instid1(VALU_DEP_2)
	v_xor_b32_e32 v7, v7, v3
	v_sub_co_u32 v8, vcc_lo, v5, v3
	s_wait_alu 0xfffd
	s_delay_alu instid0(VALU_DEP_2)
	v_sub_co_ci_u32_e64 v9, null, v7, v3, vcc_lo
.LBB52_24:                              ;   in Loop: Header=BB52_22 Depth=2
	s_wait_alu 0xfffe
	s_and_not1_saveexec_b32 s2, s25
	s_cbranch_execz .LBB52_26
; %bb.25:                               ;   in Loop: Header=BB52_22 Depth=2
	v_cvt_f32_u32_e32 v3, s28
	s_sub_co_i32 s18, 0, s28
	v_mov_b32_e32 v9, v2
	s_delay_alu instid0(VALU_DEP_2) | instskip(NEXT) | instid1(TRANS32_DEP_1)
	v_rcp_iflag_f32_e32 v3, v3
	v_mul_f32_e32 v3, 0x4f7ffffe, v3
	s_delay_alu instid0(VALU_DEP_1) | instskip(SKIP_1) | instid1(VALU_DEP_1)
	v_cvt_u32_f32_e32 v3, v3
	s_wait_alu 0xfffe
	v_mul_lo_u32 v5, s18, v3
	s_delay_alu instid0(VALU_DEP_1) | instskip(NEXT) | instid1(VALU_DEP_1)
	v_mul_hi_u32 v5, v3, v5
	v_add_nc_u32_e32 v3, v3, v5
	s_delay_alu instid0(VALU_DEP_1) | instskip(NEXT) | instid1(VALU_DEP_1)
	v_mul_hi_u32 v3, v6, v3
	v_mul_lo_u32 v5, v3, s28
	v_add_nc_u32_e32 v7, 1, v3
	s_delay_alu instid0(VALU_DEP_2) | instskip(NEXT) | instid1(VALU_DEP_1)
	v_sub_nc_u32_e32 v5, v6, v5
	v_cmp_le_u32_e32 vcc_lo, s28, v5
	v_subrev_nc_u32_e32 v8, s28, v5
	s_wait_alu 0xfffd
	v_cndmask_b32_e32 v3, v3, v7, vcc_lo
	s_delay_alu instid0(VALU_DEP_1) | instskip(NEXT) | instid1(VALU_DEP_3)
	v_add_nc_u32_e32 v7, 1, v3
	v_cndmask_b32_e32 v5, v5, v8, vcc_lo
	s_delay_alu instid0(VALU_DEP_1) | instskip(SKIP_1) | instid1(VALU_DEP_3)
	v_cmp_le_u32_e32 vcc_lo, s28, v5
	s_wait_alu 0xfffd
	v_cndmask_b32_e32 v8, v3, v7, vcc_lo
.LBB52_26:                              ;   in Loop: Header=BB52_22 Depth=2
	s_wait_alu 0xfffe
	s_or_b32 exec_lo, exec_lo, s2
	s_add_co_i32 s18, s26, 6
	s_add_nc_u64 s[34:35], s[0:1], s[34:35]
	s_wait_alu 0xfffe
	s_lshl_b64 s[36:37], s[18:19], 2
                                        ; implicit-def: $vgpr10_vgpr11
	s_mov_b32 s2, exec_lo
	s_wait_alu 0xfffe
	s_add_nc_u64 s[30:31], s[10:11], s[36:37]
	s_clause 0x1
	s_load_b32 s25, s[34:35], 0x6c
	s_load_b32 s30, s[30:31], 0x8
	s_wait_kmcnt 0x0
	s_ashr_i32 s31, s30, 31
	s_wait_alu 0xfffe
	v_or_b32_e32 v3, s31, v9
	s_delay_alu instid0(VALU_DEP_1)
	v_cmpx_ne_u64_e32 0, v[2:3]
	s_xor_b32 s27, exec_lo, s2
	s_cbranch_execz .LBB52_28
; %bb.27:                               ;   in Loop: Header=BB52_22 Depth=2
	s_ashr_i32 s34, s31, 31
	v_ashrrev_i32_e32 v3, 31, v9
	s_wait_alu 0xfffe
	s_mov_b32 s35, s34
	s_wait_alu 0xfffe
	s_add_nc_u64 s[38:39], s[30:31], s[34:35]
	v_add_co_u32 v5, vcc_lo, v8, v3
	s_wait_alu 0xfffe
	s_xor_b64 s[38:39], s[38:39], s[34:35]
	s_wait_alu 0xfffd
	v_add_co_ci_u32_e64 v7, null, v9, v3, vcc_lo
	s_wait_alu 0xfffe
	s_cvt_f32_u32 s2, s38
	s_cvt_f32_u32 s18, s39
	s_sub_nc_u64 s[42:43], 0, s[38:39]
	v_xor_b32_e32 v5, v5, v3
	v_xor_b32_e32 v7, v7, v3
	s_wait_alu 0xfffe
	s_fmamk_f32 s2, s18, 0x4f800000, s2
	v_xor_b32_e32 v3, s34, v3
	s_wait_alu 0xfffe
	s_delay_alu instid0(SALU_CYCLE_1) | instskip(NEXT) | instid1(TRANS32_DEP_1)
	v_s_rcp_f32 s2, s2
	s_mul_f32 s2, s2, 0x5f7ffffc
	s_wait_alu 0xfffe
	s_delay_alu instid0(SALU_CYCLE_2) | instskip(SKIP_1) | instid1(SALU_CYCLE_2)
	s_mul_f32 s18, s2, 0x2f800000
	s_wait_alu 0xfffe
	s_trunc_f32 s18, s18
	s_wait_alu 0xfffe
	s_delay_alu instid0(SALU_CYCLE_2) | instskip(SKIP_2) | instid1(SALU_CYCLE_1)
	s_fmamk_f32 s2, s18, 0xcf800000, s2
	s_cvt_u32_f32 s41, s18
	s_wait_alu 0xfffe
	s_cvt_u32_f32 s40, s2
	s_wait_alu 0xfffe
	s_delay_alu instid0(SALU_CYCLE_2)
	s_mul_u64 s[44:45], s[42:43], s[40:41]
	s_wait_alu 0xfffe
	s_mul_hi_u32 s47, s40, s45
	s_mul_i32 s46, s40, s45
	s_mul_hi_u32 s18, s40, s44
	s_mul_i32 s29, s41, s44
	s_wait_alu 0xfffe
	s_add_nc_u64 s[46:47], s[18:19], s[46:47]
	s_mul_hi_u32 s2, s41, s44
	s_mul_hi_u32 s31, s41, s45
	s_wait_alu 0xfffe
	s_add_co_u32 s18, s46, s29
	s_add_co_ci_u32 s18, s47, s2
	s_mul_i32 s44, s41, s45
	s_add_co_ci_u32 s45, s31, 0
	s_wait_alu 0xfffe
	s_add_nc_u64 s[44:45], s[18:19], s[44:45]
	s_wait_alu 0xfffe
	s_add_co_u32 s40, s40, s44
	s_cselect_b32 s2, -1, 0
	s_wait_alu 0xfffe
	s_cmp_lg_u32 s2, 0
	s_add_co_ci_u32 s41, s41, s45
	s_wait_alu 0xfffe
	s_mul_u64 s[42:43], s[42:43], s[40:41]
	s_wait_alu 0xfffe
	s_mul_hi_u32 s45, s40, s43
	s_mul_i32 s44, s40, s43
	s_mul_hi_u32 s18, s40, s42
	s_mul_i32 s29, s41, s42
	s_wait_alu 0xfffe
	s_add_nc_u64 s[44:45], s[18:19], s[44:45]
	s_mul_hi_u32 s2, s41, s42
	s_mul_hi_u32 s31, s41, s43
	s_wait_alu 0xfffe
	s_add_co_u32 s18, s44, s29
	s_add_co_ci_u32 s18, s45, s2
	s_mul_i32 s42, s41, s43
	s_add_co_ci_u32 s43, s31, 0
	s_wait_alu 0xfffe
	s_add_nc_u64 s[42:43], s[18:19], s[42:43]
	s_wait_alu 0xfffe
	s_add_co_u32 s2, s40, s42
	s_cselect_b32 s18, -1, 0
	s_wait_alu 0xfffe
	v_mul_hi_u32 v15, v5, s2
	s_cmp_lg_u32 s18, 0
	v_mad_co_u64_u32 v[11:12], null, v7, s2, 0
	s_add_co_ci_u32 s18, s41, s43
	s_wait_alu 0xfffe
	v_mad_co_u64_u32 v[9:10], null, v5, s18, 0
	v_mad_co_u64_u32 v[13:14], null, v7, s18, 0
	s_delay_alu instid0(VALU_DEP_2) | instskip(SKIP_1) | instid1(VALU_DEP_3)
	v_add_co_u32 v9, vcc_lo, v15, v9
	s_wait_alu 0xfffd
	v_add_co_ci_u32_e64 v10, null, 0, v10, vcc_lo
	s_delay_alu instid0(VALU_DEP_2) | instskip(SKIP_1) | instid1(VALU_DEP_2)
	v_add_co_u32 v9, vcc_lo, v9, v11
	s_wait_alu 0xfffd
	v_add_co_ci_u32_e32 v9, vcc_lo, v10, v12, vcc_lo
	s_wait_alu 0xfffd
	v_add_co_ci_u32_e32 v10, vcc_lo, 0, v14, vcc_lo
	s_delay_alu instid0(VALU_DEP_2) | instskip(SKIP_1) | instid1(VALU_DEP_2)
	v_add_co_u32 v11, vcc_lo, v9, v13
	s_wait_alu 0xfffd
	v_add_co_ci_u32_e64 v12, null, 0, v10, vcc_lo
	s_delay_alu instid0(VALU_DEP_2) | instskip(SKIP_1) | instid1(VALU_DEP_3)
	v_mul_lo_u32 v13, s39, v11
	v_mad_co_u64_u32 v[9:10], null, s38, v11, 0
	v_mul_lo_u32 v14, s38, v12
	s_delay_alu instid0(VALU_DEP_2) | instskip(NEXT) | instid1(VALU_DEP_2)
	v_sub_co_u32 v5, vcc_lo, v5, v9
	v_add3_u32 v10, v10, v14, v13
	s_delay_alu instid0(VALU_DEP_1) | instskip(SKIP_2) | instid1(VALU_DEP_2)
	v_sub_nc_u32_e32 v13, v7, v10
	s_wait_alu 0xfffd
	v_sub_co_ci_u32_e64 v7, null, v7, v10, vcc_lo
	v_subrev_co_ci_u32_e64 v9, null, s39, v13, vcc_lo
	v_add_co_u32 v13, s2, v11, 2
	s_wait_alu 0xf1ff
	v_add_co_ci_u32_e64 v14, null, 0, v12, s2
	v_sub_co_u32 v15, s2, v5, s38
	s_wait_alu 0xf1ff
	v_subrev_co_ci_u32_e64 v9, null, 0, v9, s2
	s_delay_alu instid0(VALU_DEP_2) | instskip(SKIP_2) | instid1(VALU_DEP_3)
	v_cmp_le_u32_e32 vcc_lo, s38, v15
	s_wait_alu 0xfffd
	v_cndmask_b32_e64 v10, 0, -1, vcc_lo
	v_cmp_le_u32_e32 vcc_lo, s39, v9
	s_wait_alu 0xfffd
	v_cndmask_b32_e64 v15, 0, -1, vcc_lo
	;; [unrolled: 3-line block ×4, first 2 shown]
	v_cmp_eq_u32_e32 vcc_lo, s39, v9
	s_wait_alu 0xfffd
	v_cndmask_b32_e32 v9, v15, v10, vcc_lo
	v_add_co_u32 v10, vcc_lo, v11, 1
	s_wait_alu 0xfffd
	v_add_co_ci_u32_e64 v15, null, 0, v12, vcc_lo
	v_cmp_eq_u32_e32 vcc_lo, s39, v7
	s_wait_alu 0xfffd
	v_cndmask_b32_e32 v5, v16, v5, vcc_lo
	v_cmp_ne_u32_e32 vcc_lo, 0, v9
	s_delay_alu instid0(VALU_DEP_2) | instskip(SKIP_4) | instid1(VALU_DEP_2)
	v_cmp_ne_u32_e64 s2, 0, v5
	s_wait_alu 0xfffd
	v_cndmask_b32_e32 v5, v10, v13, vcc_lo
	v_cndmask_b32_e32 v7, v15, v14, vcc_lo
	s_wait_alu 0xf1ff
	v_cndmask_b32_e64 v5, v11, v5, s2
	s_delay_alu instid0(VALU_DEP_2) | instskip(NEXT) | instid1(VALU_DEP_2)
	v_cndmask_b32_e64 v7, v12, v7, s2
	v_xor_b32_e32 v5, v5, v3
	s_delay_alu instid0(VALU_DEP_2) | instskip(NEXT) | instid1(VALU_DEP_2)
	v_xor_b32_e32 v7, v7, v3
	v_sub_co_u32 v10, vcc_lo, v5, v3
	s_wait_alu 0xfffd
	s_delay_alu instid0(VALU_DEP_2)
	v_sub_co_ci_u32_e64 v11, null, v7, v3, vcc_lo
.LBB52_28:                              ;   in Loop: Header=BB52_22 Depth=2
	s_wait_alu 0xfffe
	s_and_not1_saveexec_b32 s2, s27
	s_cbranch_execz .LBB52_30
; %bb.29:                               ;   in Loop: Header=BB52_22 Depth=2
	v_cvt_f32_u32_e32 v3, s30
	s_sub_co_i32 s18, 0, s30
	v_mov_b32_e32 v11, v2
	s_delay_alu instid0(VALU_DEP_2) | instskip(NEXT) | instid1(TRANS32_DEP_1)
	v_rcp_iflag_f32_e32 v3, v3
	v_mul_f32_e32 v3, 0x4f7ffffe, v3
	s_delay_alu instid0(VALU_DEP_1) | instskip(SKIP_1) | instid1(VALU_DEP_1)
	v_cvt_u32_f32_e32 v3, v3
	s_wait_alu 0xfffe
	v_mul_lo_u32 v5, s18, v3
	s_delay_alu instid0(VALU_DEP_1) | instskip(NEXT) | instid1(VALU_DEP_1)
	v_mul_hi_u32 v5, v3, v5
	v_add_nc_u32_e32 v3, v3, v5
	s_delay_alu instid0(VALU_DEP_1) | instskip(NEXT) | instid1(VALU_DEP_1)
	v_mul_hi_u32 v3, v8, v3
	v_mul_lo_u32 v5, v3, s30
	v_add_nc_u32_e32 v7, 1, v3
	s_delay_alu instid0(VALU_DEP_2) | instskip(NEXT) | instid1(VALU_DEP_1)
	v_sub_nc_u32_e32 v5, v8, v5
	v_cmp_le_u32_e32 vcc_lo, s30, v5
	v_subrev_nc_u32_e32 v9, s30, v5
	s_wait_alu 0xfffd
	v_cndmask_b32_e32 v3, v3, v7, vcc_lo
	s_delay_alu instid0(VALU_DEP_1) | instskip(NEXT) | instid1(VALU_DEP_3)
	v_add_nc_u32_e32 v7, 1, v3
	v_cndmask_b32_e32 v5, v5, v9, vcc_lo
	s_delay_alu instid0(VALU_DEP_1) | instskip(SKIP_1) | instid1(VALU_DEP_3)
	v_cmp_le_u32_e32 vcc_lo, s30, v5
	s_wait_alu 0xfffd
	v_cndmask_b32_e32 v10, v3, v7, vcc_lo
.LBB52_30:                              ;   in Loop: Header=BB52_22 Depth=2
	s_wait_alu 0xfffe
	s_or_b32 exec_lo, exec_lo, s2
	s_add_co_i32 s18, s26, 5
	s_add_nc_u64 s[36:37], s[0:1], s[36:37]
	s_wait_alu 0xfffe
	s_lshl_b64 s[38:39], s[18:19], 2
                                        ; implicit-def: $vgpr12_vgpr13
	s_mov_b32 s2, exec_lo
	s_wait_alu 0xfffe
	s_add_nc_u64 s[34:35], s[10:11], s[38:39]
	s_clause 0x1
	s_load_b32 s29, s[36:37], 0x6c
	s_load_b32 s34, s[34:35], 0x8
	s_wait_kmcnt 0x0
	s_ashr_i32 s35, s34, 31
	s_wait_alu 0xfffe
	v_or_b32_e32 v3, s35, v11
	s_delay_alu instid0(VALU_DEP_1)
	v_cmpx_ne_u64_e32 0, v[2:3]
	s_xor_b32 s27, exec_lo, s2
	s_cbranch_execz .LBB52_32
; %bb.31:                               ;   in Loop: Header=BB52_22 Depth=2
	s_ashr_i32 s36, s35, 31
	v_ashrrev_i32_e32 v3, 31, v11
	s_wait_alu 0xfffe
	s_mov_b32 s37, s36
	s_wait_alu 0xfffe
	s_add_nc_u64 s[40:41], s[34:35], s[36:37]
	v_add_co_u32 v5, vcc_lo, v10, v3
	s_wait_alu 0xfffe
	s_xor_b64 s[40:41], s[40:41], s[36:37]
	s_wait_alu 0xfffd
	v_add_co_ci_u32_e64 v7, null, v11, v3, vcc_lo
	s_wait_alu 0xfffe
	s_cvt_f32_u32 s2, s40
	s_cvt_f32_u32 s18, s41
	s_sub_nc_u64 s[44:45], 0, s[40:41]
	v_xor_b32_e32 v5, v5, v3
	v_xor_b32_e32 v7, v7, v3
	s_wait_alu 0xfffe
	s_fmamk_f32 s2, s18, 0x4f800000, s2
	v_xor_b32_e32 v3, s36, v3
	s_wait_alu 0xfffe
	s_delay_alu instid0(SALU_CYCLE_1) | instskip(NEXT) | instid1(TRANS32_DEP_1)
	v_s_rcp_f32 s2, s2
	s_mul_f32 s2, s2, 0x5f7ffffc
	s_wait_alu 0xfffe
	s_delay_alu instid0(SALU_CYCLE_2) | instskip(SKIP_1) | instid1(SALU_CYCLE_2)
	s_mul_f32 s18, s2, 0x2f800000
	s_wait_alu 0xfffe
	s_trunc_f32 s18, s18
	s_wait_alu 0xfffe
	s_delay_alu instid0(SALU_CYCLE_2) | instskip(SKIP_2) | instid1(SALU_CYCLE_1)
	s_fmamk_f32 s2, s18, 0xcf800000, s2
	s_cvt_u32_f32 s43, s18
	s_wait_alu 0xfffe
	s_cvt_u32_f32 s42, s2
	s_wait_alu 0xfffe
	s_delay_alu instid0(SALU_CYCLE_2)
	s_mul_u64 s[46:47], s[44:45], s[42:43]
	s_wait_alu 0xfffe
	s_mul_hi_u32 s49, s42, s47
	s_mul_i32 s48, s42, s47
	s_mul_hi_u32 s18, s42, s46
	s_mul_i32 s31, s43, s46
	s_wait_alu 0xfffe
	s_add_nc_u64 s[48:49], s[18:19], s[48:49]
	s_mul_hi_u32 s2, s43, s46
	s_mul_hi_u32 s35, s43, s47
	s_wait_alu 0xfffe
	s_add_co_u32 s18, s48, s31
	s_add_co_ci_u32 s18, s49, s2
	s_mul_i32 s46, s43, s47
	s_add_co_ci_u32 s47, s35, 0
	s_wait_alu 0xfffe
	s_add_nc_u64 s[46:47], s[18:19], s[46:47]
	s_wait_alu 0xfffe
	s_add_co_u32 s42, s42, s46
	s_cselect_b32 s2, -1, 0
	s_wait_alu 0xfffe
	s_cmp_lg_u32 s2, 0
	s_add_co_ci_u32 s43, s43, s47
	s_wait_alu 0xfffe
	s_mul_u64 s[44:45], s[44:45], s[42:43]
	s_wait_alu 0xfffe
	s_mul_hi_u32 s47, s42, s45
	s_mul_i32 s46, s42, s45
	s_mul_hi_u32 s18, s42, s44
	s_mul_i32 s31, s43, s44
	s_wait_alu 0xfffe
	s_add_nc_u64 s[46:47], s[18:19], s[46:47]
	s_mul_hi_u32 s2, s43, s44
	s_mul_hi_u32 s35, s43, s45
	s_wait_alu 0xfffe
	s_add_co_u32 s18, s46, s31
	s_add_co_ci_u32 s18, s47, s2
	s_mul_i32 s44, s43, s45
	s_add_co_ci_u32 s45, s35, 0
	s_wait_alu 0xfffe
	s_add_nc_u64 s[44:45], s[18:19], s[44:45]
	s_wait_alu 0xfffe
	s_add_co_u32 s2, s42, s44
	s_cselect_b32 s18, -1, 0
	s_wait_alu 0xfffe
	v_mul_hi_u32 v9, v5, s2
	s_cmp_lg_u32 s18, 0
	v_mad_co_u64_u32 v[13:14], null, v7, s2, 0
	s_add_co_ci_u32 s18, s43, s45
	s_wait_alu 0xfffe
	v_mad_co_u64_u32 v[11:12], null, v5, s18, 0
	v_mad_co_u64_u32 v[15:16], null, v7, s18, 0
	s_delay_alu instid0(VALU_DEP_2) | instskip(SKIP_1) | instid1(VALU_DEP_3)
	v_add_co_u32 v9, vcc_lo, v9, v11
	s_wait_alu 0xfffd
	v_add_co_ci_u32_e64 v11, null, 0, v12, vcc_lo
	s_delay_alu instid0(VALU_DEP_2) | instskip(SKIP_1) | instid1(VALU_DEP_2)
	v_add_co_u32 v9, vcc_lo, v9, v13
	s_wait_alu 0xfffd
	v_add_co_ci_u32_e32 v9, vcc_lo, v11, v14, vcc_lo
	s_wait_alu 0xfffd
	v_add_co_ci_u32_e32 v11, vcc_lo, 0, v16, vcc_lo
	s_delay_alu instid0(VALU_DEP_2) | instskip(SKIP_1) | instid1(VALU_DEP_2)
	v_add_co_u32 v9, vcc_lo, v9, v15
	s_wait_alu 0xfffd
	v_add_co_ci_u32_e64 v13, null, 0, v11, vcc_lo
	s_delay_alu instid0(VALU_DEP_2) | instskip(SKIP_1) | instid1(VALU_DEP_3)
	v_mul_lo_u32 v14, s41, v9
	v_mad_co_u64_u32 v[11:12], null, s40, v9, 0
	v_mul_lo_u32 v15, s40, v13
	s_delay_alu instid0(VALU_DEP_2) | instskip(NEXT) | instid1(VALU_DEP_2)
	v_sub_co_u32 v5, vcc_lo, v5, v11
	v_add3_u32 v12, v12, v15, v14
	s_delay_alu instid0(VALU_DEP_1) | instskip(SKIP_2) | instid1(VALU_DEP_2)
	v_sub_nc_u32_e32 v14, v7, v12
	s_wait_alu 0xfffd
	v_sub_co_ci_u32_e64 v7, null, v7, v12, vcc_lo
	v_subrev_co_ci_u32_e64 v11, null, s41, v14, vcc_lo
	v_add_co_u32 v14, s2, v9, 2
	s_wait_alu 0xf1ff
	v_add_co_ci_u32_e64 v15, null, 0, v13, s2
	v_sub_co_u32 v16, s2, v5, s40
	s_wait_alu 0xf1ff
	v_subrev_co_ci_u32_e64 v11, null, 0, v11, s2
	s_delay_alu instid0(VALU_DEP_2) | instskip(SKIP_2) | instid1(VALU_DEP_3)
	v_cmp_le_u32_e32 vcc_lo, s40, v16
	s_wait_alu 0xfffd
	v_cndmask_b32_e64 v12, 0, -1, vcc_lo
	v_cmp_le_u32_e32 vcc_lo, s41, v11
	s_wait_alu 0xfffd
	v_cndmask_b32_e64 v16, 0, -1, vcc_lo
	;; [unrolled: 3-line block ×4, first 2 shown]
	v_cmp_eq_u32_e32 vcc_lo, s41, v11
	s_wait_alu 0xfffd
	v_cndmask_b32_e32 v11, v16, v12, vcc_lo
	v_add_co_u32 v12, vcc_lo, v9, 1
	s_wait_alu 0xfffd
	v_add_co_ci_u32_e64 v16, null, 0, v13, vcc_lo
	v_cmp_eq_u32_e32 vcc_lo, s41, v7
	s_wait_alu 0xfffd
	v_cndmask_b32_e32 v5, v17, v5, vcc_lo
	v_cmp_ne_u32_e32 vcc_lo, 0, v11
	s_delay_alu instid0(VALU_DEP_2) | instskip(SKIP_4) | instid1(VALU_DEP_2)
	v_cmp_ne_u32_e64 s2, 0, v5
	s_wait_alu 0xfffd
	v_cndmask_b32_e32 v5, v12, v14, vcc_lo
	v_cndmask_b32_e32 v7, v16, v15, vcc_lo
	s_wait_alu 0xf1ff
	v_cndmask_b32_e64 v5, v9, v5, s2
	s_delay_alu instid0(VALU_DEP_2) | instskip(NEXT) | instid1(VALU_DEP_2)
	v_cndmask_b32_e64 v7, v13, v7, s2
	v_xor_b32_e32 v5, v5, v3
	s_delay_alu instid0(VALU_DEP_2) | instskip(NEXT) | instid1(VALU_DEP_2)
	v_xor_b32_e32 v7, v7, v3
	v_sub_co_u32 v12, vcc_lo, v5, v3
	s_wait_alu 0xfffd
	s_delay_alu instid0(VALU_DEP_2)
	v_sub_co_ci_u32_e64 v13, null, v7, v3, vcc_lo
.LBB52_32:                              ;   in Loop: Header=BB52_22 Depth=2
	s_wait_alu 0xfffe
	s_and_not1_saveexec_b32 s2, s27
	s_cbranch_execz .LBB52_34
; %bb.33:                               ;   in Loop: Header=BB52_22 Depth=2
	v_cvt_f32_u32_e32 v3, s34
	s_sub_co_i32 s18, 0, s34
	v_mov_b32_e32 v13, v2
	s_delay_alu instid0(VALU_DEP_2) | instskip(NEXT) | instid1(TRANS32_DEP_1)
	v_rcp_iflag_f32_e32 v3, v3
	v_mul_f32_e32 v3, 0x4f7ffffe, v3
	s_delay_alu instid0(VALU_DEP_1) | instskip(SKIP_1) | instid1(VALU_DEP_1)
	v_cvt_u32_f32_e32 v3, v3
	s_wait_alu 0xfffe
	v_mul_lo_u32 v5, s18, v3
	s_delay_alu instid0(VALU_DEP_1) | instskip(NEXT) | instid1(VALU_DEP_1)
	v_mul_hi_u32 v5, v3, v5
	v_add_nc_u32_e32 v3, v3, v5
	s_delay_alu instid0(VALU_DEP_1) | instskip(NEXT) | instid1(VALU_DEP_1)
	v_mul_hi_u32 v3, v10, v3
	v_mul_lo_u32 v5, v3, s34
	v_add_nc_u32_e32 v7, 1, v3
	s_delay_alu instid0(VALU_DEP_2) | instskip(NEXT) | instid1(VALU_DEP_1)
	v_sub_nc_u32_e32 v5, v10, v5
	v_cmp_le_u32_e32 vcc_lo, s34, v5
	v_subrev_nc_u32_e32 v9, s34, v5
	s_wait_alu 0xfffd
	v_cndmask_b32_e32 v3, v3, v7, vcc_lo
	s_delay_alu instid0(VALU_DEP_1) | instskip(NEXT) | instid1(VALU_DEP_3)
	v_add_nc_u32_e32 v7, 1, v3
	v_cndmask_b32_e32 v5, v5, v9, vcc_lo
	s_delay_alu instid0(VALU_DEP_1) | instskip(SKIP_1) | instid1(VALU_DEP_3)
	v_cmp_le_u32_e32 vcc_lo, s34, v5
	s_wait_alu 0xfffd
	v_cndmask_b32_e32 v12, v3, v7, vcc_lo
.LBB52_34:                              ;   in Loop: Header=BB52_22 Depth=2
	s_wait_alu 0xfffe
	s_or_b32 exec_lo, exec_lo, s2
	s_add_co_i32 s18, s26, 4
	s_add_nc_u64 s[38:39], s[0:1], s[38:39]
	s_wait_alu 0xfffe
	s_lshl_b64 s[40:41], s[18:19], 2
                                        ; implicit-def: $vgpr14_vgpr15
	s_mov_b32 s2, exec_lo
	s_wait_alu 0xfffe
	s_add_nc_u64 s[36:37], s[10:11], s[40:41]
	s_clause 0x1
	s_load_b32 s31, s[38:39], 0x6c
	s_load_b32 s36, s[36:37], 0x8
	s_wait_kmcnt 0x0
	s_ashr_i32 s37, s36, 31
	s_wait_alu 0xfffe
	v_or_b32_e32 v3, s37, v13
	s_delay_alu instid0(VALU_DEP_1)
	v_cmpx_ne_u64_e32 0, v[2:3]
	s_xor_b32 s27, exec_lo, s2
	s_cbranch_execz .LBB52_36
; %bb.35:                               ;   in Loop: Header=BB52_22 Depth=2
	s_ashr_i32 s38, s37, 31
	v_ashrrev_i32_e32 v3, 31, v13
	s_wait_alu 0xfffe
	s_mov_b32 s39, s38
	s_wait_alu 0xfffe
	s_add_nc_u64 s[42:43], s[36:37], s[38:39]
	v_add_co_u32 v5, vcc_lo, v12, v3
	s_wait_alu 0xfffe
	s_xor_b64 s[42:43], s[42:43], s[38:39]
	s_wait_alu 0xfffd
	v_add_co_ci_u32_e64 v7, null, v13, v3, vcc_lo
	s_wait_alu 0xfffe
	s_cvt_f32_u32 s2, s42
	s_cvt_f32_u32 s18, s43
	s_sub_nc_u64 s[46:47], 0, s[42:43]
	v_xor_b32_e32 v5, v5, v3
	v_xor_b32_e32 v7, v7, v3
	s_wait_alu 0xfffe
	s_fmamk_f32 s2, s18, 0x4f800000, s2
	v_xor_b32_e32 v3, s38, v3
	s_wait_alu 0xfffe
	s_delay_alu instid0(SALU_CYCLE_1) | instskip(NEXT) | instid1(TRANS32_DEP_1)
	v_s_rcp_f32 s2, s2
	s_mul_f32 s2, s2, 0x5f7ffffc
	s_wait_alu 0xfffe
	s_delay_alu instid0(SALU_CYCLE_2) | instskip(SKIP_1) | instid1(SALU_CYCLE_2)
	s_mul_f32 s18, s2, 0x2f800000
	s_wait_alu 0xfffe
	s_trunc_f32 s18, s18
	s_wait_alu 0xfffe
	s_delay_alu instid0(SALU_CYCLE_2) | instskip(SKIP_2) | instid1(SALU_CYCLE_1)
	s_fmamk_f32 s2, s18, 0xcf800000, s2
	s_cvt_u32_f32 s45, s18
	s_wait_alu 0xfffe
	s_cvt_u32_f32 s44, s2
	s_wait_alu 0xfffe
	s_delay_alu instid0(SALU_CYCLE_2)
	s_mul_u64 s[48:49], s[46:47], s[44:45]
	s_wait_alu 0xfffe
	s_mul_hi_u32 s51, s44, s49
	s_mul_i32 s50, s44, s49
	s_mul_hi_u32 s18, s44, s48
	s_mul_i32 s35, s45, s48
	s_wait_alu 0xfffe
	s_add_nc_u64 s[50:51], s[18:19], s[50:51]
	s_mul_hi_u32 s2, s45, s48
	s_mul_hi_u32 s37, s45, s49
	s_wait_alu 0xfffe
	s_add_co_u32 s18, s50, s35
	s_add_co_ci_u32 s18, s51, s2
	s_mul_i32 s48, s45, s49
	s_add_co_ci_u32 s49, s37, 0
	s_wait_alu 0xfffe
	s_add_nc_u64 s[48:49], s[18:19], s[48:49]
	s_wait_alu 0xfffe
	s_add_co_u32 s44, s44, s48
	s_cselect_b32 s2, -1, 0
	s_wait_alu 0xfffe
	s_cmp_lg_u32 s2, 0
	s_add_co_ci_u32 s45, s45, s49
	s_wait_alu 0xfffe
	s_mul_u64 s[46:47], s[46:47], s[44:45]
	s_wait_alu 0xfffe
	s_mul_hi_u32 s49, s44, s47
	s_mul_i32 s48, s44, s47
	s_mul_hi_u32 s18, s44, s46
	s_mul_i32 s35, s45, s46
	s_wait_alu 0xfffe
	s_add_nc_u64 s[48:49], s[18:19], s[48:49]
	s_mul_hi_u32 s2, s45, s46
	s_mul_hi_u32 s37, s45, s47
	s_wait_alu 0xfffe
	s_add_co_u32 s18, s48, s35
	s_add_co_ci_u32 s18, s49, s2
	s_mul_i32 s46, s45, s47
	s_add_co_ci_u32 s47, s37, 0
	s_wait_alu 0xfffe
	s_add_nc_u64 s[46:47], s[18:19], s[46:47]
	s_wait_alu 0xfffe
	s_add_co_u32 s2, s44, s46
	s_cselect_b32 s18, -1, 0
	s_wait_alu 0xfffe
	v_mul_hi_u32 v9, v5, s2
	s_cmp_lg_u32 s18, 0
	v_mad_co_u64_u32 v[15:16], null, v7, s2, 0
	s_add_co_ci_u32 s18, s45, s47
	s_wait_alu 0xfffe
	v_mad_co_u64_u32 v[13:14], null, v5, s18, 0
	v_mad_co_u64_u32 v[17:18], null, v7, s18, 0
	s_delay_alu instid0(VALU_DEP_2) | instskip(SKIP_1) | instid1(VALU_DEP_3)
	v_add_co_u32 v9, vcc_lo, v9, v13
	s_wait_alu 0xfffd
	v_add_co_ci_u32_e64 v11, null, 0, v14, vcc_lo
	s_delay_alu instid0(VALU_DEP_2) | instskip(SKIP_1) | instid1(VALU_DEP_2)
	v_add_co_u32 v9, vcc_lo, v9, v15
	s_wait_alu 0xfffd
	v_add_co_ci_u32_e32 v9, vcc_lo, v11, v16, vcc_lo
	s_wait_alu 0xfffd
	v_add_co_ci_u32_e32 v11, vcc_lo, 0, v18, vcc_lo
	s_delay_alu instid0(VALU_DEP_2) | instskip(SKIP_1) | instid1(VALU_DEP_2)
	v_add_co_u32 v9, vcc_lo, v9, v17
	s_wait_alu 0xfffd
	v_add_co_ci_u32_e64 v11, null, 0, v11, vcc_lo
	s_delay_alu instid0(VALU_DEP_2) | instskip(SKIP_1) | instid1(VALU_DEP_3)
	v_mul_lo_u32 v15, s43, v9
	v_mad_co_u64_u32 v[13:14], null, s42, v9, 0
	v_mul_lo_u32 v16, s42, v11
	s_delay_alu instid0(VALU_DEP_2) | instskip(NEXT) | instid1(VALU_DEP_2)
	v_sub_co_u32 v5, vcc_lo, v5, v13
	v_add3_u32 v14, v14, v16, v15
	s_delay_alu instid0(VALU_DEP_1) | instskip(SKIP_2) | instid1(VALU_DEP_2)
	v_sub_nc_u32_e32 v15, v7, v14
	s_wait_alu 0xfffd
	v_sub_co_ci_u32_e64 v7, null, v7, v14, vcc_lo
	v_subrev_co_ci_u32_e64 v13, null, s43, v15, vcc_lo
	v_add_co_u32 v15, s2, v9, 2
	s_wait_alu 0xf1ff
	v_add_co_ci_u32_e64 v16, null, 0, v11, s2
	v_sub_co_u32 v17, s2, v5, s42
	s_wait_alu 0xf1ff
	v_subrev_co_ci_u32_e64 v13, null, 0, v13, s2
	s_delay_alu instid0(VALU_DEP_2) | instskip(SKIP_2) | instid1(VALU_DEP_3)
	v_cmp_le_u32_e32 vcc_lo, s42, v17
	s_wait_alu 0xfffd
	v_cndmask_b32_e64 v14, 0, -1, vcc_lo
	v_cmp_le_u32_e32 vcc_lo, s43, v13
	s_wait_alu 0xfffd
	v_cndmask_b32_e64 v17, 0, -1, vcc_lo
	;; [unrolled: 3-line block ×4, first 2 shown]
	v_cmp_eq_u32_e32 vcc_lo, s43, v13
	s_wait_alu 0xfffd
	v_cndmask_b32_e32 v13, v17, v14, vcc_lo
	v_add_co_u32 v14, vcc_lo, v9, 1
	s_wait_alu 0xfffd
	v_add_co_ci_u32_e64 v17, null, 0, v11, vcc_lo
	v_cmp_eq_u32_e32 vcc_lo, s43, v7
	s_wait_alu 0xfffd
	v_cndmask_b32_e32 v5, v18, v5, vcc_lo
	v_cmp_ne_u32_e32 vcc_lo, 0, v13
	s_delay_alu instid0(VALU_DEP_2) | instskip(SKIP_4) | instid1(VALU_DEP_2)
	v_cmp_ne_u32_e64 s2, 0, v5
	s_wait_alu 0xfffd
	v_cndmask_b32_e32 v5, v14, v15, vcc_lo
	v_cndmask_b32_e32 v7, v17, v16, vcc_lo
	s_wait_alu 0xf1ff
	v_cndmask_b32_e64 v5, v9, v5, s2
	s_delay_alu instid0(VALU_DEP_2) | instskip(NEXT) | instid1(VALU_DEP_2)
	v_cndmask_b32_e64 v7, v11, v7, s2
	v_xor_b32_e32 v5, v5, v3
	s_delay_alu instid0(VALU_DEP_2) | instskip(NEXT) | instid1(VALU_DEP_2)
	v_xor_b32_e32 v7, v7, v3
	v_sub_co_u32 v14, vcc_lo, v5, v3
	s_wait_alu 0xfffd
	s_delay_alu instid0(VALU_DEP_2)
	v_sub_co_ci_u32_e64 v15, null, v7, v3, vcc_lo
.LBB52_36:                              ;   in Loop: Header=BB52_22 Depth=2
	s_wait_alu 0xfffe
	s_and_not1_saveexec_b32 s2, s27
	s_cbranch_execz .LBB52_38
; %bb.37:                               ;   in Loop: Header=BB52_22 Depth=2
	v_cvt_f32_u32_e32 v3, s36
	s_sub_co_i32 s18, 0, s36
	v_mov_b32_e32 v15, v2
	s_delay_alu instid0(VALU_DEP_2) | instskip(NEXT) | instid1(TRANS32_DEP_1)
	v_rcp_iflag_f32_e32 v3, v3
	v_mul_f32_e32 v3, 0x4f7ffffe, v3
	s_delay_alu instid0(VALU_DEP_1) | instskip(SKIP_1) | instid1(VALU_DEP_1)
	v_cvt_u32_f32_e32 v3, v3
	s_wait_alu 0xfffe
	v_mul_lo_u32 v5, s18, v3
	s_delay_alu instid0(VALU_DEP_1) | instskip(NEXT) | instid1(VALU_DEP_1)
	v_mul_hi_u32 v5, v3, v5
	v_add_nc_u32_e32 v3, v3, v5
	s_delay_alu instid0(VALU_DEP_1) | instskip(NEXT) | instid1(VALU_DEP_1)
	v_mul_hi_u32 v3, v12, v3
	v_mul_lo_u32 v5, v3, s36
	v_add_nc_u32_e32 v7, 1, v3
	s_delay_alu instid0(VALU_DEP_2) | instskip(NEXT) | instid1(VALU_DEP_1)
	v_sub_nc_u32_e32 v5, v12, v5
	v_cmp_le_u32_e32 vcc_lo, s36, v5
	v_subrev_nc_u32_e32 v9, s36, v5
	s_wait_alu 0xfffd
	v_cndmask_b32_e32 v3, v3, v7, vcc_lo
	s_delay_alu instid0(VALU_DEP_1) | instskip(NEXT) | instid1(VALU_DEP_3)
	v_add_nc_u32_e32 v7, 1, v3
	v_cndmask_b32_e32 v5, v5, v9, vcc_lo
	s_delay_alu instid0(VALU_DEP_1) | instskip(SKIP_1) | instid1(VALU_DEP_3)
	v_cmp_le_u32_e32 vcc_lo, s36, v5
	s_wait_alu 0xfffd
	v_cndmask_b32_e32 v14, v3, v7, vcc_lo
.LBB52_38:                              ;   in Loop: Header=BB52_22 Depth=2
	s_wait_alu 0xfffe
	s_or_b32 exec_lo, exec_lo, s2
	s_add_co_i32 s18, s26, 3
	s_add_nc_u64 s[40:41], s[0:1], s[40:41]
	s_wait_alu 0xfffe
	s_lshl_b64 s[42:43], s[18:19], 2
                                        ; implicit-def: $vgpr16_vgpr17
	s_mov_b32 s2, exec_lo
	s_wait_alu 0xfffe
	s_add_nc_u64 s[38:39], s[10:11], s[42:43]
	s_clause 0x1
	s_load_b32 s35, s[40:41], 0x6c
	s_load_b32 s38, s[38:39], 0x8
	s_wait_kmcnt 0x0
	s_ashr_i32 s39, s38, 31
	s_wait_alu 0xfffe
	v_or_b32_e32 v3, s39, v15
	s_delay_alu instid0(VALU_DEP_1)
	v_cmpx_ne_u64_e32 0, v[2:3]
	s_xor_b32 s27, exec_lo, s2
	s_cbranch_execz .LBB52_40
; %bb.39:                               ;   in Loop: Header=BB52_22 Depth=2
	s_ashr_i32 s40, s39, 31
	v_ashrrev_i32_e32 v3, 31, v15
	s_wait_alu 0xfffe
	s_mov_b32 s41, s40
	s_wait_alu 0xfffe
	s_add_nc_u64 s[44:45], s[38:39], s[40:41]
	v_add_co_u32 v5, vcc_lo, v14, v3
	s_wait_alu 0xfffe
	s_xor_b64 s[44:45], s[44:45], s[40:41]
	s_wait_alu 0xfffd
	v_add_co_ci_u32_e64 v7, null, v15, v3, vcc_lo
	s_wait_alu 0xfffe
	s_cvt_f32_u32 s2, s44
	s_cvt_f32_u32 s18, s45
	s_sub_nc_u64 s[48:49], 0, s[44:45]
	v_xor_b32_e32 v5, v5, v3
	v_xor_b32_e32 v7, v7, v3
	s_wait_alu 0xfffe
	s_fmamk_f32 s2, s18, 0x4f800000, s2
	v_xor_b32_e32 v3, s40, v3
	s_wait_alu 0xfffe
	s_delay_alu instid0(SALU_CYCLE_1) | instskip(NEXT) | instid1(TRANS32_DEP_1)
	v_s_rcp_f32 s2, s2
	s_mul_f32 s2, s2, 0x5f7ffffc
	s_wait_alu 0xfffe
	s_delay_alu instid0(SALU_CYCLE_2) | instskip(SKIP_1) | instid1(SALU_CYCLE_2)
	s_mul_f32 s18, s2, 0x2f800000
	s_wait_alu 0xfffe
	s_trunc_f32 s18, s18
	s_wait_alu 0xfffe
	s_delay_alu instid0(SALU_CYCLE_2) | instskip(SKIP_2) | instid1(SALU_CYCLE_1)
	s_fmamk_f32 s2, s18, 0xcf800000, s2
	s_cvt_u32_f32 s47, s18
	s_wait_alu 0xfffe
	s_cvt_u32_f32 s46, s2
	s_wait_alu 0xfffe
	s_delay_alu instid0(SALU_CYCLE_2)
	s_mul_u64 s[50:51], s[48:49], s[46:47]
	s_wait_alu 0xfffe
	s_mul_hi_u32 s59, s46, s51
	s_mul_i32 s58, s46, s51
	s_mul_hi_u32 s18, s46, s50
	s_mul_i32 s37, s47, s50
	s_wait_alu 0xfffe
	s_add_nc_u64 s[58:59], s[18:19], s[58:59]
	s_mul_hi_u32 s2, s47, s50
	s_mul_hi_u32 s39, s47, s51
	s_add_co_u32 s18, s58, s37
	s_wait_alu 0xfffe
	s_add_co_ci_u32 s18, s59, s2
	s_mul_i32 s50, s47, s51
	s_add_co_ci_u32 s51, s39, 0
	s_wait_alu 0xfffe
	s_add_nc_u64 s[50:51], s[18:19], s[50:51]
	s_wait_alu 0xfffe
	s_add_co_u32 s46, s46, s50
	s_cselect_b32 s2, -1, 0
	s_wait_alu 0xfffe
	s_cmp_lg_u32 s2, 0
	s_add_co_ci_u32 s47, s47, s51
	s_wait_alu 0xfffe
	s_mul_u64 s[48:49], s[48:49], s[46:47]
	s_wait_alu 0xfffe
	s_mul_hi_u32 s51, s46, s49
	s_mul_i32 s50, s46, s49
	s_mul_hi_u32 s18, s46, s48
	s_mul_i32 s37, s47, s48
	s_wait_alu 0xfffe
	s_add_nc_u64 s[50:51], s[18:19], s[50:51]
	s_mul_hi_u32 s2, s47, s48
	s_mul_hi_u32 s39, s47, s49
	s_wait_alu 0xfffe
	s_add_co_u32 s18, s50, s37
	s_add_co_ci_u32 s18, s51, s2
	s_mul_i32 s48, s47, s49
	s_add_co_ci_u32 s49, s39, 0
	s_wait_alu 0xfffe
	s_add_nc_u64 s[48:49], s[18:19], s[48:49]
	s_wait_alu 0xfffe
	s_add_co_u32 s2, s46, s48
	s_cselect_b32 s18, -1, 0
	s_wait_alu 0xfffe
	v_mul_hi_u32 v9, v5, s2
	s_cmp_lg_u32 s18, 0
	v_mad_co_u64_u32 v[17:18], null, v7, s2, 0
	s_add_co_ci_u32 s18, s47, s49
	s_wait_alu 0xfffe
	v_mad_co_u64_u32 v[15:16], null, v5, s18, 0
	v_mad_co_u64_u32 v[19:20], null, v7, s18, 0
	s_delay_alu instid0(VALU_DEP_2) | instskip(SKIP_1) | instid1(VALU_DEP_3)
	v_add_co_u32 v9, vcc_lo, v9, v15
	s_wait_alu 0xfffd
	v_add_co_ci_u32_e64 v11, null, 0, v16, vcc_lo
	s_delay_alu instid0(VALU_DEP_2) | instskip(SKIP_1) | instid1(VALU_DEP_2)
	v_add_co_u32 v9, vcc_lo, v9, v17
	s_wait_alu 0xfffd
	v_add_co_ci_u32_e32 v9, vcc_lo, v11, v18, vcc_lo
	s_wait_alu 0xfffd
	v_add_co_ci_u32_e32 v11, vcc_lo, 0, v20, vcc_lo
	s_delay_alu instid0(VALU_DEP_2) | instskip(SKIP_1) | instid1(VALU_DEP_2)
	v_add_co_u32 v9, vcc_lo, v9, v19
	s_wait_alu 0xfffd
	v_add_co_ci_u32_e64 v11, null, 0, v11, vcc_lo
	s_delay_alu instid0(VALU_DEP_2) | instskip(SKIP_1) | instid1(VALU_DEP_3)
	v_mul_lo_u32 v13, s45, v9
	v_mad_co_u64_u32 v[15:16], null, s44, v9, 0
	v_mul_lo_u32 v17, s44, v11
	s_delay_alu instid0(VALU_DEP_2) | instskip(NEXT) | instid1(VALU_DEP_2)
	v_sub_co_u32 v5, vcc_lo, v5, v15
	v_add3_u32 v13, v16, v17, v13
	s_delay_alu instid0(VALU_DEP_1) | instskip(SKIP_2) | instid1(VALU_DEP_2)
	v_sub_nc_u32_e32 v16, v7, v13
	s_wait_alu 0xfffd
	v_sub_co_ci_u32_e64 v7, null, v7, v13, vcc_lo
	v_subrev_co_ci_u32_e64 v15, null, s45, v16, vcc_lo
	v_add_co_u32 v16, s2, v9, 2
	s_wait_alu 0xf1ff
	v_add_co_ci_u32_e64 v17, null, 0, v11, s2
	v_sub_co_u32 v18, s2, v5, s44
	s_wait_alu 0xf1ff
	v_subrev_co_ci_u32_e64 v15, null, 0, v15, s2
	s_delay_alu instid0(VALU_DEP_2) | instskip(SKIP_2) | instid1(VALU_DEP_3)
	v_cmp_le_u32_e32 vcc_lo, s44, v18
	s_wait_alu 0xfffd
	v_cndmask_b32_e64 v13, 0, -1, vcc_lo
	v_cmp_le_u32_e32 vcc_lo, s45, v15
	s_wait_alu 0xfffd
	v_cndmask_b32_e64 v18, 0, -1, vcc_lo
	;; [unrolled: 3-line block ×4, first 2 shown]
	v_cmp_eq_u32_e32 vcc_lo, s45, v15
	s_wait_alu 0xfffd
	v_cndmask_b32_e32 v13, v18, v13, vcc_lo
	v_add_co_u32 v15, vcc_lo, v9, 1
	s_wait_alu 0xfffd
	v_add_co_ci_u32_e64 v18, null, 0, v11, vcc_lo
	v_cmp_eq_u32_e32 vcc_lo, s45, v7
	s_wait_alu 0xfffd
	v_cndmask_b32_e32 v5, v19, v5, vcc_lo
	v_cmp_ne_u32_e32 vcc_lo, 0, v13
	s_delay_alu instid0(VALU_DEP_2) | instskip(SKIP_4) | instid1(VALU_DEP_2)
	v_cmp_ne_u32_e64 s2, 0, v5
	s_wait_alu 0xfffd
	v_cndmask_b32_e32 v5, v15, v16, vcc_lo
	v_cndmask_b32_e32 v7, v18, v17, vcc_lo
	s_wait_alu 0xf1ff
	v_cndmask_b32_e64 v5, v9, v5, s2
	s_delay_alu instid0(VALU_DEP_2) | instskip(NEXT) | instid1(VALU_DEP_2)
	v_cndmask_b32_e64 v7, v11, v7, s2
	v_xor_b32_e32 v5, v5, v3
	s_delay_alu instid0(VALU_DEP_2) | instskip(NEXT) | instid1(VALU_DEP_2)
	v_xor_b32_e32 v7, v7, v3
	v_sub_co_u32 v16, vcc_lo, v5, v3
	s_wait_alu 0xfffd
	s_delay_alu instid0(VALU_DEP_2)
	v_sub_co_ci_u32_e64 v17, null, v7, v3, vcc_lo
.LBB52_40:                              ;   in Loop: Header=BB52_22 Depth=2
	s_wait_alu 0xfffe
	s_and_not1_saveexec_b32 s2, s27
	s_cbranch_execz .LBB52_42
; %bb.41:                               ;   in Loop: Header=BB52_22 Depth=2
	v_cvt_f32_u32_e32 v3, s38
	s_sub_co_i32 s18, 0, s38
	v_mov_b32_e32 v17, v2
	s_delay_alu instid0(VALU_DEP_2) | instskip(NEXT) | instid1(TRANS32_DEP_1)
	v_rcp_iflag_f32_e32 v3, v3
	v_mul_f32_e32 v3, 0x4f7ffffe, v3
	s_delay_alu instid0(VALU_DEP_1) | instskip(SKIP_1) | instid1(VALU_DEP_1)
	v_cvt_u32_f32_e32 v3, v3
	s_wait_alu 0xfffe
	v_mul_lo_u32 v5, s18, v3
	s_delay_alu instid0(VALU_DEP_1) | instskip(NEXT) | instid1(VALU_DEP_1)
	v_mul_hi_u32 v5, v3, v5
	v_add_nc_u32_e32 v3, v3, v5
	s_delay_alu instid0(VALU_DEP_1) | instskip(NEXT) | instid1(VALU_DEP_1)
	v_mul_hi_u32 v3, v14, v3
	v_mul_lo_u32 v5, v3, s38
	v_add_nc_u32_e32 v7, 1, v3
	s_delay_alu instid0(VALU_DEP_2) | instskip(NEXT) | instid1(VALU_DEP_1)
	v_sub_nc_u32_e32 v5, v14, v5
	v_cmp_le_u32_e32 vcc_lo, s38, v5
	v_subrev_nc_u32_e32 v9, s38, v5
	s_wait_alu 0xfffd
	v_cndmask_b32_e32 v3, v3, v7, vcc_lo
	s_delay_alu instid0(VALU_DEP_1) | instskip(NEXT) | instid1(VALU_DEP_3)
	v_add_nc_u32_e32 v7, 1, v3
	v_cndmask_b32_e32 v5, v5, v9, vcc_lo
	s_delay_alu instid0(VALU_DEP_1) | instskip(SKIP_1) | instid1(VALU_DEP_3)
	v_cmp_le_u32_e32 vcc_lo, s38, v5
	s_wait_alu 0xfffd
	v_cndmask_b32_e32 v16, v3, v7, vcc_lo
.LBB52_42:                              ;   in Loop: Header=BB52_22 Depth=2
	s_wait_alu 0xfffe
	s_or_b32 exec_lo, exec_lo, s2
	s_add_co_i32 s18, s26, 2
	s_add_nc_u64 s[42:43], s[0:1], s[42:43]
	s_wait_alu 0xfffe
	s_lshl_b64 s[44:45], s[18:19], 2
                                        ; implicit-def: $vgpr18_vgpr19
	s_mov_b32 s2, exec_lo
	s_wait_alu 0xfffe
	s_add_nc_u64 s[40:41], s[10:11], s[44:45]
	s_clause 0x1
	s_load_b32 s37, s[42:43], 0x6c
	s_load_b32 s40, s[40:41], 0x8
	s_wait_kmcnt 0x0
	s_ashr_i32 s41, s40, 31
	s_wait_alu 0xfffe
	v_or_b32_e32 v3, s41, v17
	s_delay_alu instid0(VALU_DEP_1)
	v_cmpx_ne_u64_e32 0, v[2:3]
	s_xor_b32 s27, exec_lo, s2
	s_cbranch_execz .LBB52_44
; %bb.43:                               ;   in Loop: Header=BB52_22 Depth=2
	s_ashr_i32 s42, s41, 31
	v_ashrrev_i32_e32 v3, 31, v17
	s_wait_alu 0xfffe
	s_mov_b32 s43, s42
	s_wait_alu 0xfffe
	s_add_nc_u64 s[46:47], s[40:41], s[42:43]
	v_add_co_u32 v5, vcc_lo, v16, v3
	s_wait_alu 0xfffe
	s_xor_b64 s[46:47], s[46:47], s[42:43]
	s_wait_alu 0xfffd
	v_add_co_ci_u32_e64 v7, null, v17, v3, vcc_lo
	s_wait_alu 0xfffe
	s_cvt_f32_u32 s2, s46
	s_cvt_f32_u32 s18, s47
	s_sub_nc_u64 s[50:51], 0, s[46:47]
	v_xor_b32_e32 v5, v5, v3
	v_xor_b32_e32 v7, v7, v3
	s_wait_alu 0xfffe
	s_fmamk_f32 s2, s18, 0x4f800000, s2
	v_xor_b32_e32 v3, s42, v3
	s_wait_alu 0xfffe
	s_delay_alu instid0(SALU_CYCLE_1) | instskip(NEXT) | instid1(TRANS32_DEP_1)
	v_s_rcp_f32 s2, s2
	s_mul_f32 s2, s2, 0x5f7ffffc
	s_wait_alu 0xfffe
	s_delay_alu instid0(SALU_CYCLE_2) | instskip(SKIP_1) | instid1(SALU_CYCLE_2)
	s_mul_f32 s18, s2, 0x2f800000
	s_wait_alu 0xfffe
	s_trunc_f32 s18, s18
	s_wait_alu 0xfffe
	s_delay_alu instid0(SALU_CYCLE_2) | instskip(SKIP_2) | instid1(SALU_CYCLE_1)
	s_fmamk_f32 s2, s18, 0xcf800000, s2
	s_cvt_u32_f32 s49, s18
	s_wait_alu 0xfffe
	s_cvt_u32_f32 s48, s2
	s_wait_alu 0xfffe
	s_delay_alu instid0(SALU_CYCLE_2) | instskip(NEXT) | instid1(SALU_CYCLE_1)
	s_mul_u64 s[58:59], s[50:51], s[48:49]
	s_mul_hi_u32 s61, s48, s59
	s_mul_i32 s60, s48, s59
	s_mul_hi_u32 s18, s48, s58
	s_mul_i32 s39, s49, s58
	s_wait_alu 0xfffe
	s_add_nc_u64 s[60:61], s[18:19], s[60:61]
	s_mul_hi_u32 s2, s49, s58
	s_mul_hi_u32 s41, s49, s59
	s_add_co_u32 s18, s60, s39
	s_wait_alu 0xfffe
	s_add_co_ci_u32 s18, s61, s2
	s_mul_i32 s58, s49, s59
	s_add_co_ci_u32 s59, s41, 0
	s_wait_alu 0xfffe
	s_add_nc_u64 s[58:59], s[18:19], s[58:59]
	s_delay_alu instid0(SALU_CYCLE_1)
	s_add_co_u32 s48, s48, s58
	s_cselect_b32 s2, -1, 0
	s_wait_alu 0xfffe
	s_cmp_lg_u32 s2, 0
	s_add_co_ci_u32 s49, s49, s59
	s_wait_alu 0xfffe
	s_mul_u64 s[50:51], s[50:51], s[48:49]
	s_wait_alu 0xfffe
	s_mul_hi_u32 s59, s48, s51
	s_mul_i32 s58, s48, s51
	s_mul_hi_u32 s18, s48, s50
	s_mul_i32 s39, s49, s50
	s_wait_alu 0xfffe
	s_add_nc_u64 s[58:59], s[18:19], s[58:59]
	s_mul_hi_u32 s2, s49, s50
	s_mul_hi_u32 s41, s49, s51
	s_add_co_u32 s18, s58, s39
	s_wait_alu 0xfffe
	s_add_co_ci_u32 s18, s59, s2
	s_mul_i32 s50, s49, s51
	s_add_co_ci_u32 s51, s41, 0
	s_wait_alu 0xfffe
	s_add_nc_u64 s[50:51], s[18:19], s[50:51]
	s_wait_alu 0xfffe
	s_add_co_u32 s2, s48, s50
	s_cselect_b32 s18, -1, 0
	s_wait_alu 0xfffe
	v_mul_hi_u32 v9, v5, s2
	s_cmp_lg_u32 s18, 0
	v_mad_co_u64_u32 v[19:20], null, v7, s2, 0
	s_add_co_ci_u32 s18, s49, s51
	s_wait_alu 0xfffe
	v_mad_co_u64_u32 v[17:18], null, v5, s18, 0
	v_mad_co_u64_u32 v[21:22], null, v7, s18, 0
	s_delay_alu instid0(VALU_DEP_2) | instskip(SKIP_1) | instid1(VALU_DEP_3)
	v_add_co_u32 v9, vcc_lo, v9, v17
	s_wait_alu 0xfffd
	v_add_co_ci_u32_e64 v11, null, 0, v18, vcc_lo
	s_delay_alu instid0(VALU_DEP_2) | instskip(SKIP_1) | instid1(VALU_DEP_2)
	v_add_co_u32 v9, vcc_lo, v9, v19
	s_wait_alu 0xfffd
	v_add_co_ci_u32_e32 v9, vcc_lo, v11, v20, vcc_lo
	s_wait_alu 0xfffd
	v_add_co_ci_u32_e32 v11, vcc_lo, 0, v22, vcc_lo
	s_delay_alu instid0(VALU_DEP_2) | instskip(SKIP_1) | instid1(VALU_DEP_2)
	v_add_co_u32 v9, vcc_lo, v9, v21
	s_wait_alu 0xfffd
	v_add_co_ci_u32_e64 v11, null, 0, v11, vcc_lo
	s_delay_alu instid0(VALU_DEP_2) | instskip(SKIP_1) | instid1(VALU_DEP_3)
	v_mul_lo_u32 v13, s47, v9
	v_mad_co_u64_u32 v[17:18], null, s46, v9, 0
	v_mul_lo_u32 v15, s46, v11
	s_delay_alu instid0(VALU_DEP_2) | instskip(NEXT) | instid1(VALU_DEP_2)
	v_sub_co_u32 v5, vcc_lo, v5, v17
	v_add3_u32 v13, v18, v15, v13
	v_add_co_u32 v17, s2, v9, 2
	s_wait_alu 0xf1ff
	v_add_co_ci_u32_e64 v18, null, 0, v11, s2
	s_delay_alu instid0(VALU_DEP_3) | instskip(SKIP_3) | instid1(VALU_DEP_3)
	v_sub_nc_u32_e32 v15, v7, v13
	v_sub_co_u32 v19, s2, v5, s46
	s_wait_alu 0xfffd
	v_sub_co_ci_u32_e64 v7, null, v7, v13, vcc_lo
	v_subrev_co_ci_u32_e64 v15, null, s47, v15, vcc_lo
	s_delay_alu instid0(VALU_DEP_3) | instskip(SKIP_1) | instid1(VALU_DEP_2)
	v_cmp_le_u32_e32 vcc_lo, s46, v19
	s_wait_alu 0xf1ff
	v_subrev_co_ci_u32_e64 v15, null, 0, v15, s2
	s_wait_alu 0xfffd
	v_cndmask_b32_e64 v13, 0, -1, vcc_lo
	s_delay_alu instid0(VALU_DEP_2)
	v_cmp_le_u32_e32 vcc_lo, s47, v15
	s_wait_alu 0xfffd
	v_cndmask_b32_e64 v19, 0, -1, vcc_lo
	v_cmp_le_u32_e32 vcc_lo, s46, v5
	s_wait_alu 0xfffd
	v_cndmask_b32_e64 v5, 0, -1, vcc_lo
	;; [unrolled: 3-line block ×3, first 2 shown]
	v_cmp_eq_u32_e32 vcc_lo, s47, v15
	s_wait_alu 0xfffd
	v_cndmask_b32_e32 v13, v19, v13, vcc_lo
	v_add_co_u32 v15, vcc_lo, v9, 1
	s_wait_alu 0xfffd
	v_add_co_ci_u32_e64 v19, null, 0, v11, vcc_lo
	v_cmp_eq_u32_e32 vcc_lo, s47, v7
	s_wait_alu 0xfffd
	v_cndmask_b32_e32 v5, v20, v5, vcc_lo
	v_cmp_ne_u32_e32 vcc_lo, 0, v13
	s_delay_alu instid0(VALU_DEP_2) | instskip(SKIP_4) | instid1(VALU_DEP_2)
	v_cmp_ne_u32_e64 s2, 0, v5
	s_wait_alu 0xfffd
	v_cndmask_b32_e32 v5, v15, v17, vcc_lo
	v_cndmask_b32_e32 v7, v19, v18, vcc_lo
	s_wait_alu 0xf1ff
	v_cndmask_b32_e64 v5, v9, v5, s2
	s_delay_alu instid0(VALU_DEP_2) | instskip(NEXT) | instid1(VALU_DEP_2)
	v_cndmask_b32_e64 v7, v11, v7, s2
	v_xor_b32_e32 v5, v5, v3
	s_delay_alu instid0(VALU_DEP_2) | instskip(NEXT) | instid1(VALU_DEP_2)
	v_xor_b32_e32 v7, v7, v3
	v_sub_co_u32 v18, vcc_lo, v5, v3
	s_wait_alu 0xfffd
	s_delay_alu instid0(VALU_DEP_2)
	v_sub_co_ci_u32_e64 v19, null, v7, v3, vcc_lo
.LBB52_44:                              ;   in Loop: Header=BB52_22 Depth=2
	s_wait_alu 0xfffe
	s_and_not1_saveexec_b32 s2, s27
	s_cbranch_execz .LBB52_46
; %bb.45:                               ;   in Loop: Header=BB52_22 Depth=2
	v_cvt_f32_u32_e32 v3, s40
	s_sub_co_i32 s18, 0, s40
	v_mov_b32_e32 v19, v2
	s_delay_alu instid0(VALU_DEP_2) | instskip(NEXT) | instid1(TRANS32_DEP_1)
	v_rcp_iflag_f32_e32 v3, v3
	v_mul_f32_e32 v3, 0x4f7ffffe, v3
	s_delay_alu instid0(VALU_DEP_1) | instskip(SKIP_1) | instid1(VALU_DEP_1)
	v_cvt_u32_f32_e32 v3, v3
	s_wait_alu 0xfffe
	v_mul_lo_u32 v5, s18, v3
	s_delay_alu instid0(VALU_DEP_1) | instskip(NEXT) | instid1(VALU_DEP_1)
	v_mul_hi_u32 v5, v3, v5
	v_add_nc_u32_e32 v3, v3, v5
	s_delay_alu instid0(VALU_DEP_1) | instskip(NEXT) | instid1(VALU_DEP_1)
	v_mul_hi_u32 v3, v16, v3
	v_mul_lo_u32 v5, v3, s40
	v_add_nc_u32_e32 v7, 1, v3
	s_delay_alu instid0(VALU_DEP_2) | instskip(NEXT) | instid1(VALU_DEP_1)
	v_sub_nc_u32_e32 v5, v16, v5
	v_cmp_le_u32_e32 vcc_lo, s40, v5
	v_subrev_nc_u32_e32 v9, s40, v5
	s_wait_alu 0xfffd
	v_cndmask_b32_e32 v3, v3, v7, vcc_lo
	s_delay_alu instid0(VALU_DEP_1) | instskip(NEXT) | instid1(VALU_DEP_3)
	v_add_nc_u32_e32 v7, 1, v3
	v_cndmask_b32_e32 v5, v5, v9, vcc_lo
	s_delay_alu instid0(VALU_DEP_1) | instskip(SKIP_1) | instid1(VALU_DEP_3)
	v_cmp_le_u32_e32 vcc_lo, s40, v5
	s_wait_alu 0xfffd
	v_cndmask_b32_e32 v18, v3, v7, vcc_lo
.LBB52_46:                              ;   in Loop: Header=BB52_22 Depth=2
	s_wait_alu 0xfffe
	s_or_b32 exec_lo, exec_lo, s2
	s_add_co_i32 s18, s26, 1
	s_add_nc_u64 s[44:45], s[0:1], s[44:45]
	s_wait_alu 0xfffe
	s_lshl_b64 s[48:49], s[18:19], 2
                                        ; implicit-def: $vgpr20_vgpr21
	s_mov_b32 s2, exec_lo
	s_wait_alu 0xfffe
	s_add_nc_u64 s[42:43], s[10:11], s[48:49]
	s_clause 0x1
	s_load_b32 s39, s[44:45], 0x6c
	s_load_b32 s42, s[42:43], 0x8
	s_wait_kmcnt 0x0
	s_ashr_i32 s43, s42, 31
	s_wait_alu 0xfffe
	v_or_b32_e32 v3, s43, v19
	s_delay_alu instid0(VALU_DEP_1)
	v_cmpx_ne_u64_e32 0, v[2:3]
	s_xor_b32 s27, exec_lo, s2
	s_cbranch_execz .LBB52_48
; %bb.47:                               ;   in Loop: Header=BB52_22 Depth=2
	s_ashr_i32 s44, s43, 31
	v_ashrrev_i32_e32 v3, 31, v19
	s_wait_alu 0xfffe
	s_mov_b32 s45, s44
	s_wait_alu 0xfffe
	s_add_nc_u64 s[46:47], s[42:43], s[44:45]
	v_add_co_u32 v5, vcc_lo, v18, v3
	s_wait_alu 0xfffe
	s_xor_b64 s[46:47], s[46:47], s[44:45]
	s_wait_alu 0xfffd
	v_add_co_ci_u32_e64 v7, null, v19, v3, vcc_lo
	s_wait_alu 0xfffe
	s_cvt_f32_u32 s2, s46
	s_cvt_f32_u32 s18, s47
	s_sub_nc_u64 s[58:59], 0, s[46:47]
	v_xor_b32_e32 v5, v5, v3
	v_xor_b32_e32 v7, v7, v3
	s_wait_alu 0xfffe
	s_fmamk_f32 s2, s18, 0x4f800000, s2
	v_xor_b32_e32 v3, s44, v3
	s_wait_alu 0xfffe
	s_delay_alu instid0(SALU_CYCLE_1) | instskip(NEXT) | instid1(TRANS32_DEP_1)
	v_s_rcp_f32 s2, s2
	s_mul_f32 s2, s2, 0x5f7ffffc
	s_wait_alu 0xfffe
	s_delay_alu instid0(SALU_CYCLE_2) | instskip(SKIP_1) | instid1(SALU_CYCLE_2)
	s_mul_f32 s18, s2, 0x2f800000
	s_wait_alu 0xfffe
	s_trunc_f32 s18, s18
	s_wait_alu 0xfffe
	s_delay_alu instid0(SALU_CYCLE_2) | instskip(SKIP_2) | instid1(SALU_CYCLE_1)
	s_fmamk_f32 s2, s18, 0xcf800000, s2
	s_cvt_u32_f32 s51, s18
	s_wait_alu 0xfffe
	s_cvt_u32_f32 s50, s2
	s_wait_alu 0xfffe
	s_delay_alu instid0(SALU_CYCLE_2) | instskip(NEXT) | instid1(SALU_CYCLE_1)
	s_mul_u64 s[60:61], s[58:59], s[50:51]
	s_mul_hi_u32 s63, s50, s61
	s_mul_i32 s62, s50, s61
	s_mul_hi_u32 s18, s50, s60
	s_mul_i32 s41, s51, s60
	s_wait_alu 0xfffe
	s_add_nc_u64 s[62:63], s[18:19], s[62:63]
	s_mul_hi_u32 s2, s51, s60
	s_mul_hi_u32 s43, s51, s61
	s_add_co_u32 s18, s62, s41
	s_wait_alu 0xfffe
	s_add_co_ci_u32 s18, s63, s2
	s_mul_i32 s60, s51, s61
	s_add_co_ci_u32 s61, s43, 0
	s_wait_alu 0xfffe
	s_add_nc_u64 s[60:61], s[18:19], s[60:61]
	s_delay_alu instid0(SALU_CYCLE_1)
	s_add_co_u32 s50, s50, s60
	s_cselect_b32 s2, -1, 0
	s_wait_alu 0xfffe
	s_cmp_lg_u32 s2, 0
	s_add_co_ci_u32 s51, s51, s61
	s_wait_alu 0xfffe
	s_mul_u64 s[58:59], s[58:59], s[50:51]
	s_delay_alu instid0(SALU_CYCLE_1)
	s_mul_hi_u32 s61, s50, s59
	s_mul_i32 s60, s50, s59
	s_mul_hi_u32 s18, s50, s58
	s_mul_i32 s41, s51, s58
	s_wait_alu 0xfffe
	s_add_nc_u64 s[60:61], s[18:19], s[60:61]
	s_mul_hi_u32 s2, s51, s58
	s_mul_hi_u32 s43, s51, s59
	s_add_co_u32 s18, s60, s41
	s_wait_alu 0xfffe
	s_add_co_ci_u32 s18, s61, s2
	s_mul_i32 s58, s51, s59
	s_add_co_ci_u32 s59, s43, 0
	s_wait_alu 0xfffe
	s_add_nc_u64 s[58:59], s[18:19], s[58:59]
	s_delay_alu instid0(SALU_CYCLE_1)
	s_add_co_u32 s2, s50, s58
	s_cselect_b32 s18, -1, 0
	s_wait_alu 0xfffe
	v_mul_hi_u32 v9, v5, s2
	s_cmp_lg_u32 s18, 0
	v_mad_co_u64_u32 v[21:22], null, v7, s2, 0
	s_add_co_ci_u32 s18, s51, s59
	s_wait_alu 0xfffe
	v_mad_co_u64_u32 v[19:20], null, v5, s18, 0
	v_mad_co_u64_u32 v[28:29], null, v7, s18, 0
	s_delay_alu instid0(VALU_DEP_2) | instskip(SKIP_1) | instid1(VALU_DEP_3)
	v_add_co_u32 v9, vcc_lo, v9, v19
	s_wait_alu 0xfffd
	v_add_co_ci_u32_e64 v11, null, 0, v20, vcc_lo
	s_delay_alu instid0(VALU_DEP_2) | instskip(SKIP_1) | instid1(VALU_DEP_2)
	v_add_co_u32 v9, vcc_lo, v9, v21
	s_wait_alu 0xfffd
	v_add_co_ci_u32_e32 v9, vcc_lo, v11, v22, vcc_lo
	s_wait_alu 0xfffd
	v_add_co_ci_u32_e32 v11, vcc_lo, 0, v29, vcc_lo
	s_delay_alu instid0(VALU_DEP_2) | instskip(SKIP_1) | instid1(VALU_DEP_2)
	v_add_co_u32 v9, vcc_lo, v9, v28
	s_wait_alu 0xfffd
	v_add_co_ci_u32_e64 v11, null, 0, v11, vcc_lo
	s_delay_alu instid0(VALU_DEP_2) | instskip(SKIP_1) | instid1(VALU_DEP_3)
	v_mul_lo_u32 v13, s47, v9
	v_mad_co_u64_u32 v[19:20], null, s46, v9, 0
	v_mul_lo_u32 v15, s46, v11
	v_add_co_u32 v17, s2, v9, 2
	s_delay_alu instid0(VALU_DEP_3) | instskip(NEXT) | instid1(VALU_DEP_3)
	v_sub_co_u32 v5, vcc_lo, v5, v19
	v_add3_u32 v13, v20, v15, v13
	s_wait_alu 0xf1ff
	v_add_co_ci_u32_e64 v19, null, 0, v11, s2
	s_delay_alu instid0(VALU_DEP_3) | instskip(NEXT) | instid1(VALU_DEP_3)
	v_sub_co_u32 v20, s2, v5, s46
	v_sub_nc_u32_e32 v15, v7, v13
	s_wait_alu 0xfffd
	v_sub_co_ci_u32_e64 v7, null, v7, v13, vcc_lo
	s_delay_alu instid0(VALU_DEP_2) | instskip(SKIP_2) | instid1(VALU_DEP_2)
	v_subrev_co_ci_u32_e64 v15, null, s47, v15, vcc_lo
	v_cmp_le_u32_e32 vcc_lo, s46, v20
	s_wait_alu 0xf1ff
	v_subrev_co_ci_u32_e64 v15, null, 0, v15, s2
	s_wait_alu 0xfffd
	v_cndmask_b32_e64 v13, 0, -1, vcc_lo
	s_delay_alu instid0(VALU_DEP_2)
	v_cmp_le_u32_e32 vcc_lo, s47, v15
	s_wait_alu 0xfffd
	v_cndmask_b32_e64 v20, 0, -1, vcc_lo
	v_cmp_le_u32_e32 vcc_lo, s46, v5
	s_wait_alu 0xfffd
	v_cndmask_b32_e64 v5, 0, -1, vcc_lo
	;; [unrolled: 3-line block ×3, first 2 shown]
	v_cmp_eq_u32_e32 vcc_lo, s47, v15
	s_wait_alu 0xfffd
	v_cndmask_b32_e32 v13, v20, v13, vcc_lo
	v_add_co_u32 v15, vcc_lo, v9, 1
	s_wait_alu 0xfffd
	v_add_co_ci_u32_e64 v20, null, 0, v11, vcc_lo
	v_cmp_eq_u32_e32 vcc_lo, s47, v7
	s_wait_alu 0xfffd
	v_cndmask_b32_e32 v5, v21, v5, vcc_lo
	v_cmp_ne_u32_e32 vcc_lo, 0, v13
	s_delay_alu instid0(VALU_DEP_2) | instskip(SKIP_4) | instid1(VALU_DEP_2)
	v_cmp_ne_u32_e64 s2, 0, v5
	s_wait_alu 0xfffd
	v_cndmask_b32_e32 v5, v15, v17, vcc_lo
	v_cndmask_b32_e32 v7, v20, v19, vcc_lo
	s_wait_alu 0xf1ff
	v_cndmask_b32_e64 v5, v9, v5, s2
	s_delay_alu instid0(VALU_DEP_2) | instskip(NEXT) | instid1(VALU_DEP_2)
	v_cndmask_b32_e64 v7, v11, v7, s2
	v_xor_b32_e32 v5, v5, v3
	s_delay_alu instid0(VALU_DEP_2) | instskip(NEXT) | instid1(VALU_DEP_2)
	v_xor_b32_e32 v7, v7, v3
	v_sub_co_u32 v20, vcc_lo, v5, v3
	s_wait_alu 0xfffd
	s_delay_alu instid0(VALU_DEP_2)
	v_sub_co_ci_u32_e64 v21, null, v7, v3, vcc_lo
.LBB52_48:                              ;   in Loop: Header=BB52_22 Depth=2
	s_wait_alu 0xfffe
	s_and_not1_saveexec_b32 s2, s27
	s_cbranch_execz .LBB52_50
; %bb.49:                               ;   in Loop: Header=BB52_22 Depth=2
	v_cvt_f32_u32_e32 v3, s42
	s_sub_co_i32 s18, 0, s42
	v_mov_b32_e32 v21, v2
	s_delay_alu instid0(VALU_DEP_2) | instskip(NEXT) | instid1(TRANS32_DEP_1)
	v_rcp_iflag_f32_e32 v3, v3
	v_mul_f32_e32 v3, 0x4f7ffffe, v3
	s_delay_alu instid0(VALU_DEP_1) | instskip(SKIP_1) | instid1(VALU_DEP_1)
	v_cvt_u32_f32_e32 v3, v3
	s_wait_alu 0xfffe
	v_mul_lo_u32 v5, s18, v3
	s_delay_alu instid0(VALU_DEP_1) | instskip(NEXT) | instid1(VALU_DEP_1)
	v_mul_hi_u32 v5, v3, v5
	v_add_nc_u32_e32 v3, v3, v5
	s_delay_alu instid0(VALU_DEP_1) | instskip(NEXT) | instid1(VALU_DEP_1)
	v_mul_hi_u32 v3, v18, v3
	v_mul_lo_u32 v5, v3, s42
	v_add_nc_u32_e32 v7, 1, v3
	s_delay_alu instid0(VALU_DEP_2) | instskip(NEXT) | instid1(VALU_DEP_1)
	v_sub_nc_u32_e32 v5, v18, v5
	v_cmp_le_u32_e32 vcc_lo, s42, v5
	v_subrev_nc_u32_e32 v9, s42, v5
	s_wait_alu 0xfffd
	v_cndmask_b32_e32 v3, v3, v7, vcc_lo
	s_delay_alu instid0(VALU_DEP_1) | instskip(NEXT) | instid1(VALU_DEP_3)
	v_add_nc_u32_e32 v7, 1, v3
	v_cndmask_b32_e32 v5, v5, v9, vcc_lo
	s_delay_alu instid0(VALU_DEP_1) | instskip(SKIP_1) | instid1(VALU_DEP_3)
	v_cmp_le_u32_e32 vcc_lo, s42, v5
	s_wait_alu 0xfffd
	v_cndmask_b32_e32 v20, v3, v7, vcc_lo
.LBB52_50:                              ;   in Loop: Header=BB52_22 Depth=2
	s_wait_alu 0xfffe
	s_or_b32 exec_lo, exec_lo, s2
	s_mov_b32 s27, s19
	s_add_nc_u64 s[48:49], s[0:1], s[48:49]
	s_wait_alu 0xfffe
	s_lshl_b64 s[46:47], s[26:27], 2
                                        ; implicit-def: $vgpr22_vgpr23
	s_mov_b32 s2, exec_lo
	s_wait_alu 0xfffe
	s_add_nc_u64 s[44:45], s[10:11], s[46:47]
	s_clause 0x1
	s_load_b32 s27, s[48:49], 0x6c
	s_load_b32 s44, s[44:45], 0x8
	s_wait_kmcnt 0x0
	s_ashr_i32 s45, s44, 31
	s_wait_alu 0xfffe
	v_or_b32_e32 v3, s45, v21
	s_delay_alu instid0(VALU_DEP_1)
	v_cmpx_ne_u64_e32 0, v[2:3]
	s_xor_b32 s41, exec_lo, s2
	s_cbranch_execz .LBB52_52
; %bb.51:                               ;   in Loop: Header=BB52_22 Depth=2
	s_ashr_i32 s48, s45, 31
	v_ashrrev_i32_e32 v3, 31, v21
	s_wait_alu 0xfffe
	s_mov_b32 s49, s48
	s_wait_alu 0xfffe
	s_add_nc_u64 s[50:51], s[44:45], s[48:49]
	v_add_co_u32 v5, vcc_lo, v20, v3
	s_wait_alu 0xfffe
	s_xor_b64 s[50:51], s[50:51], s[48:49]
	s_wait_alu 0xfffd
	v_add_co_ci_u32_e64 v7, null, v21, v3, vcc_lo
	s_wait_alu 0xfffe
	s_cvt_f32_u32 s2, s50
	s_cvt_f32_u32 s18, s51
	s_sub_nc_u64 s[60:61], 0, s[50:51]
	v_xor_b32_e32 v5, v5, v3
	v_xor_b32_e32 v7, v7, v3
	s_wait_alu 0xfffe
	s_fmamk_f32 s2, s18, 0x4f800000, s2
	v_xor_b32_e32 v3, s48, v3
	s_wait_alu 0xfffe
	s_delay_alu instid0(SALU_CYCLE_1) | instskip(NEXT) | instid1(TRANS32_DEP_1)
	v_s_rcp_f32 s2, s2
	s_mul_f32 s2, s2, 0x5f7ffffc
	s_wait_alu 0xfffe
	s_delay_alu instid0(SALU_CYCLE_2) | instskip(SKIP_1) | instid1(SALU_CYCLE_2)
	s_mul_f32 s18, s2, 0x2f800000
	s_wait_alu 0xfffe
	s_trunc_f32 s18, s18
	s_wait_alu 0xfffe
	s_delay_alu instid0(SALU_CYCLE_2) | instskip(SKIP_2) | instid1(SALU_CYCLE_1)
	s_fmamk_f32 s2, s18, 0xcf800000, s2
	s_cvt_u32_f32 s59, s18
	s_wait_alu 0xfffe
	s_cvt_u32_f32 s58, s2
	s_delay_alu instid0(SALU_CYCLE_3) | instskip(NEXT) | instid1(SALU_CYCLE_1)
	s_mul_u64 s[62:63], s[60:61], s[58:59]
	s_mul_hi_u32 s65, s58, s63
	s_mul_i32 s64, s58, s63
	s_mul_hi_u32 s18, s58, s62
	s_mul_i32 s43, s59, s62
	s_wait_alu 0xfffe
	s_add_nc_u64 s[64:65], s[18:19], s[64:65]
	s_mul_hi_u32 s2, s59, s62
	s_mul_hi_u32 s45, s59, s63
	s_add_co_u32 s18, s64, s43
	s_wait_alu 0xfffe
	s_add_co_ci_u32 s18, s65, s2
	s_mul_i32 s62, s59, s63
	s_add_co_ci_u32 s63, s45, 0
	s_wait_alu 0xfffe
	s_add_nc_u64 s[62:63], s[18:19], s[62:63]
	s_delay_alu instid0(SALU_CYCLE_1) | instskip(SKIP_4) | instid1(SALU_CYCLE_1)
	s_add_co_u32 s58, s58, s62
	s_cselect_b32 s2, -1, 0
	s_wait_alu 0xfffe
	s_cmp_lg_u32 s2, 0
	s_add_co_ci_u32 s59, s59, s63
	s_mul_u64 s[60:61], s[60:61], s[58:59]
	s_delay_alu instid0(SALU_CYCLE_1)
	s_mul_hi_u32 s63, s58, s61
	s_mul_i32 s62, s58, s61
	s_mul_hi_u32 s18, s58, s60
	s_mul_i32 s43, s59, s60
	s_wait_alu 0xfffe
	s_add_nc_u64 s[62:63], s[18:19], s[62:63]
	s_mul_hi_u32 s2, s59, s60
	s_mul_hi_u32 s45, s59, s61
	s_add_co_u32 s18, s62, s43
	s_wait_alu 0xfffe
	s_add_co_ci_u32 s18, s63, s2
	s_mul_i32 s60, s59, s61
	s_add_co_ci_u32 s61, s45, 0
	s_wait_alu 0xfffe
	s_add_nc_u64 s[60:61], s[18:19], s[60:61]
	s_delay_alu instid0(SALU_CYCLE_1)
	s_add_co_u32 s2, s58, s60
	s_cselect_b32 s18, -1, 0
	s_wait_alu 0xfffe
	v_mul_hi_u32 v9, v5, s2
	s_cmp_lg_u32 s18, 0
	v_mad_co_u64_u32 v[28:29], null, v7, s2, 0
	s_add_co_ci_u32 s18, s59, s61
	s_wait_alu 0xfffe
	v_mad_co_u64_u32 v[21:22], null, v5, s18, 0
	v_mad_co_u64_u32 v[30:31], null, v7, s18, 0
	s_delay_alu instid0(VALU_DEP_2) | instskip(SKIP_1) | instid1(VALU_DEP_3)
	v_add_co_u32 v9, vcc_lo, v9, v21
	s_wait_alu 0xfffd
	v_add_co_ci_u32_e64 v11, null, 0, v22, vcc_lo
	s_delay_alu instid0(VALU_DEP_2) | instskip(SKIP_1) | instid1(VALU_DEP_2)
	v_add_co_u32 v9, vcc_lo, v9, v28
	s_wait_alu 0xfffd
	v_add_co_ci_u32_e32 v9, vcc_lo, v11, v29, vcc_lo
	s_wait_alu 0xfffd
	v_add_co_ci_u32_e32 v11, vcc_lo, 0, v31, vcc_lo
	s_delay_alu instid0(VALU_DEP_2) | instskip(SKIP_1) | instid1(VALU_DEP_2)
	v_add_co_u32 v9, vcc_lo, v9, v30
	s_wait_alu 0xfffd
	v_add_co_ci_u32_e64 v11, null, 0, v11, vcc_lo
	s_delay_alu instid0(VALU_DEP_2) | instskip(SKIP_1) | instid1(VALU_DEP_3)
	v_mul_lo_u32 v13, s51, v9
	v_mad_co_u64_u32 v[21:22], null, s50, v9, 0
	v_mul_lo_u32 v15, s50, v11
	v_add_co_u32 v17, s2, v9, 2
	s_wait_alu 0xf1ff
	v_add_co_ci_u32_e64 v19, null, 0, v11, s2
	s_delay_alu instid0(VALU_DEP_4) | instskip(NEXT) | instid1(VALU_DEP_4)
	v_sub_co_u32 v5, vcc_lo, v5, v21
	v_add3_u32 v13, v22, v15, v13
	s_delay_alu instid0(VALU_DEP_2) | instskip(NEXT) | instid1(VALU_DEP_2)
	v_sub_co_u32 v21, s2, v5, s50
	v_sub_nc_u32_e32 v15, v7, v13
	s_wait_alu 0xfffd
	v_sub_co_ci_u32_e64 v7, null, v7, v13, vcc_lo
	s_delay_alu instid0(VALU_DEP_2) | instskip(SKIP_2) | instid1(VALU_DEP_2)
	v_subrev_co_ci_u32_e64 v15, null, s51, v15, vcc_lo
	v_cmp_le_u32_e32 vcc_lo, s50, v21
	s_wait_alu 0xf1ff
	v_subrev_co_ci_u32_e64 v15, null, 0, v15, s2
	s_wait_alu 0xfffd
	v_cndmask_b32_e64 v13, 0, -1, vcc_lo
	s_delay_alu instid0(VALU_DEP_2)
	v_cmp_le_u32_e32 vcc_lo, s51, v15
	s_wait_alu 0xfffd
	v_cndmask_b32_e64 v21, 0, -1, vcc_lo
	v_cmp_le_u32_e32 vcc_lo, s50, v5
	s_wait_alu 0xfffd
	v_cndmask_b32_e64 v5, 0, -1, vcc_lo
	;; [unrolled: 3-line block ×3, first 2 shown]
	v_cmp_eq_u32_e32 vcc_lo, s51, v15
	s_wait_alu 0xfffd
	v_cndmask_b32_e32 v13, v21, v13, vcc_lo
	v_add_co_u32 v15, vcc_lo, v9, 1
	s_wait_alu 0xfffd
	v_add_co_ci_u32_e64 v21, null, 0, v11, vcc_lo
	v_cmp_eq_u32_e32 vcc_lo, s51, v7
	s_wait_alu 0xfffd
	v_cndmask_b32_e32 v5, v22, v5, vcc_lo
	v_cmp_ne_u32_e32 vcc_lo, 0, v13
	s_delay_alu instid0(VALU_DEP_2) | instskip(SKIP_4) | instid1(VALU_DEP_2)
	v_cmp_ne_u32_e64 s2, 0, v5
	s_wait_alu 0xfffd
	v_cndmask_b32_e32 v5, v15, v17, vcc_lo
	v_cndmask_b32_e32 v7, v21, v19, vcc_lo
	s_wait_alu 0xf1ff
	v_cndmask_b32_e64 v5, v9, v5, s2
	s_delay_alu instid0(VALU_DEP_2) | instskip(NEXT) | instid1(VALU_DEP_2)
	v_cndmask_b32_e64 v7, v11, v7, s2
	v_xor_b32_e32 v5, v5, v3
	s_delay_alu instid0(VALU_DEP_2) | instskip(NEXT) | instid1(VALU_DEP_2)
	v_xor_b32_e32 v7, v7, v3
	v_sub_co_u32 v22, vcc_lo, v5, v3
	s_wait_alu 0xfffd
	s_delay_alu instid0(VALU_DEP_2)
	v_sub_co_ci_u32_e64 v23, null, v7, v3, vcc_lo
.LBB52_52:                              ;   in Loop: Header=BB52_22 Depth=2
	s_wait_alu 0xfffe
	s_and_not1_saveexec_b32 s2, s41
	s_cbranch_execz .LBB52_54
; %bb.53:                               ;   in Loop: Header=BB52_22 Depth=2
	v_cvt_f32_u32_e32 v3, s44
	s_sub_co_i32 s18, 0, s44
	v_mov_b32_e32 v23, v2
	s_delay_alu instid0(VALU_DEP_2) | instskip(NEXT) | instid1(TRANS32_DEP_1)
	v_rcp_iflag_f32_e32 v3, v3
	v_mul_f32_e32 v3, 0x4f7ffffe, v3
	s_delay_alu instid0(VALU_DEP_1) | instskip(SKIP_1) | instid1(VALU_DEP_1)
	v_cvt_u32_f32_e32 v3, v3
	s_wait_alu 0xfffe
	v_mul_lo_u32 v5, s18, v3
	s_delay_alu instid0(VALU_DEP_1) | instskip(NEXT) | instid1(VALU_DEP_1)
	v_mul_hi_u32 v5, v3, v5
	v_add_nc_u32_e32 v3, v3, v5
	s_delay_alu instid0(VALU_DEP_1) | instskip(NEXT) | instid1(VALU_DEP_1)
	v_mul_hi_u32 v3, v20, v3
	v_mul_lo_u32 v5, v3, s44
	v_add_nc_u32_e32 v7, 1, v3
	s_delay_alu instid0(VALU_DEP_2) | instskip(NEXT) | instid1(VALU_DEP_1)
	v_sub_nc_u32_e32 v5, v20, v5
	v_cmp_le_u32_e32 vcc_lo, s44, v5
	v_subrev_nc_u32_e32 v9, s44, v5
	s_wait_alu 0xfffd
	v_cndmask_b32_e32 v3, v3, v7, vcc_lo
	s_delay_alu instid0(VALU_DEP_1) | instskip(NEXT) | instid1(VALU_DEP_3)
	v_add_nc_u32_e32 v7, 1, v3
	v_cndmask_b32_e32 v5, v5, v9, vcc_lo
	s_delay_alu instid0(VALU_DEP_1) | instskip(SKIP_1) | instid1(VALU_DEP_3)
	v_cmp_le_u32_e32 vcc_lo, s44, v5
	s_wait_alu 0xfffd
	v_cndmask_b32_e32 v22, v3, v7, vcc_lo
.LBB52_54:                              ;   in Loop: Header=BB52_22 Depth=2
	s_wait_alu 0xfffe
	s_or_b32 exec_lo, exec_lo, s2
	v_mul_lo_u32 v3, v8, s28
	v_mul_lo_u32 v5, v10, s30
	;; [unrolled: 1-line block ×5, first 2 shown]
	s_add_nc_u64 s[40:41], s[0:1], s[46:47]
	v_mul_lo_u32 v11, v16, s38
	s_load_b32 s2, s[40:41], 0x6c
	v_sub_nc_u32_e32 v3, v6, v3
	v_sub_nc_u32_e32 v5, v8, v5
	v_sub_nc_u32_e32 v6, v10, v7
	v_sub_nc_u32_e32 v7, v12, v9
	v_mul_lo_u32 v8, v20, s42
	v_mul_lo_u32 v3, s25, v3
	;; [unrolled: 1-line block ×4, first 2 shown]
	v_sub_nc_u32_e32 v10, v14, v11
	v_sub_nc_u32_e32 v11, v16, v13
	v_mul_lo_u32 v6, s31, v6
	v_mul_lo_u32 v7, s35, v7
	s_add_co_i32 s26, s26, -8
	v_mul_lo_u32 v10, s37, v10
	v_add3_u32 v3, v3, v4, v5
	v_sub_nc_u32_e32 v4, v18, v8
	v_sub_nc_u32_e32 v5, v20, v9
	v_mul_lo_u32 v8, s39, v11
	s_wait_alu 0xfffe
	s_cmp_eq_u32 s26, -8
	v_add3_u32 v3, v6, v3, v7
	v_mul_lo_u32 v4, s27, v4
	s_wait_kmcnt 0x0
	v_mul_lo_u32 v5, s2, v5
	s_delay_alu instid0(VALU_DEP_3) | instskip(NEXT) | instid1(VALU_DEP_1)
	v_add3_u32 v3, v10, v3, v8
	v_add3_u32 v4, v4, v3, v5
	s_cbranch_scc1 .LBB52_56
; %bb.55:                               ;   in Loop: Header=BB52_22 Depth=2
	v_dual_mov_b32 v6, v22 :: v_dual_mov_b32 v7, v23
	s_branch .LBB52_22
.LBB52_56:                              ;   in Loop: Header=BB52_3 Depth=1
	s_load_b32 s2, s[12:13], 0x4
	s_wait_kmcnt 0x0
	v_cmp_gt_i32_e32 vcc_lo, s2, v27
	s_and_b32 exec_lo, exec_lo, vcc_lo
	s_cbranch_execz .LBB52_2
; %bb.57:                               ;   in Loop: Header=BB52_3 Depth=1
	v_ashrrev_i32_e32 v6, 31, v4
	v_add_nc_u32_e32 v3, 1, v27
	v_add_co_u32 v5, vcc_lo, s16, v4
	s_wait_alu 0xfffd
	s_delay_alu instid0(VALU_DEP_3) | instskip(NEXT) | instid1(VALU_DEP_3)
	v_add_co_ci_u32_e64 v6, null, s17, v6, vcc_lo
	v_cmp_gt_i32_e32 vcc_lo, s2, v3
	global_store_b8 v[5:6], v2, off
	s_and_b32 exec_lo, exec_lo, vcc_lo
	s_cbranch_execz .LBB52_2
; %bb.58:                               ;   in Loop: Header=BB52_3 Depth=1
	v_sub_nc_u32_e32 v5, v3, v26
	s_mov_b32 s18, exec_lo
	s_delay_alu instid0(VALU_DEP_1) | instskip(NEXT) | instid1(VALU_DEP_1)
	v_ashrrev_i32_e32 v6, 31, v5
	v_cmpx_gt_i64_e64 s[4:5], v[5:6]
	s_cbranch_execz .LBB52_60
; %bb.59:                               ;   in Loop: Header=BB52_3 Depth=1
	v_add_nc_u32_e32 v3, s3, v4
	s_delay_alu instid0(VALU_DEP_1) | instskip(SKIP_2) | instid1(VALU_DEP_2)
	v_ashrrev_i32_e32 v6, 31, v3
	v_add_co_u32 v5, vcc_lo, s16, v3
	s_wait_alu 0xfffd
	v_add_co_ci_u32_e64 v6, null, s17, v6, vcc_lo
	global_store_b8 v[5:6], v2, off
.LBB52_60:                              ;   in Loop: Header=BB52_3 Depth=1
	s_wait_alu 0xfffe
	s_or_b32 exec_lo, exec_lo, s18
	v_add_nc_u32_e32 v3, 2, v27
	s_delay_alu instid0(VALU_DEP_1)
	v_cmp_gt_i32_e32 vcc_lo, s2, v3
	s_and_b32 exec_lo, exec_lo, vcc_lo
	s_cbranch_execz .LBB52_2
; %bb.61:                               ;   in Loop: Header=BB52_3 Depth=1
	v_sub_nc_u32_e32 v5, v3, v26
	s_mov_b32 s18, exec_lo
	s_delay_alu instid0(VALU_DEP_1) | instskip(NEXT) | instid1(VALU_DEP_1)
	v_ashrrev_i32_e32 v6, 31, v5
	v_cmpx_gt_i64_e64 s[4:5], v[5:6]
	s_cbranch_execz .LBB52_63
; %bb.62:                               ;   in Loop: Header=BB52_3 Depth=1
	v_lshl_add_u32 v3, s3, 1, v4
	s_delay_alu instid0(VALU_DEP_1) | instskip(SKIP_2) | instid1(VALU_DEP_2)
	v_ashrrev_i32_e32 v6, 31, v3
	v_add_co_u32 v5, vcc_lo, s16, v3
	s_wait_alu 0xfffd
	v_add_co_ci_u32_e64 v6, null, s17, v6, vcc_lo
	global_store_b8 v[5:6], v2, off
.LBB52_63:                              ;   in Loop: Header=BB52_3 Depth=1
	s_wait_alu 0xfffe
	s_or_b32 exec_lo, exec_lo, s18
	v_add_nc_u32_e32 v3, 3, v27
	s_delay_alu instid0(VALU_DEP_1)
	v_cmp_gt_i32_e32 vcc_lo, s2, v3
	s_and_b32 exec_lo, exec_lo, vcc_lo
	s_cbranch_execz .LBB52_2
; %bb.64:                               ;   in Loop: Header=BB52_3 Depth=1
	v_sub_nc_u32_e32 v5, v3, v26
	s_delay_alu instid0(VALU_DEP_1) | instskip(NEXT) | instid1(VALU_DEP_1)
	v_ashrrev_i32_e32 v6, 31, v5
	v_cmp_gt_i64_e32 vcc_lo, s[4:5], v[5:6]
	s_and_b32 exec_lo, exec_lo, vcc_lo
	s_cbranch_execz .LBB52_2
; %bb.65:                               ;   in Loop: Header=BB52_3 Depth=1
	v_mad_co_u64_u32 v[3:4], null, s3, 3, v[4:5]
	s_delay_alu instid0(VALU_DEP_1) | instskip(SKIP_2) | instid1(VALU_DEP_2)
	v_ashrrev_i32_e32 v4, 31, v3
	v_add_co_u32 v3, vcc_lo, s16, v3
	s_wait_alu 0xfffd
	v_add_co_ci_u32_e64 v4, null, s17, v4, vcc_lo
	global_store_b8 v[3:4], v2, off
	s_branch .LBB52_2
.LBB52_66:
	s_endpgm
	.section	.rodata,"a",@progbits
	.p2align	6, 0x0
	.amdhsa_kernel _ZN2at6native16triu_tril_kernelIhiLb1ELi4ELb1EEEvNS_4cuda6detail10TensorInfoIT_T0_EENS4_IKS5_S6_EEllS6_
		.amdhsa_group_segment_fixed_size 0
		.amdhsa_private_segment_fixed_size 0
		.amdhsa_kernarg_size 712
		.amdhsa_user_sgpr_count 2
		.amdhsa_user_sgpr_dispatch_ptr 0
		.amdhsa_user_sgpr_queue_ptr 0
		.amdhsa_user_sgpr_kernarg_segment_ptr 1
		.amdhsa_user_sgpr_dispatch_id 0
		.amdhsa_user_sgpr_private_segment_size 0
		.amdhsa_wavefront_size32 1
		.amdhsa_uses_dynamic_stack 0
		.amdhsa_enable_private_segment 0
		.amdhsa_system_sgpr_workgroup_id_x 1
		.amdhsa_system_sgpr_workgroup_id_y 0
		.amdhsa_system_sgpr_workgroup_id_z 0
		.amdhsa_system_sgpr_workgroup_info 0
		.amdhsa_system_vgpr_workitem_id 0
		.amdhsa_next_free_vgpr 32
		.amdhsa_next_free_sgpr 66
		.amdhsa_reserve_vcc 1
		.amdhsa_float_round_mode_32 0
		.amdhsa_float_round_mode_16_64 0
		.amdhsa_float_denorm_mode_32 3
		.amdhsa_float_denorm_mode_16_64 3
		.amdhsa_fp16_overflow 0
		.amdhsa_workgroup_processor_mode 1
		.amdhsa_memory_ordered 1
		.amdhsa_forward_progress 1
		.amdhsa_inst_pref_size 97
		.amdhsa_round_robin_scheduling 0
		.amdhsa_exception_fp_ieee_invalid_op 0
		.amdhsa_exception_fp_denorm_src 0
		.amdhsa_exception_fp_ieee_div_zero 0
		.amdhsa_exception_fp_ieee_overflow 0
		.amdhsa_exception_fp_ieee_underflow 0
		.amdhsa_exception_fp_ieee_inexact 0
		.amdhsa_exception_int_div_zero 0
	.end_amdhsa_kernel
	.section	.text._ZN2at6native16triu_tril_kernelIhiLb1ELi4ELb1EEEvNS_4cuda6detail10TensorInfoIT_T0_EENS4_IKS5_S6_EEllS6_,"axG",@progbits,_ZN2at6native16triu_tril_kernelIhiLb1ELi4ELb1EEEvNS_4cuda6detail10TensorInfoIT_T0_EENS4_IKS5_S6_EEllS6_,comdat
.Lfunc_end52:
	.size	_ZN2at6native16triu_tril_kernelIhiLb1ELi4ELb1EEEvNS_4cuda6detail10TensorInfoIT_T0_EENS4_IKS5_S6_EEllS6_, .Lfunc_end52-_ZN2at6native16triu_tril_kernelIhiLb1ELi4ELb1EEEvNS_4cuda6detail10TensorInfoIT_T0_EENS4_IKS5_S6_EEllS6_
                                        ; -- End function
	.set _ZN2at6native16triu_tril_kernelIhiLb1ELi4ELb1EEEvNS_4cuda6detail10TensorInfoIT_T0_EENS4_IKS5_S6_EEllS6_.num_vgpr, 32
	.set _ZN2at6native16triu_tril_kernelIhiLb1ELi4ELb1EEEvNS_4cuda6detail10TensorInfoIT_T0_EENS4_IKS5_S6_EEllS6_.num_agpr, 0
	.set _ZN2at6native16triu_tril_kernelIhiLb1ELi4ELb1EEEvNS_4cuda6detail10TensorInfoIT_T0_EENS4_IKS5_S6_EEllS6_.numbered_sgpr, 66
	.set _ZN2at6native16triu_tril_kernelIhiLb1ELi4ELb1EEEvNS_4cuda6detail10TensorInfoIT_T0_EENS4_IKS5_S6_EEllS6_.num_named_barrier, 0
	.set _ZN2at6native16triu_tril_kernelIhiLb1ELi4ELb1EEEvNS_4cuda6detail10TensorInfoIT_T0_EENS4_IKS5_S6_EEllS6_.private_seg_size, 0
	.set _ZN2at6native16triu_tril_kernelIhiLb1ELi4ELb1EEEvNS_4cuda6detail10TensorInfoIT_T0_EENS4_IKS5_S6_EEllS6_.uses_vcc, 1
	.set _ZN2at6native16triu_tril_kernelIhiLb1ELi4ELb1EEEvNS_4cuda6detail10TensorInfoIT_T0_EENS4_IKS5_S6_EEllS6_.uses_flat_scratch, 0
	.set _ZN2at6native16triu_tril_kernelIhiLb1ELi4ELb1EEEvNS_4cuda6detail10TensorInfoIT_T0_EENS4_IKS5_S6_EEllS6_.has_dyn_sized_stack, 0
	.set _ZN2at6native16triu_tril_kernelIhiLb1ELi4ELb1EEEvNS_4cuda6detail10TensorInfoIT_T0_EENS4_IKS5_S6_EEllS6_.has_recursion, 0
	.set _ZN2at6native16triu_tril_kernelIhiLb1ELi4ELb1EEEvNS_4cuda6detail10TensorInfoIT_T0_EENS4_IKS5_S6_EEllS6_.has_indirect_call, 0
	.section	.AMDGPU.csdata,"",@progbits
; Kernel info:
; codeLenInByte = 12340
; TotalNumSgprs: 68
; NumVgprs: 32
; ScratchSize: 0
; MemoryBound: 0
; FloatMode: 240
; IeeeMode: 1
; LDSByteSize: 0 bytes/workgroup (compile time only)
; SGPRBlocks: 0
; VGPRBlocks: 3
; NumSGPRsForWavesPerEU: 68
; NumVGPRsForWavesPerEU: 32
; Occupancy: 16
; WaveLimiterHint : 0
; COMPUTE_PGM_RSRC2:SCRATCH_EN: 0
; COMPUTE_PGM_RSRC2:USER_SGPR: 2
; COMPUTE_PGM_RSRC2:TRAP_HANDLER: 0
; COMPUTE_PGM_RSRC2:TGID_X_EN: 1
; COMPUTE_PGM_RSRC2:TGID_Y_EN: 0
; COMPUTE_PGM_RSRC2:TGID_Z_EN: 0
; COMPUTE_PGM_RSRC2:TIDIG_COMP_CNT: 0
	.section	.text._ZN2at6native16triu_tril_kernelIhiLb1ELi4ELb0EEEvNS_4cuda6detail10TensorInfoIT_T0_EENS4_IKS5_S6_EEllS6_,"axG",@progbits,_ZN2at6native16triu_tril_kernelIhiLb1ELi4ELb0EEEvNS_4cuda6detail10TensorInfoIT_T0_EENS4_IKS5_S6_EEllS6_,comdat
	.protected	_ZN2at6native16triu_tril_kernelIhiLb1ELi4ELb0EEEvNS_4cuda6detail10TensorInfoIT_T0_EENS4_IKS5_S6_EEllS6_ ; -- Begin function _ZN2at6native16triu_tril_kernelIhiLb1ELi4ELb0EEEvNS_4cuda6detail10TensorInfoIT_T0_EENS4_IKS5_S6_EEllS6_
	.globl	_ZN2at6native16triu_tril_kernelIhiLb1ELi4ELb0EEEvNS_4cuda6detail10TensorInfoIT_T0_EENS4_IKS5_S6_EEllS6_
	.p2align	8
	.type	_ZN2at6native16triu_tril_kernelIhiLb1ELi4ELb0EEEvNS_4cuda6detail10TensorInfoIT_T0_EENS4_IKS5_S6_EEllS6_,@function
_ZN2at6native16triu_tril_kernelIhiLb1ELi4ELb0EEEvNS_4cuda6detail10TensorInfoIT_T0_EENS4_IKS5_S6_EEllS6_: ; @_ZN2at6native16triu_tril_kernelIhiLb1ELi4ELb0EEEvNS_4cuda6detail10TensorInfoIT_T0_EENS4_IKS5_S6_EEllS6_
; %bb.0:
	s_clause 0x1
	s_load_b32 s2, s[0:1], 0x1d4
	s_load_b128 s[4:7], s[0:1], 0x1b0
	v_mov_b32_e32 v2, 0
	s_delay_alu instid0(VALU_DEP_1) | instskip(SKIP_3) | instid1(VALU_DEP_1)
	v_mov_b32_e32 v1, v2
	s_wait_kmcnt 0x0
	s_and_b32 s16, s2, 0xffff
	s_mov_b32 s2, exec_lo
	v_mad_co_u64_u32 v[0:1], null, s16, ttmp9, v[0:1]
	s_delay_alu instid0(VALU_DEP_1) | instskip(NEXT) | instid1(VALU_DEP_1)
	v_lshlrev_b64_e32 v[0:1], 2, v[0:1]
	v_cmpx_gt_i64_e64 s[6:7], v[0:1]
	s_cbranch_execz .LBB53_53
; %bb.1:
	s_clause 0x2
	s_load_b32 s34, s[0:1], 0x1a8
	s_load_b32 s8, s[0:1], 0x1c0
	s_load_b64 s[10:11], s[0:1], 0xd8
	s_add_nc_u64 s[12:13], s[0:1], 0xd8
	s_add_nc_u64 s[18:19], s[0:1], 0x1c8
	s_mov_b32 s17, 0
	s_mov_b32 s20, s4
	;; [unrolled: 1-line block ×6, first 2 shown]
	s_wait_kmcnt 0x0
	s_ashr_i32 s35, s34, 31
	v_cvt_f32_u32_e32 v3, s8
	s_lshl_b64 s[22:23], s[34:35], 2
	s_and_b32 s52, s34, 3
	s_add_nc_u64 s[24:25], s[12:13], s[22:23]
	s_add_nc_u64 s[26:27], s[0:1], s[22:23]
	s_clause 0x1
	s_load_b64 s[2:3], s[24:25], 0x0
	s_load_b64 s[14:15], s[0:1], 0x0
	s_load_b32 s31, s[18:19], 0x0
	v_rcp_iflag_f32_e32 v3, v3
	s_clause 0x1
	s_load_b64 s[22:23], s[24:25], 0x64
	s_load_b64 s[26:27], s[26:27], 0x64
	s_ashr_i32 s9, s8, 31
	s_add_co_i32 s33, s34, -3
	v_cmp_gt_i64_e64 s53, s[34:35], 2
	s_mov_b32 s18, s4
	s_mov_b32 s19, s5
	;; [unrolled: 1-line block ×4, first 2 shown]
	v_mul_f32_e32 v3, 0x4f7ffffe, v3
	s_delay_alu instid0(VALU_DEP_1)
	v_cvt_u32_f32_e32 v18, v3
	s_wait_kmcnt 0x0
	s_mov_b32 s30, s2
	s_mul_i32 s31, s31, s16
	v_cvt_f32_u32_e32 v4, s30
	s_lshl_b32 s54, s31, 2
	s_ashr_i32 s31, s2, 31
	s_cmp_lg_u32 s52, 2
	s_mov_b32 s55, s23
	v_rcp_iflag_f32_e32 v4, v4
	s_cselect_b32 s57, -1, 0
	s_cmp_gt_u32 s33, 2
	s_mov_b32 s56, s27
	s_cselect_b32 s58, -1, 0
	s_ashr_i32 s59, s23, 31
	s_add_co_i32 s23, s23, s23
	s_ashr_i32 s60, s27, 31
	s_add_co_i32 s27, s27, s27
	s_wait_alu 0xfffe
	s_ashr_i32 s34, s9, 31
	v_mul_f32_e32 v3, 0x4f7ffffe, v4
	s_delay_alu instid0(VALU_DEP_1)
	v_cvt_u32_f32_e32 v19, v3
	s_branch .LBB53_3
.LBB53_2:                               ;   in Loop: Header=BB53_3 Depth=1
	s_wait_alu 0xfffe
	s_or_b32 exec_lo, exec_lo, s2
	v_add_co_u32 v0, vcc_lo, v0, s54
	s_wait_alu 0xfffd
	v_add_co_ci_u32_e64 v1, null, 0, v1, vcc_lo
	s_delay_alu instid0(VALU_DEP_1)
	v_cmp_le_i64_e32 vcc_lo, s[6:7], v[0:1]
	s_or_b32 s61, vcc_lo, s61
	s_wait_alu 0xfffe
	s_and_not1_b32 exec_lo, exec_lo, s61
	s_cbranch_execz .LBB53_53
.LBB53_3:                               ; =>This Loop Header: Depth=1
                                        ;     Child Loop BB53_15 Depth 2
                                        ;     Child Loop BB53_20 Depth 2
	v_or_b32_e32 v3, s9, v1
                                        ; implicit-def: $vgpr4_vgpr5
	s_mov_b32 s2, exec_lo
	s_delay_alu instid0(VALU_DEP_1)
	v_cmpx_ne_u64_e32 0, v[2:3]
	s_wait_alu 0xfffe
	s_xor_b32 s38, exec_lo, s2
	s_cbranch_execz .LBB53_5
; %bb.4:                                ;   in Loop: Header=BB53_3 Depth=1
	s_mov_b32 s35, s34
	v_ashrrev_i32_e32 v9, 31, v1
	s_wait_alu 0xfffe
	s_add_nc_u64 s[36:37], s[8:9], s[34:35]
	s_wait_alu 0xfffe
	s_xor_b64 s[36:37], s[36:37], s[34:35]
	v_add_co_u32 v3, vcc_lo, v0, v9
	s_wait_alu 0xfffe
	s_cvt_f32_u32 s2, s36
	s_cvt_f32_u32 s16, s37
	s_sub_nc_u64 s[42:43], 0, s[36:37]
	s_wait_alu 0xfffd
	v_add_co_ci_u32_e64 v4, null, v1, v9, vcc_lo
	s_wait_alu 0xfffe
	s_fmamk_f32 s2, s16, 0x4f800000, s2
	v_xor_b32_e32 v10, v3, v9
	s_delay_alu instid0(VALU_DEP_2) | instskip(SKIP_2) | instid1(TRANS32_DEP_1)
	v_xor_b32_e32 v11, v4, v9
	s_wait_alu 0xfffe
	v_s_rcp_f32 s2, s2
	s_mul_f32 s2, s2, 0x5f7ffffc
	s_wait_alu 0xfffe
	s_delay_alu instid0(SALU_CYCLE_2) | instskip(SKIP_1) | instid1(SALU_CYCLE_2)
	s_mul_f32 s16, s2, 0x2f800000
	s_wait_alu 0xfffe
	s_trunc_f32 s16, s16
	s_wait_alu 0xfffe
	s_delay_alu instid0(SALU_CYCLE_2) | instskip(SKIP_2) | instid1(SALU_CYCLE_1)
	s_fmamk_f32 s2, s16, 0xcf800000, s2
	s_cvt_u32_f32 s41, s16
	s_wait_alu 0xfffe
	s_cvt_u32_f32 s40, s2
	s_wait_alu 0xfffe
	s_delay_alu instid0(SALU_CYCLE_2)
	s_mul_u64 s[44:45], s[42:43], s[40:41]
	s_wait_alu 0xfffe
	s_mul_hi_u32 s47, s40, s45
	s_mul_i32 s46, s40, s45
	s_mul_hi_u32 s16, s40, s44
	s_mul_i32 s35, s41, s44
	s_wait_alu 0xfffe
	s_add_nc_u64 s[46:47], s[16:17], s[46:47]
	s_mul_hi_u32 s2, s41, s44
	s_mul_hi_u32 s39, s41, s45
	s_wait_alu 0xfffe
	s_add_co_u32 s16, s46, s35
	s_add_co_ci_u32 s16, s47, s2
	s_mul_i32 s44, s41, s45
	s_add_co_ci_u32 s45, s39, 0
	s_wait_alu 0xfffe
	s_add_nc_u64 s[44:45], s[16:17], s[44:45]
	s_wait_alu 0xfffe
	s_add_co_u32 s40, s40, s44
	s_cselect_b32 s2, -1, 0
	s_wait_alu 0xfffe
	s_cmp_lg_u32 s2, 0
	s_add_co_ci_u32 s41, s41, s45
	s_wait_alu 0xfffe
	s_mul_u64 s[42:43], s[42:43], s[40:41]
	s_wait_alu 0xfffe
	s_mul_hi_u32 s45, s40, s43
	s_mul_i32 s44, s40, s43
	s_mul_hi_u32 s16, s40, s42
	s_mul_i32 s35, s41, s42
	s_wait_alu 0xfffe
	s_add_nc_u64 s[44:45], s[16:17], s[44:45]
	s_mul_hi_u32 s2, s41, s42
	s_mul_hi_u32 s39, s41, s43
	s_wait_alu 0xfffe
	s_add_co_u32 s16, s44, s35
	s_add_co_ci_u32 s16, s45, s2
	s_mul_i32 s42, s41, s43
	s_add_co_ci_u32 s43, s39, 0
	s_wait_alu 0xfffe
	s_add_nc_u64 s[42:43], s[16:17], s[42:43]
	s_wait_alu 0xfffe
	s_add_co_u32 s2, s40, s42
	s_cselect_b32 s16, -1, 0
	s_wait_alu 0xfffe
	v_mul_hi_u32 v12, v10, s2
	s_cmp_lg_u32 s16, 0
	v_mad_co_u64_u32 v[5:6], null, v11, s2, 0
	s_add_co_ci_u32 s16, s41, s43
	s_wait_alu 0xfffe
	v_mad_co_u64_u32 v[3:4], null, v10, s16, 0
	v_mad_co_u64_u32 v[7:8], null, v11, s16, 0
	s_delay_alu instid0(VALU_DEP_2) | instskip(SKIP_1) | instid1(VALU_DEP_3)
	v_add_co_u32 v3, vcc_lo, v12, v3
	s_wait_alu 0xfffd
	v_add_co_ci_u32_e64 v4, null, 0, v4, vcc_lo
	s_delay_alu instid0(VALU_DEP_2) | instskip(SKIP_1) | instid1(VALU_DEP_2)
	v_add_co_u32 v3, vcc_lo, v3, v5
	s_wait_alu 0xfffd
	v_add_co_ci_u32_e32 v3, vcc_lo, v4, v6, vcc_lo
	s_wait_alu 0xfffd
	v_add_co_ci_u32_e32 v4, vcc_lo, 0, v8, vcc_lo
	s_delay_alu instid0(VALU_DEP_2) | instskip(SKIP_1) | instid1(VALU_DEP_2)
	v_add_co_u32 v5, vcc_lo, v3, v7
	s_wait_alu 0xfffd
	v_add_co_ci_u32_e64 v6, null, 0, v4, vcc_lo
	s_delay_alu instid0(VALU_DEP_2) | instskip(SKIP_1) | instid1(VALU_DEP_3)
	v_mul_lo_u32 v7, s37, v5
	v_mad_co_u64_u32 v[3:4], null, s36, v5, 0
	v_mul_lo_u32 v8, s36, v6
	s_delay_alu instid0(VALU_DEP_2) | instskip(NEXT) | instid1(VALU_DEP_2)
	v_sub_co_u32 v3, vcc_lo, v10, v3
	v_add3_u32 v4, v4, v8, v7
	v_add_co_u32 v8, s2, v5, 2
	s_wait_alu 0xf1ff
	v_add_co_ci_u32_e64 v10, null, 0, v6, s2
	s_delay_alu instid0(VALU_DEP_3) | instskip(SKIP_3) | instid1(VALU_DEP_3)
	v_sub_nc_u32_e32 v7, v11, v4
	v_sub_co_u32 v12, s2, v3, s36
	s_wait_alu 0xfffd
	v_sub_co_ci_u32_e64 v4, null, v11, v4, vcc_lo
	v_subrev_co_ci_u32_e64 v7, null, s37, v7, vcc_lo
	s_delay_alu instid0(VALU_DEP_3) | instskip(SKIP_1) | instid1(VALU_DEP_2)
	v_cmp_le_u32_e32 vcc_lo, s36, v12
	s_wait_alu 0xf1ff
	v_subrev_co_ci_u32_e64 v7, null, 0, v7, s2
	s_wait_alu 0xfffd
	v_cndmask_b32_e64 v11, 0, -1, vcc_lo
	s_delay_alu instid0(VALU_DEP_2)
	v_cmp_le_u32_e32 vcc_lo, s37, v7
	s_wait_alu 0xfffd
	v_cndmask_b32_e64 v12, 0, -1, vcc_lo
	v_cmp_le_u32_e32 vcc_lo, s36, v3
	s_wait_alu 0xfffd
	v_cndmask_b32_e64 v3, 0, -1, vcc_lo
	;; [unrolled: 3-line block ×3, first 2 shown]
	v_cmp_eq_u32_e32 vcc_lo, s37, v7
	s_wait_alu 0xfffd
	v_cndmask_b32_e32 v7, v12, v11, vcc_lo
	v_add_co_u32 v11, vcc_lo, v5, 1
	s_wait_alu 0xfffd
	v_add_co_ci_u32_e64 v12, null, 0, v6, vcc_lo
	v_cmp_eq_u32_e32 vcc_lo, s37, v4
	s_wait_alu 0xfffd
	v_cndmask_b32_e32 v3, v13, v3, vcc_lo
	v_cmp_ne_u32_e32 vcc_lo, 0, v7
	v_xor_b32_e32 v7, s34, v9
	s_wait_alu 0xfffd
	v_cndmask_b32_e32 v4, v12, v10, vcc_lo
	v_cmp_ne_u32_e64 s2, 0, v3
	v_cndmask_b32_e32 v3, v11, v8, vcc_lo
	s_wait_alu 0xf1ff
	s_delay_alu instid0(VALU_DEP_2) | instskip(NEXT) | instid1(VALU_DEP_2)
	v_cndmask_b32_e64 v4, v6, v4, s2
	v_cndmask_b32_e64 v3, v5, v3, s2
	s_delay_alu instid0(VALU_DEP_2) | instskip(NEXT) | instid1(VALU_DEP_2)
	v_xor_b32_e32 v5, v4, v7
	v_xor_b32_e32 v3, v3, v7
	s_delay_alu instid0(VALU_DEP_1) | instskip(SKIP_1) | instid1(VALU_DEP_3)
	v_sub_co_u32 v4, vcc_lo, v3, v7
	s_wait_alu 0xfffd
	v_sub_co_ci_u32_e64 v5, null, v5, v7, vcc_lo
.LBB53_5:                               ;   in Loop: Header=BB53_3 Depth=1
	s_wait_alu 0xfffe
	s_and_not1_saveexec_b32 s2, s38
	s_cbranch_execz .LBB53_7
; %bb.6:                                ;   in Loop: Header=BB53_3 Depth=1
	s_sub_co_i32 s16, 0, s8
	s_wait_alu 0xfffe
	v_mul_lo_u32 v3, s16, v18
	s_delay_alu instid0(VALU_DEP_1) | instskip(NEXT) | instid1(VALU_DEP_1)
	v_mul_hi_u32 v3, v18, v3
	v_add_nc_u32_e32 v3, v18, v3
	s_delay_alu instid0(VALU_DEP_1) | instskip(NEXT) | instid1(VALU_DEP_1)
	v_mul_hi_u32 v3, v0, v3
	v_mul_lo_u32 v4, v3, s8
	v_add_nc_u32_e32 v5, 1, v3
	s_delay_alu instid0(VALU_DEP_2) | instskip(NEXT) | instid1(VALU_DEP_1)
	v_sub_nc_u32_e32 v4, v0, v4
	v_subrev_nc_u32_e32 v6, s8, v4
	v_cmp_le_u32_e32 vcc_lo, s8, v4
	s_wait_alu 0xfffd
	s_delay_alu instid0(VALU_DEP_2) | instskip(NEXT) | instid1(VALU_DEP_1)
	v_dual_cndmask_b32 v4, v4, v6 :: v_dual_cndmask_b32 v3, v3, v5
	v_cmp_le_u32_e32 vcc_lo, s8, v4
	s_delay_alu instid0(VALU_DEP_2) | instskip(SKIP_1) | instid1(VALU_DEP_1)
	v_add_nc_u32_e32 v5, 1, v3
	s_wait_alu 0xfffd
	v_dual_cndmask_b32 v4, v3, v5 :: v_dual_mov_b32 v5, v2
.LBB53_7:                               ;   in Loop: Header=BB53_3 Depth=1
	s_wait_alu 0xfffe
	s_or_b32 exec_lo, exec_lo, s2
	s_delay_alu instid0(VALU_DEP_1) | instskip(SKIP_1) | instid1(VALU_DEP_1)
	v_or_b32_e32 v3, s31, v5
                                        ; implicit-def: $vgpr8_vgpr9
	s_mov_b32 s2, exec_lo
	v_cmpx_ne_u64_e32 0, v[2:3]
	s_wait_alu 0xfffe
	s_xor_b32 s35, exec_lo, s2
	s_cbranch_execz .LBB53_9
; %bb.8:                                ;   in Loop: Header=BB53_3 Depth=1
	s_ashr_i32 s36, s31, 31
	v_ashrrev_i32_e32 v3, 31, v5
	s_wait_alu 0xfffe
	s_mov_b32 s37, s36
	s_wait_alu 0xfffe
	s_add_nc_u64 s[38:39], s[30:31], s[36:37]
	v_add_co_u32 v6, vcc_lo, v4, v3
	s_wait_alu 0xfffe
	s_xor_b64 s[38:39], s[38:39], s[36:37]
	s_wait_alu 0xfffd
	v_add_co_ci_u32_e64 v5, null, v5, v3, vcc_lo
	s_wait_alu 0xfffe
	s_cvt_f32_u32 s2, s38
	s_cvt_f32_u32 s16, s39
	s_sub_nc_u64 s[42:43], 0, s[38:39]
	v_xor_b32_e32 v11, v6, v3
	v_xor_b32_e32 v12, v5, v3
	s_wait_alu 0xfffe
	s_fmamk_f32 s2, s16, 0x4f800000, s2
	v_xor_b32_e32 v3, s36, v3
	s_wait_alu 0xfffe
	s_delay_alu instid0(SALU_CYCLE_1) | instskip(NEXT) | instid1(TRANS32_DEP_1)
	v_s_rcp_f32 s2, s2
	s_mul_f32 s2, s2, 0x5f7ffffc
	s_wait_alu 0xfffe
	s_delay_alu instid0(SALU_CYCLE_2) | instskip(SKIP_1) | instid1(SALU_CYCLE_2)
	s_mul_f32 s16, s2, 0x2f800000
	s_wait_alu 0xfffe
	s_trunc_f32 s16, s16
	s_wait_alu 0xfffe
	s_delay_alu instid0(SALU_CYCLE_2) | instskip(SKIP_2) | instid1(SALU_CYCLE_1)
	s_fmamk_f32 s2, s16, 0xcf800000, s2
	s_cvt_u32_f32 s41, s16
	s_wait_alu 0xfffe
	s_cvt_u32_f32 s40, s2
	s_wait_alu 0xfffe
	s_delay_alu instid0(SALU_CYCLE_2)
	s_mul_u64 s[44:45], s[42:43], s[40:41]
	s_wait_alu 0xfffe
	s_mul_hi_u32 s47, s40, s45
	s_mul_i32 s46, s40, s45
	s_mul_hi_u32 s16, s40, s44
	s_mul_i32 s37, s41, s44
	s_wait_alu 0xfffe
	s_add_nc_u64 s[46:47], s[16:17], s[46:47]
	s_mul_hi_u32 s2, s41, s44
	s_mul_hi_u32 s48, s41, s45
	s_wait_alu 0xfffe
	s_add_co_u32 s16, s46, s37
	s_add_co_ci_u32 s16, s47, s2
	s_mul_i32 s44, s41, s45
	s_add_co_ci_u32 s45, s48, 0
	s_wait_alu 0xfffe
	s_add_nc_u64 s[44:45], s[16:17], s[44:45]
	s_wait_alu 0xfffe
	s_add_co_u32 s40, s40, s44
	s_cselect_b32 s2, -1, 0
	s_wait_alu 0xfffe
	s_cmp_lg_u32 s2, 0
	s_add_co_ci_u32 s41, s41, s45
	s_wait_alu 0xfffe
	s_mul_u64 s[42:43], s[42:43], s[40:41]
	s_wait_alu 0xfffe
	s_mul_hi_u32 s45, s40, s43
	s_mul_i32 s44, s40, s43
	s_mul_hi_u32 s16, s40, s42
	s_mul_i32 s37, s41, s42
	s_wait_alu 0xfffe
	s_add_nc_u64 s[44:45], s[16:17], s[44:45]
	s_mul_hi_u32 s2, s41, s42
	s_mul_hi_u32 s46, s41, s43
	s_wait_alu 0xfffe
	s_add_co_u32 s16, s44, s37
	s_add_co_ci_u32 s16, s45, s2
	s_mul_i32 s42, s41, s43
	s_add_co_ci_u32 s43, s46, 0
	s_wait_alu 0xfffe
	s_add_nc_u64 s[42:43], s[16:17], s[42:43]
	s_wait_alu 0xfffe
	s_add_co_u32 s2, s40, s42
	s_cselect_b32 s16, -1, 0
	s_wait_alu 0xfffe
	v_mul_hi_u32 v13, v11, s2
	s_cmp_lg_u32 s16, 0
	v_mad_co_u64_u32 v[7:8], null, v12, s2, 0
	s_add_co_ci_u32 s16, s41, s43
	s_wait_alu 0xfffe
	v_mad_co_u64_u32 v[5:6], null, v11, s16, 0
	v_mad_co_u64_u32 v[9:10], null, v12, s16, 0
	s_delay_alu instid0(VALU_DEP_2) | instskip(SKIP_1) | instid1(VALU_DEP_3)
	v_add_co_u32 v5, vcc_lo, v13, v5
	s_wait_alu 0xfffd
	v_add_co_ci_u32_e64 v6, null, 0, v6, vcc_lo
	s_delay_alu instid0(VALU_DEP_2) | instskip(SKIP_1) | instid1(VALU_DEP_2)
	v_add_co_u32 v5, vcc_lo, v5, v7
	s_wait_alu 0xfffd
	v_add_co_ci_u32_e32 v5, vcc_lo, v6, v8, vcc_lo
	s_wait_alu 0xfffd
	v_add_co_ci_u32_e32 v6, vcc_lo, 0, v10, vcc_lo
	s_delay_alu instid0(VALU_DEP_2) | instskip(SKIP_1) | instid1(VALU_DEP_2)
	v_add_co_u32 v7, vcc_lo, v5, v9
	s_wait_alu 0xfffd
	v_add_co_ci_u32_e64 v8, null, 0, v6, vcc_lo
	s_delay_alu instid0(VALU_DEP_2) | instskip(SKIP_1) | instid1(VALU_DEP_3)
	v_mul_lo_u32 v9, s39, v7
	v_mad_co_u64_u32 v[5:6], null, s38, v7, 0
	v_mul_lo_u32 v10, s38, v8
	s_delay_alu instid0(VALU_DEP_2) | instskip(NEXT) | instid1(VALU_DEP_2)
	v_sub_co_u32 v5, vcc_lo, v11, v5
	v_add3_u32 v6, v6, v10, v9
	v_add_co_u32 v10, s2, v7, 2
	s_wait_alu 0xf1ff
	v_add_co_ci_u32_e64 v11, null, 0, v8, s2
	s_delay_alu instid0(VALU_DEP_3) | instskip(SKIP_3) | instid1(VALU_DEP_3)
	v_sub_nc_u32_e32 v9, v12, v6
	v_sub_co_u32 v13, s2, v5, s38
	s_wait_alu 0xfffd
	v_sub_co_ci_u32_e64 v6, null, v12, v6, vcc_lo
	v_subrev_co_ci_u32_e64 v9, null, s39, v9, vcc_lo
	s_delay_alu instid0(VALU_DEP_3) | instskip(SKIP_1) | instid1(VALU_DEP_2)
	v_cmp_le_u32_e32 vcc_lo, s38, v13
	s_wait_alu 0xf1ff
	v_subrev_co_ci_u32_e64 v9, null, 0, v9, s2
	s_wait_alu 0xfffd
	v_cndmask_b32_e64 v12, 0, -1, vcc_lo
	s_delay_alu instid0(VALU_DEP_2)
	v_cmp_le_u32_e32 vcc_lo, s39, v9
	s_wait_alu 0xfffd
	v_cndmask_b32_e64 v13, 0, -1, vcc_lo
	v_cmp_le_u32_e32 vcc_lo, s38, v5
	s_wait_alu 0xfffd
	v_cndmask_b32_e64 v5, 0, -1, vcc_lo
	;; [unrolled: 3-line block ×3, first 2 shown]
	v_cmp_eq_u32_e32 vcc_lo, s39, v9
	s_wait_alu 0xfffd
	v_cndmask_b32_e32 v9, v13, v12, vcc_lo
	v_add_co_u32 v12, vcc_lo, v7, 1
	s_wait_alu 0xfffd
	v_add_co_ci_u32_e64 v13, null, 0, v8, vcc_lo
	v_cmp_eq_u32_e32 vcc_lo, s39, v6
	s_wait_alu 0xfffd
	v_cndmask_b32_e32 v5, v14, v5, vcc_lo
	v_cmp_ne_u32_e32 vcc_lo, 0, v9
	s_wait_alu 0xfffd
	v_cndmask_b32_e32 v6, v13, v11, vcc_lo
	s_delay_alu instid0(VALU_DEP_3) | instskip(SKIP_2) | instid1(VALU_DEP_2)
	v_cmp_ne_u32_e64 s2, 0, v5
	v_cndmask_b32_e32 v5, v12, v10, vcc_lo
	s_wait_alu 0xf1ff
	v_cndmask_b32_e64 v6, v8, v6, s2
	s_delay_alu instid0(VALU_DEP_2) | instskip(NEXT) | instid1(VALU_DEP_2)
	v_cndmask_b32_e64 v5, v7, v5, s2
	v_xor_b32_e32 v6, v6, v3
	s_delay_alu instid0(VALU_DEP_2) | instskip(NEXT) | instid1(VALU_DEP_1)
	v_xor_b32_e32 v5, v5, v3
	v_sub_co_u32 v8, vcc_lo, v5, v3
	s_wait_alu 0xfffd
	s_delay_alu instid0(VALU_DEP_3)
	v_sub_co_ci_u32_e64 v9, null, v6, v3, vcc_lo
.LBB53_9:                               ;   in Loop: Header=BB53_3 Depth=1
	s_wait_alu 0xfffe
	s_and_not1_saveexec_b32 s2, s35
	s_cbranch_execz .LBB53_11
; %bb.10:                               ;   in Loop: Header=BB53_3 Depth=1
	s_sub_co_i32 s16, 0, s30
	v_mov_b32_e32 v9, v2
	s_wait_alu 0xfffe
	v_mul_lo_u32 v3, s16, v19
	s_delay_alu instid0(VALU_DEP_1) | instskip(NEXT) | instid1(VALU_DEP_1)
	v_mul_hi_u32 v3, v19, v3
	v_add_nc_u32_e32 v3, v19, v3
	s_delay_alu instid0(VALU_DEP_1) | instskip(NEXT) | instid1(VALU_DEP_1)
	v_mul_hi_u32 v3, v4, v3
	v_mul_lo_u32 v5, v3, s30
	v_add_nc_u32_e32 v6, 1, v3
	s_delay_alu instid0(VALU_DEP_2) | instskip(NEXT) | instid1(VALU_DEP_1)
	v_sub_nc_u32_e32 v5, v4, v5
	v_cmp_le_u32_e32 vcc_lo, s30, v5
	v_subrev_nc_u32_e32 v7, s30, v5
	s_wait_alu 0xfffd
	v_cndmask_b32_e32 v3, v3, v6, vcc_lo
	s_delay_alu instid0(VALU_DEP_1) | instskip(NEXT) | instid1(VALU_DEP_3)
	v_add_nc_u32_e32 v6, 1, v3
	v_cndmask_b32_e32 v5, v5, v7, vcc_lo
	s_delay_alu instid0(VALU_DEP_1) | instskip(SKIP_1) | instid1(VALU_DEP_3)
	v_cmp_le_u32_e32 vcc_lo, s30, v5
	s_wait_alu 0xfffd
	v_cndmask_b32_e32 v8, v3, v6, vcc_lo
.LBB53_11:                              ;   in Loop: Header=BB53_3 Depth=1
	s_wait_alu 0xfffe
	s_or_b32 exec_lo, exec_lo, s2
	v_mad_co_u64_u32 v[5:6], null, v4, s8, 0
	s_delay_alu instid0(VALU_DEP_2) | instskip(SKIP_3) | instid1(VALU_DEP_2)
	v_mad_co_u64_u32 v[6:7], null, v8, s30, 0
	s_and_not1_b32 vcc_lo, exec_lo, s53
	v_sub_co_u32 v20, null, v0, v5
	v_sub_co_u32 v21, null, v4, v6
	v_mul_lo_u32 v3, s55, v20
	v_mul_lo_u32 v5, s56, v20
	s_delay_alu instid0(VALU_DEP_2) | instskip(NEXT) | instid1(VALU_DEP_1)
	v_mad_co_u64_u32 v[6:7], null, s22, v21, v[3:4]
	v_mad_co_u64_u32 v[4:5], null, s26, v21, v[5:6]
	s_wait_alu 0xfffe
	s_cbranch_vccnz .LBB53_38
; %bb.12:                               ;   in Loop: Header=BB53_3 Depth=1
	s_mov_b32 s35, 1
	s_and_not1_b32 vcc_lo, exec_lo, s57
	s_mov_b32 s16, s33
	s_mov_b32 s2, s33
	s_wait_alu 0xfffe
	s_cbranch_vccz .LBB53_15
; %bb.13:                               ;   in Loop: Header=BB53_3 Depth=1
	s_and_b32 vcc_lo, exec_lo, s58
	s_mov_b32 s16, s2
	s_wait_alu 0xfffe
	s_cbranch_vccnz .LBB53_20
	s_branch .LBB53_38
.LBB53_14:                              ;   in Loop: Header=BB53_15 Depth=2
	s_wait_alu 0xfffe
	s_or_b32 exec_lo, exec_lo, s2
	s_add_nc_u64 s[40:41], s[0:1], s[40:41]
	s_clause 0x1
	s_load_b32 s2, s[38:39], 0x6c
	s_load_b32 s37, s[40:41], 0x6c
	v_mul_lo_u32 v3, v10, s36
	s_add_co_i32 s16, s16, -1
	s_delay_alu instid0(VALU_DEP_1) | instskip(SKIP_2) | instid1(VALU_DEP_2)
	v_sub_nc_u32_e32 v3, v8, v3
	v_dual_mov_b32 v8, v10 :: v_dual_mov_b32 v9, v11
	s_wait_kmcnt 0x0
	v_mad_co_u64_u32 v[6:7], null, s2, v3, v[6:7]
	v_mad_co_u64_u32 v[4:5], null, s37, v3, v[4:5]
	s_xor_b32 s2, s52, s35
	s_add_co_i32 s35, s35, 1
	s_wait_alu 0xfffe
	s_cmp_lg_u32 s2, 2
	s_cbranch_scc0 .LBB53_19
.LBB53_15:                              ;   Parent Loop BB53_3 Depth=1
                                        ; =>  This Inner Loop Header: Depth=2
	s_lshl_b64 s[40:41], s[16:17], 2
                                        ; implicit-def: $vgpr10_vgpr11
	s_mov_b32 s2, exec_lo
	s_wait_alu 0xfffe
	s_add_nc_u64 s[38:39], s[12:13], s[40:41]
	s_load_b32 s36, s[38:39], 0x8
	s_wait_kmcnt 0x0
	s_ashr_i32 s37, s36, 31
	s_wait_alu 0xfffe
	v_or_b32_e32 v3, s37, v9
	s_delay_alu instid0(VALU_DEP_1)
	v_cmpx_ne_u64_e32 0, v[2:3]
	s_xor_b32 s46, exec_lo, s2
	s_cbranch_execz .LBB53_17
; %bb.16:                               ;   in Loop: Header=BB53_15 Depth=2
	s_ashr_i32 s42, s37, 31
	s_mov_b32 s63, s17
	s_wait_alu 0xfffe
	s_mov_b32 s43, s42
	s_mov_b32 s67, s17
	s_wait_alu 0xfffe
	s_add_nc_u64 s[44:45], s[36:37], s[42:43]
	v_ashrrev_i32_e32 v3, 31, v9
	s_wait_alu 0xfffe
	s_xor_b64 s[44:45], s[44:45], s[42:43]
	s_wait_alu 0xfffe
	s_cvt_f32_u32 s2, s44
	s_cvt_f32_u32 s37, s45
	s_sub_nc_u64 s[50:51], 0, s[44:45]
	v_add_co_u32 v5, vcc_lo, v8, v3
	s_wait_alu 0xfffe
	s_fmamk_f32 s2, s37, 0x4f800000, s2
	s_wait_alu 0xfffd
	v_add_co_ci_u32_e64 v7, null, v9, v3, vcc_lo
	v_xor_b32_e32 v5, v5, v3
	s_wait_alu 0xfffe
	v_s_rcp_f32 s2, s2
	s_delay_alu instid0(VALU_DEP_2) | instskip(SKIP_1) | instid1(TRANS32_DEP_1)
	v_xor_b32_e32 v7, v7, v3
	v_xor_b32_e32 v3, s42, v3
	s_mul_f32 s2, s2, 0x5f7ffffc
	s_wait_alu 0xfffe
	s_delay_alu instid0(SALU_CYCLE_2) | instskip(SKIP_1) | instid1(SALU_CYCLE_2)
	s_mul_f32 s37, s2, 0x2f800000
	s_wait_alu 0xfffe
	s_trunc_f32 s37, s37
	s_wait_alu 0xfffe
	s_delay_alu instid0(SALU_CYCLE_2) | instskip(SKIP_2) | instid1(SALU_CYCLE_1)
	s_fmamk_f32 s2, s37, 0xcf800000, s2
	s_cvt_u32_f32 s49, s37
	s_wait_alu 0xfffe
	s_cvt_u32_f32 s48, s2
	s_wait_alu 0xfffe
	s_delay_alu instid0(SALU_CYCLE_2) | instskip(NEXT) | instid1(SALU_CYCLE_1)
	s_mul_u64 s[64:65], s[50:51], s[48:49]
	s_mul_hi_u32 s69, s48, s65
	s_mul_i32 s68, s48, s65
	s_mul_hi_u32 s62, s48, s64
	s_mul_i32 s37, s49, s64
	s_wait_alu 0xfffe
	s_add_nc_u64 s[62:63], s[62:63], s[68:69]
	s_mul_hi_u32 s2, s49, s64
	s_mul_hi_u32 s43, s49, s65
	s_wait_alu 0xfffe
	s_add_co_u32 s37, s62, s37
	s_add_co_ci_u32 s66, s63, s2
	s_mul_i32 s64, s49, s65
	s_add_co_ci_u32 s65, s43, 0
	s_delay_alu instid0(SALU_CYCLE_1)
	s_add_nc_u64 s[62:63], s[66:67], s[64:65]
	s_mov_b32 s65, s17
	s_wait_alu 0xfffe
	s_add_co_u32 s48, s48, s62
	s_cselect_b32 s2, -1, 0
	s_wait_alu 0xfffe
	s_cmp_lg_u32 s2, 0
	s_add_co_ci_u32 s49, s49, s63
	s_mov_b32 s63, s17
	s_wait_alu 0xfffe
	s_mul_u64 s[50:51], s[50:51], s[48:49]
	s_wait_alu 0xfffe
	s_mul_hi_u32 s67, s48, s51
	s_mul_i32 s66, s48, s51
	s_mul_hi_u32 s64, s48, s50
	s_mul_i32 s37, s49, s50
	s_add_nc_u64 s[64:65], s[64:65], s[66:67]
	s_mul_hi_u32 s2, s49, s50
	s_mul_hi_u32 s43, s49, s51
	s_wait_alu 0xfffe
	s_add_co_u32 s37, s64, s37
	s_add_co_ci_u32 s62, s65, s2
	s_mul_i32 s50, s49, s51
	s_add_co_ci_u32 s51, s43, 0
	s_wait_alu 0xfffe
	s_add_nc_u64 s[50:51], s[62:63], s[50:51]
	s_wait_alu 0xfffe
	s_add_co_u32 s2, s48, s50
	s_cselect_b32 s37, -1, 0
	s_wait_alu 0xfffe
	v_mul_hi_u32 v15, v5, s2
	s_cmp_lg_u32 s37, 0
	v_mad_co_u64_u32 v[11:12], null, v7, s2, 0
	s_add_co_ci_u32 s37, s49, s51
	s_wait_alu 0xfffe
	v_mad_co_u64_u32 v[9:10], null, v5, s37, 0
	v_mad_co_u64_u32 v[13:14], null, v7, s37, 0
	s_delay_alu instid0(VALU_DEP_2) | instskip(SKIP_1) | instid1(VALU_DEP_3)
	v_add_co_u32 v9, vcc_lo, v15, v9
	s_wait_alu 0xfffd
	v_add_co_ci_u32_e64 v10, null, 0, v10, vcc_lo
	s_delay_alu instid0(VALU_DEP_2) | instskip(SKIP_1) | instid1(VALU_DEP_2)
	v_add_co_u32 v9, vcc_lo, v9, v11
	s_wait_alu 0xfffd
	v_add_co_ci_u32_e32 v9, vcc_lo, v10, v12, vcc_lo
	s_wait_alu 0xfffd
	v_add_co_ci_u32_e32 v10, vcc_lo, 0, v14, vcc_lo
	s_delay_alu instid0(VALU_DEP_2) | instskip(SKIP_1) | instid1(VALU_DEP_2)
	v_add_co_u32 v11, vcc_lo, v9, v13
	s_wait_alu 0xfffd
	v_add_co_ci_u32_e64 v12, null, 0, v10, vcc_lo
	s_delay_alu instid0(VALU_DEP_2) | instskip(SKIP_1) | instid1(VALU_DEP_3)
	v_mul_lo_u32 v13, s45, v11
	v_mad_co_u64_u32 v[9:10], null, s44, v11, 0
	v_mul_lo_u32 v14, s44, v12
	s_delay_alu instid0(VALU_DEP_2) | instskip(NEXT) | instid1(VALU_DEP_2)
	v_sub_co_u32 v5, vcc_lo, v5, v9
	v_add3_u32 v10, v10, v14, v13
	s_delay_alu instid0(VALU_DEP_1) | instskip(SKIP_2) | instid1(VALU_DEP_2)
	v_sub_nc_u32_e32 v13, v7, v10
	s_wait_alu 0xfffd
	v_sub_co_ci_u32_e64 v7, null, v7, v10, vcc_lo
	v_subrev_co_ci_u32_e64 v9, null, s45, v13, vcc_lo
	v_add_co_u32 v13, s2, v11, 2
	s_wait_alu 0xf1ff
	v_add_co_ci_u32_e64 v14, null, 0, v12, s2
	v_sub_co_u32 v15, s2, v5, s44
	s_wait_alu 0xf1ff
	v_subrev_co_ci_u32_e64 v9, null, 0, v9, s2
	s_delay_alu instid0(VALU_DEP_2) | instskip(SKIP_2) | instid1(VALU_DEP_3)
	v_cmp_le_u32_e32 vcc_lo, s44, v15
	s_wait_alu 0xfffd
	v_cndmask_b32_e64 v10, 0, -1, vcc_lo
	v_cmp_le_u32_e32 vcc_lo, s45, v9
	s_wait_alu 0xfffd
	v_cndmask_b32_e64 v15, 0, -1, vcc_lo
	;; [unrolled: 3-line block ×4, first 2 shown]
	v_cmp_eq_u32_e32 vcc_lo, s45, v9
	s_wait_alu 0xfffd
	v_cndmask_b32_e32 v9, v15, v10, vcc_lo
	v_add_co_u32 v10, vcc_lo, v11, 1
	s_wait_alu 0xfffd
	v_add_co_ci_u32_e64 v15, null, 0, v12, vcc_lo
	v_cmp_eq_u32_e32 vcc_lo, s45, v7
	s_wait_alu 0xfffd
	v_cndmask_b32_e32 v5, v16, v5, vcc_lo
	v_cmp_ne_u32_e32 vcc_lo, 0, v9
	s_delay_alu instid0(VALU_DEP_2) | instskip(SKIP_4) | instid1(VALU_DEP_2)
	v_cmp_ne_u32_e64 s2, 0, v5
	s_wait_alu 0xfffd
	v_cndmask_b32_e32 v5, v10, v13, vcc_lo
	v_cndmask_b32_e32 v7, v15, v14, vcc_lo
	s_wait_alu 0xf1ff
	v_cndmask_b32_e64 v5, v11, v5, s2
	s_delay_alu instid0(VALU_DEP_2) | instskip(NEXT) | instid1(VALU_DEP_2)
	v_cndmask_b32_e64 v7, v12, v7, s2
	v_xor_b32_e32 v5, v5, v3
	s_delay_alu instid0(VALU_DEP_2) | instskip(NEXT) | instid1(VALU_DEP_2)
	v_xor_b32_e32 v7, v7, v3
	v_sub_co_u32 v10, vcc_lo, v5, v3
	s_wait_alu 0xfffd
	s_delay_alu instid0(VALU_DEP_2)
	v_sub_co_ci_u32_e64 v11, null, v7, v3, vcc_lo
.LBB53_17:                              ;   in Loop: Header=BB53_15 Depth=2
	s_wait_alu 0xfffe
	s_and_not1_saveexec_b32 s2, s46
	s_cbranch_execz .LBB53_14
; %bb.18:                               ;   in Loop: Header=BB53_15 Depth=2
	v_cvt_f32_u32_e32 v3, s36
	s_sub_co_i32 s37, 0, s36
	v_mov_b32_e32 v11, v2
	s_delay_alu instid0(VALU_DEP_2) | instskip(NEXT) | instid1(TRANS32_DEP_1)
	v_rcp_iflag_f32_e32 v3, v3
	v_mul_f32_e32 v3, 0x4f7ffffe, v3
	s_delay_alu instid0(VALU_DEP_1) | instskip(SKIP_1) | instid1(VALU_DEP_1)
	v_cvt_u32_f32_e32 v3, v3
	s_wait_alu 0xfffe
	v_mul_lo_u32 v5, s37, v3
	s_delay_alu instid0(VALU_DEP_1) | instskip(NEXT) | instid1(VALU_DEP_1)
	v_mul_hi_u32 v5, v3, v5
	v_add_nc_u32_e32 v3, v3, v5
	s_delay_alu instid0(VALU_DEP_1) | instskip(NEXT) | instid1(VALU_DEP_1)
	v_mul_hi_u32 v3, v8, v3
	v_mul_lo_u32 v5, v3, s36
	v_add_nc_u32_e32 v7, 1, v3
	s_delay_alu instid0(VALU_DEP_2) | instskip(NEXT) | instid1(VALU_DEP_1)
	v_sub_nc_u32_e32 v5, v8, v5
	v_cmp_le_u32_e32 vcc_lo, s36, v5
	v_subrev_nc_u32_e32 v9, s36, v5
	s_wait_alu 0xfffd
	v_cndmask_b32_e32 v3, v3, v7, vcc_lo
	s_delay_alu instid0(VALU_DEP_1) | instskip(NEXT) | instid1(VALU_DEP_3)
	v_add_nc_u32_e32 v7, 1, v3
	v_cndmask_b32_e32 v5, v5, v9, vcc_lo
	s_delay_alu instid0(VALU_DEP_1) | instskip(SKIP_1) | instid1(VALU_DEP_3)
	v_cmp_le_u32_e32 vcc_lo, s36, v5
	s_wait_alu 0xfffd
	v_cndmask_b32_e32 v10, v3, v7, vcc_lo
	s_branch .LBB53_14
.LBB53_19:                              ;   in Loop: Header=BB53_3 Depth=1
	s_mov_b32 s2, s16
	s_and_b32 vcc_lo, exec_lo, s58
	s_wait_alu 0xfffe
	s_mov_b32 s16, s2
	s_cbranch_vccz .LBB53_38
.LBB53_20:                              ;   Parent Loop BB53_3 Depth=1
                                        ; =>  This Inner Loop Header: Depth=2
	s_wait_alu 0xfffe
	s_lshl_b64 s[46:47], s[16:17], 2
                                        ; implicit-def: $vgpr10_vgpr11
	s_mov_b32 s2, exec_lo
	s_wait_alu 0xfffe
	s_add_nc_u64 s[40:41], s[12:13], s[46:47]
	s_load_b32 s36, s[40:41], 0x8
	s_wait_kmcnt 0x0
	s_ashr_i32 s37, s36, 31
	s_wait_alu 0xfffe
	v_or_b32_e32 v3, s37, v9
	s_delay_alu instid0(VALU_DEP_1)
	v_cmpx_ne_u64_e32 0, v[2:3]
	s_xor_b32 s35, exec_lo, s2
	s_cbranch_execz .LBB53_22
; %bb.21:                               ;   in Loop: Header=BB53_20 Depth=2
	s_ashr_i32 s38, s37, 31
	s_mov_b32 s51, s17
	s_wait_alu 0xfffe
	s_mov_b32 s39, s38
	s_mov_b32 s65, s17
	s_wait_alu 0xfffe
	s_add_nc_u64 s[42:43], s[36:37], s[38:39]
	v_ashrrev_i32_e32 v3, 31, v9
	s_wait_alu 0xfffe
	s_xor_b64 s[42:43], s[42:43], s[38:39]
	s_wait_alu 0xfffe
	s_cvt_f32_u32 s2, s42
	s_cvt_f32_u32 s37, s43
	s_sub_nc_u64 s[48:49], 0, s[42:43]
	v_add_co_u32 v5, vcc_lo, v8, v3
	s_wait_alu 0xfffe
	s_fmamk_f32 s2, s37, 0x4f800000, s2
	s_wait_alu 0xfffd
	v_add_co_ci_u32_e64 v7, null, v9, v3, vcc_lo
	v_xor_b32_e32 v5, v5, v3
	s_wait_alu 0xfffe
	v_s_rcp_f32 s2, s2
	s_delay_alu instid0(VALU_DEP_2) | instskip(SKIP_1) | instid1(TRANS32_DEP_1)
	v_xor_b32_e32 v7, v7, v3
	v_xor_b32_e32 v3, s38, v3
	s_mul_f32 s2, s2, 0x5f7ffffc
	s_wait_alu 0xfffe
	s_delay_alu instid0(SALU_CYCLE_2) | instskip(SKIP_1) | instid1(SALU_CYCLE_2)
	s_mul_f32 s37, s2, 0x2f800000
	s_wait_alu 0xfffe
	s_trunc_f32 s37, s37
	s_wait_alu 0xfffe
	s_delay_alu instid0(SALU_CYCLE_2) | instskip(SKIP_2) | instid1(SALU_CYCLE_1)
	s_fmamk_f32 s2, s37, 0xcf800000, s2
	s_cvt_u32_f32 s45, s37
	s_wait_alu 0xfffe
	s_cvt_u32_f32 s44, s2
	s_wait_alu 0xfffe
	s_delay_alu instid0(SALU_CYCLE_2)
	s_mul_u64 s[62:63], s[48:49], s[44:45]
	s_wait_alu 0xfffe
	s_mul_hi_u32 s67, s44, s63
	s_mul_i32 s66, s44, s63
	s_mul_hi_u32 s50, s44, s62
	s_mul_i32 s37, s45, s62
	s_wait_alu 0xfffe
	s_add_nc_u64 s[50:51], s[50:51], s[66:67]
	s_mul_hi_u32 s2, s45, s62
	s_mul_hi_u32 s39, s45, s63
	s_wait_alu 0xfffe
	s_add_co_u32 s37, s50, s37
	s_add_co_ci_u32 s64, s51, s2
	s_mul_i32 s62, s45, s63
	s_add_co_ci_u32 s63, s39, 0
	s_wait_alu 0xfffe
	s_add_nc_u64 s[50:51], s[64:65], s[62:63]
	s_mov_b32 s63, s17
	s_wait_alu 0xfffe
	s_add_co_u32 s44, s44, s50
	s_cselect_b32 s2, -1, 0
	s_wait_alu 0xfffe
	s_cmp_lg_u32 s2, 0
	s_add_co_ci_u32 s45, s45, s51
	s_mov_b32 s51, s17
	s_wait_alu 0xfffe
	s_mul_u64 s[48:49], s[48:49], s[44:45]
	s_wait_alu 0xfffe
	s_mul_hi_u32 s65, s44, s49
	s_mul_i32 s64, s44, s49
	s_mul_hi_u32 s62, s44, s48
	s_mul_i32 s37, s45, s48
	s_wait_alu 0xfffe
	s_add_nc_u64 s[62:63], s[62:63], s[64:65]
	s_mul_hi_u32 s2, s45, s48
	s_mul_hi_u32 s39, s45, s49
	s_wait_alu 0xfffe
	s_add_co_u32 s37, s62, s37
	s_add_co_ci_u32 s50, s63, s2
	s_mul_i32 s48, s45, s49
	s_add_co_ci_u32 s49, s39, 0
	s_wait_alu 0xfffe
	s_add_nc_u64 s[48:49], s[50:51], s[48:49]
	s_wait_alu 0xfffe
	s_add_co_u32 s2, s44, s48
	s_cselect_b32 s37, -1, 0
	s_wait_alu 0xfffe
	v_mul_hi_u32 v15, v5, s2
	s_cmp_lg_u32 s37, 0
	v_mad_co_u64_u32 v[11:12], null, v7, s2, 0
	s_add_co_ci_u32 s37, s45, s49
	s_wait_alu 0xfffe
	v_mad_co_u64_u32 v[9:10], null, v5, s37, 0
	v_mad_co_u64_u32 v[13:14], null, v7, s37, 0
	s_delay_alu instid0(VALU_DEP_2) | instskip(SKIP_1) | instid1(VALU_DEP_3)
	v_add_co_u32 v9, vcc_lo, v15, v9
	s_wait_alu 0xfffd
	v_add_co_ci_u32_e64 v10, null, 0, v10, vcc_lo
	s_delay_alu instid0(VALU_DEP_2) | instskip(SKIP_1) | instid1(VALU_DEP_2)
	v_add_co_u32 v9, vcc_lo, v9, v11
	s_wait_alu 0xfffd
	v_add_co_ci_u32_e32 v9, vcc_lo, v10, v12, vcc_lo
	s_wait_alu 0xfffd
	v_add_co_ci_u32_e32 v10, vcc_lo, 0, v14, vcc_lo
	s_delay_alu instid0(VALU_DEP_2) | instskip(SKIP_1) | instid1(VALU_DEP_2)
	v_add_co_u32 v11, vcc_lo, v9, v13
	s_wait_alu 0xfffd
	v_add_co_ci_u32_e64 v12, null, 0, v10, vcc_lo
	s_delay_alu instid0(VALU_DEP_2) | instskip(SKIP_1) | instid1(VALU_DEP_3)
	v_mul_lo_u32 v13, s43, v11
	v_mad_co_u64_u32 v[9:10], null, s42, v11, 0
	v_mul_lo_u32 v14, s42, v12
	s_delay_alu instid0(VALU_DEP_2) | instskip(NEXT) | instid1(VALU_DEP_2)
	v_sub_co_u32 v5, vcc_lo, v5, v9
	v_add3_u32 v10, v10, v14, v13
	s_delay_alu instid0(VALU_DEP_1) | instskip(SKIP_2) | instid1(VALU_DEP_2)
	v_sub_nc_u32_e32 v13, v7, v10
	s_wait_alu 0xfffd
	v_sub_co_ci_u32_e64 v7, null, v7, v10, vcc_lo
	v_subrev_co_ci_u32_e64 v9, null, s43, v13, vcc_lo
	v_add_co_u32 v13, s2, v11, 2
	s_wait_alu 0xf1ff
	v_add_co_ci_u32_e64 v14, null, 0, v12, s2
	v_sub_co_u32 v15, s2, v5, s42
	s_wait_alu 0xf1ff
	v_subrev_co_ci_u32_e64 v9, null, 0, v9, s2
	s_delay_alu instid0(VALU_DEP_2) | instskip(SKIP_2) | instid1(VALU_DEP_3)
	v_cmp_le_u32_e32 vcc_lo, s42, v15
	s_wait_alu 0xfffd
	v_cndmask_b32_e64 v10, 0, -1, vcc_lo
	v_cmp_le_u32_e32 vcc_lo, s43, v9
	s_wait_alu 0xfffd
	v_cndmask_b32_e64 v15, 0, -1, vcc_lo
	;; [unrolled: 3-line block ×4, first 2 shown]
	v_cmp_eq_u32_e32 vcc_lo, s43, v9
	s_wait_alu 0xfffd
	v_cndmask_b32_e32 v9, v15, v10, vcc_lo
	v_add_co_u32 v10, vcc_lo, v11, 1
	s_wait_alu 0xfffd
	v_add_co_ci_u32_e64 v15, null, 0, v12, vcc_lo
	v_cmp_eq_u32_e32 vcc_lo, s43, v7
	s_wait_alu 0xfffd
	v_cndmask_b32_e32 v5, v16, v5, vcc_lo
	v_cmp_ne_u32_e32 vcc_lo, 0, v9
	s_delay_alu instid0(VALU_DEP_2) | instskip(SKIP_4) | instid1(VALU_DEP_2)
	v_cmp_ne_u32_e64 s2, 0, v5
	s_wait_alu 0xfffd
	v_cndmask_b32_e32 v5, v10, v13, vcc_lo
	v_cndmask_b32_e32 v7, v15, v14, vcc_lo
	s_wait_alu 0xf1ff
	v_cndmask_b32_e64 v5, v11, v5, s2
	s_delay_alu instid0(VALU_DEP_2) | instskip(NEXT) | instid1(VALU_DEP_2)
	v_cndmask_b32_e64 v7, v12, v7, s2
	v_xor_b32_e32 v5, v5, v3
	s_delay_alu instid0(VALU_DEP_2) | instskip(NEXT) | instid1(VALU_DEP_2)
	v_xor_b32_e32 v7, v7, v3
	v_sub_co_u32 v10, vcc_lo, v5, v3
	s_wait_alu 0xfffd
	s_delay_alu instid0(VALU_DEP_2)
	v_sub_co_ci_u32_e64 v11, null, v7, v3, vcc_lo
.LBB53_22:                              ;   in Loop: Header=BB53_20 Depth=2
	s_wait_alu 0xfffe
	s_and_not1_saveexec_b32 s2, s35
	s_cbranch_execz .LBB53_24
; %bb.23:                               ;   in Loop: Header=BB53_20 Depth=2
	v_cvt_f32_u32_e32 v3, s36
	s_sub_co_i32 s35, 0, s36
	v_mov_b32_e32 v11, v2
	s_delay_alu instid0(VALU_DEP_2) | instskip(NEXT) | instid1(TRANS32_DEP_1)
	v_rcp_iflag_f32_e32 v3, v3
	v_mul_f32_e32 v3, 0x4f7ffffe, v3
	s_delay_alu instid0(VALU_DEP_1) | instskip(SKIP_1) | instid1(VALU_DEP_1)
	v_cvt_u32_f32_e32 v3, v3
	s_wait_alu 0xfffe
	v_mul_lo_u32 v5, s35, v3
	s_delay_alu instid0(VALU_DEP_1) | instskip(NEXT) | instid1(VALU_DEP_1)
	v_mul_hi_u32 v5, v3, v5
	v_add_nc_u32_e32 v3, v3, v5
	s_delay_alu instid0(VALU_DEP_1) | instskip(NEXT) | instid1(VALU_DEP_1)
	v_mul_hi_u32 v3, v8, v3
	v_mul_lo_u32 v5, v3, s36
	v_add_nc_u32_e32 v7, 1, v3
	s_delay_alu instid0(VALU_DEP_2) | instskip(NEXT) | instid1(VALU_DEP_1)
	v_sub_nc_u32_e32 v5, v8, v5
	v_cmp_le_u32_e32 vcc_lo, s36, v5
	v_subrev_nc_u32_e32 v9, s36, v5
	s_wait_alu 0xfffd
	v_cndmask_b32_e32 v3, v3, v7, vcc_lo
	s_delay_alu instid0(VALU_DEP_1) | instskip(NEXT) | instid1(VALU_DEP_3)
	v_add_nc_u32_e32 v7, 1, v3
	v_cndmask_b32_e32 v5, v5, v9, vcc_lo
	s_delay_alu instid0(VALU_DEP_1) | instskip(SKIP_1) | instid1(VALU_DEP_3)
	v_cmp_le_u32_e32 vcc_lo, s36, v5
	s_wait_alu 0xfffd
	v_cndmask_b32_e32 v10, v3, v7, vcc_lo
.LBB53_24:                              ;   in Loop: Header=BB53_20 Depth=2
	s_wait_alu 0xfffe
	s_or_b32 exec_lo, exec_lo, s2
	s_add_co_i32 s38, s16, -1
	s_mov_b32 s39, s17
	s_add_nc_u64 s[46:47], s[0:1], s[46:47]
	s_wait_alu 0xfffe
	s_lshl_b64 s[44:45], s[38:39], 2
                                        ; implicit-def: $vgpr12_vgpr13
	s_mov_b32 s2, exec_lo
	s_wait_alu 0xfffe
	s_add_nc_u64 s[42:43], s[12:13], s[44:45]
	s_clause 0x2
	s_load_b32 s38, s[42:43], 0x8
	s_load_b32 s35, s[40:41], 0x6c
	;; [unrolled: 1-line block ×3, first 2 shown]
	s_wait_kmcnt 0x0
	s_ashr_i32 s39, s38, 31
	s_wait_alu 0xfffe
	v_or_b32_e32 v3, s39, v11
	s_delay_alu instid0(VALU_DEP_1)
	v_cmpx_ne_u64_e32 0, v[2:3]
	s_xor_b32 s48, exec_lo, s2
	s_cbranch_execz .LBB53_26
; %bb.25:                               ;   in Loop: Header=BB53_20 Depth=2
	s_ashr_i32 s40, s39, 31
	s_mov_b32 s65, s17
	s_wait_alu 0xfffe
	s_mov_b32 s41, s40
	s_mov_b32 s69, s17
	s_wait_alu 0xfffe
	s_add_nc_u64 s[46:47], s[38:39], s[40:41]
	v_ashrrev_i32_e32 v3, 31, v11
	s_wait_alu 0xfffe
	s_xor_b64 s[46:47], s[46:47], s[40:41]
	s_wait_alu 0xfffe
	s_cvt_f32_u32 s2, s46
	s_cvt_f32_u32 s39, s47
	s_sub_nc_u64 s[62:63], 0, s[46:47]
	v_add_co_u32 v5, vcc_lo, v10, v3
	s_wait_alu 0xfffe
	s_fmamk_f32 s2, s39, 0x4f800000, s2
	s_wait_alu 0xfffd
	v_add_co_ci_u32_e64 v7, null, v11, v3, vcc_lo
	v_xor_b32_e32 v5, v5, v3
	s_wait_alu 0xfffe
	v_s_rcp_f32 s2, s2
	s_delay_alu instid0(VALU_DEP_2) | instskip(SKIP_1) | instid1(TRANS32_DEP_1)
	v_xor_b32_e32 v7, v7, v3
	v_xor_b32_e32 v3, s40, v3
	s_mul_f32 s2, s2, 0x5f7ffffc
	s_wait_alu 0xfffe
	s_delay_alu instid0(SALU_CYCLE_2) | instskip(SKIP_1) | instid1(SALU_CYCLE_2)
	s_mul_f32 s39, s2, 0x2f800000
	s_wait_alu 0xfffe
	s_trunc_f32 s39, s39
	s_wait_alu 0xfffe
	s_delay_alu instid0(SALU_CYCLE_2) | instskip(SKIP_2) | instid1(SALU_CYCLE_1)
	s_fmamk_f32 s2, s39, 0xcf800000, s2
	s_cvt_u32_f32 s51, s39
	s_wait_alu 0xfffe
	s_cvt_u32_f32 s50, s2
	s_wait_alu 0xfffe
	s_delay_alu instid0(SALU_CYCLE_2) | instskip(NEXT) | instid1(SALU_CYCLE_1)
	s_mul_u64 s[66:67], s[62:63], s[50:51]
	s_mul_hi_u32 s71, s50, s67
	s_mul_i32 s70, s50, s67
	s_mul_hi_u32 s64, s50, s66
	s_mul_i32 s39, s51, s66
	s_add_nc_u64 s[64:65], s[64:65], s[70:71]
	s_mul_hi_u32 s2, s51, s66
	s_mul_hi_u32 s41, s51, s67
	s_wait_alu 0xfffe
	s_add_co_u32 s39, s64, s39
	s_add_co_ci_u32 s68, s65, s2
	s_mul_i32 s66, s51, s67
	s_add_co_ci_u32 s67, s41, 0
	s_delay_alu instid0(SALU_CYCLE_1)
	s_add_nc_u64 s[64:65], s[68:69], s[66:67]
	s_mov_b32 s67, s17
	s_add_co_u32 s50, s50, s64
	s_cselect_b32 s2, -1, 0
	s_wait_alu 0xfffe
	s_cmp_lg_u32 s2, 0
	s_add_co_ci_u32 s51, s51, s65
	s_mov_b32 s65, s17
	s_wait_alu 0xfffe
	s_mul_u64 s[62:63], s[62:63], s[50:51]
	s_wait_alu 0xfffe
	s_mul_hi_u32 s69, s50, s63
	s_mul_i32 s68, s50, s63
	s_mul_hi_u32 s66, s50, s62
	s_mul_i32 s39, s51, s62
	s_add_nc_u64 s[66:67], s[66:67], s[68:69]
	s_mul_hi_u32 s2, s51, s62
	s_mul_hi_u32 s41, s51, s63
	s_wait_alu 0xfffe
	s_add_co_u32 s39, s66, s39
	s_add_co_ci_u32 s64, s67, s2
	s_mul_i32 s62, s51, s63
	s_add_co_ci_u32 s63, s41, 0
	s_wait_alu 0xfffe
	s_add_nc_u64 s[62:63], s[64:65], s[62:63]
	s_wait_alu 0xfffe
	s_add_co_u32 s2, s50, s62
	s_cselect_b32 s39, -1, 0
	s_wait_alu 0xfffe
	v_mul_hi_u32 v9, v5, s2
	s_cmp_lg_u32 s39, 0
	v_mad_co_u64_u32 v[13:14], null, v7, s2, 0
	s_add_co_ci_u32 s39, s51, s63
	s_wait_alu 0xfffe
	v_mad_co_u64_u32 v[11:12], null, v5, s39, 0
	v_mad_co_u64_u32 v[15:16], null, v7, s39, 0
	s_delay_alu instid0(VALU_DEP_2) | instskip(SKIP_1) | instid1(VALU_DEP_3)
	v_add_co_u32 v9, vcc_lo, v9, v11
	s_wait_alu 0xfffd
	v_add_co_ci_u32_e64 v11, null, 0, v12, vcc_lo
	s_delay_alu instid0(VALU_DEP_2) | instskip(SKIP_1) | instid1(VALU_DEP_2)
	v_add_co_u32 v9, vcc_lo, v9, v13
	s_wait_alu 0xfffd
	v_add_co_ci_u32_e32 v9, vcc_lo, v11, v14, vcc_lo
	s_wait_alu 0xfffd
	v_add_co_ci_u32_e32 v11, vcc_lo, 0, v16, vcc_lo
	s_delay_alu instid0(VALU_DEP_2) | instskip(SKIP_1) | instid1(VALU_DEP_2)
	v_add_co_u32 v9, vcc_lo, v9, v15
	s_wait_alu 0xfffd
	v_add_co_ci_u32_e64 v13, null, 0, v11, vcc_lo
	s_delay_alu instid0(VALU_DEP_2) | instskip(SKIP_1) | instid1(VALU_DEP_3)
	v_mul_lo_u32 v14, s47, v9
	v_mad_co_u64_u32 v[11:12], null, s46, v9, 0
	v_mul_lo_u32 v15, s46, v13
	s_delay_alu instid0(VALU_DEP_2) | instskip(NEXT) | instid1(VALU_DEP_2)
	v_sub_co_u32 v5, vcc_lo, v5, v11
	v_add3_u32 v12, v12, v15, v14
	s_delay_alu instid0(VALU_DEP_1) | instskip(SKIP_2) | instid1(VALU_DEP_2)
	v_sub_nc_u32_e32 v14, v7, v12
	s_wait_alu 0xfffd
	v_sub_co_ci_u32_e64 v7, null, v7, v12, vcc_lo
	v_subrev_co_ci_u32_e64 v11, null, s47, v14, vcc_lo
	v_add_co_u32 v14, s2, v9, 2
	s_wait_alu 0xf1ff
	v_add_co_ci_u32_e64 v15, null, 0, v13, s2
	v_sub_co_u32 v16, s2, v5, s46
	s_wait_alu 0xf1ff
	v_subrev_co_ci_u32_e64 v11, null, 0, v11, s2
	s_delay_alu instid0(VALU_DEP_2) | instskip(SKIP_2) | instid1(VALU_DEP_3)
	v_cmp_le_u32_e32 vcc_lo, s46, v16
	s_wait_alu 0xfffd
	v_cndmask_b32_e64 v12, 0, -1, vcc_lo
	v_cmp_le_u32_e32 vcc_lo, s47, v11
	s_wait_alu 0xfffd
	v_cndmask_b32_e64 v16, 0, -1, vcc_lo
	;; [unrolled: 3-line block ×4, first 2 shown]
	v_cmp_eq_u32_e32 vcc_lo, s47, v11
	s_wait_alu 0xfffd
	v_cndmask_b32_e32 v11, v16, v12, vcc_lo
	v_add_co_u32 v12, vcc_lo, v9, 1
	s_wait_alu 0xfffd
	v_add_co_ci_u32_e64 v16, null, 0, v13, vcc_lo
	v_cmp_eq_u32_e32 vcc_lo, s47, v7
	s_wait_alu 0xfffd
	v_cndmask_b32_e32 v5, v17, v5, vcc_lo
	v_cmp_ne_u32_e32 vcc_lo, 0, v11
	s_delay_alu instid0(VALU_DEP_2) | instskip(SKIP_4) | instid1(VALU_DEP_2)
	v_cmp_ne_u32_e64 s2, 0, v5
	s_wait_alu 0xfffd
	v_cndmask_b32_e32 v5, v12, v14, vcc_lo
	v_cndmask_b32_e32 v7, v16, v15, vcc_lo
	s_wait_alu 0xf1ff
	v_cndmask_b32_e64 v5, v9, v5, s2
	s_delay_alu instid0(VALU_DEP_2) | instskip(NEXT) | instid1(VALU_DEP_2)
	v_cndmask_b32_e64 v7, v13, v7, s2
	v_xor_b32_e32 v5, v5, v3
	s_delay_alu instid0(VALU_DEP_2) | instskip(NEXT) | instid1(VALU_DEP_2)
	v_xor_b32_e32 v7, v7, v3
	v_sub_co_u32 v12, vcc_lo, v5, v3
	s_wait_alu 0xfffd
	s_delay_alu instid0(VALU_DEP_2)
	v_sub_co_ci_u32_e64 v13, null, v7, v3, vcc_lo
.LBB53_26:                              ;   in Loop: Header=BB53_20 Depth=2
	s_wait_alu 0xfffe
	s_and_not1_saveexec_b32 s2, s48
	s_cbranch_execz .LBB53_28
; %bb.27:                               ;   in Loop: Header=BB53_20 Depth=2
	v_cvt_f32_u32_e32 v3, s38
	s_sub_co_i32 s39, 0, s38
	v_mov_b32_e32 v13, v2
	s_delay_alu instid0(VALU_DEP_2) | instskip(NEXT) | instid1(TRANS32_DEP_1)
	v_rcp_iflag_f32_e32 v3, v3
	v_mul_f32_e32 v3, 0x4f7ffffe, v3
	s_delay_alu instid0(VALU_DEP_1) | instskip(SKIP_1) | instid1(VALU_DEP_1)
	v_cvt_u32_f32_e32 v3, v3
	s_wait_alu 0xfffe
	v_mul_lo_u32 v5, s39, v3
	s_delay_alu instid0(VALU_DEP_1) | instskip(NEXT) | instid1(VALU_DEP_1)
	v_mul_hi_u32 v5, v3, v5
	v_add_nc_u32_e32 v3, v3, v5
	s_delay_alu instid0(VALU_DEP_1) | instskip(NEXT) | instid1(VALU_DEP_1)
	v_mul_hi_u32 v3, v10, v3
	v_mul_lo_u32 v5, v3, s38
	v_add_nc_u32_e32 v7, 1, v3
	s_delay_alu instid0(VALU_DEP_2) | instskip(NEXT) | instid1(VALU_DEP_1)
	v_sub_nc_u32_e32 v5, v10, v5
	v_cmp_le_u32_e32 vcc_lo, s38, v5
	v_subrev_nc_u32_e32 v9, s38, v5
	s_wait_alu 0xfffd
	v_cndmask_b32_e32 v3, v3, v7, vcc_lo
	s_delay_alu instid0(VALU_DEP_1) | instskip(NEXT) | instid1(VALU_DEP_3)
	v_add_nc_u32_e32 v7, 1, v3
	v_cndmask_b32_e32 v5, v5, v9, vcc_lo
	s_delay_alu instid0(VALU_DEP_1) | instskip(SKIP_1) | instid1(VALU_DEP_3)
	v_cmp_le_u32_e32 vcc_lo, s38, v5
	s_wait_alu 0xfffd
	v_cndmask_b32_e32 v12, v3, v7, vcc_lo
.LBB53_28:                              ;   in Loop: Header=BB53_20 Depth=2
	s_wait_alu 0xfffe
	s_or_b32 exec_lo, exec_lo, s2
	s_add_co_i32 s40, s16, -2
	s_mov_b32 s41, s17
	s_add_nc_u64 s[44:45], s[0:1], s[44:45]
	s_wait_alu 0xfffe
	s_lshl_b64 s[50:51], s[40:41], 2
                                        ; implicit-def: $vgpr14_vgpr15
	s_mov_b32 s2, exec_lo
	s_wait_alu 0xfffe
	s_add_nc_u64 s[48:49], s[12:13], s[50:51]
	s_clause 0x2
	s_load_b32 s40, s[48:49], 0x8
	s_load_b32 s39, s[42:43], 0x6c
	;; [unrolled: 1-line block ×3, first 2 shown]
	s_wait_kmcnt 0x0
	s_ashr_i32 s41, s40, 31
	s_wait_alu 0xfffe
	v_or_b32_e32 v3, s41, v13
	s_delay_alu instid0(VALU_DEP_1)
	v_cmpx_ne_u64_e32 0, v[2:3]
	s_xor_b32 s46, exec_lo, s2
	s_cbranch_execz .LBB53_30
; %bb.29:                               ;   in Loop: Header=BB53_20 Depth=2
	s_ashr_i32 s42, s41, 31
	s_mov_b32 s69, s17
	s_wait_alu 0xfffe
	s_mov_b32 s43, s42
	s_mov_b32 s73, s17
	s_wait_alu 0xfffe
	s_add_nc_u64 s[44:45], s[40:41], s[42:43]
	v_ashrrev_i32_e32 v3, 31, v13
	s_wait_alu 0xfffe
	s_xor_b64 s[44:45], s[44:45], s[42:43]
	s_wait_alu 0xfffe
	s_cvt_f32_u32 s2, s44
	s_cvt_f32_u32 s41, s45
	s_sub_nc_u64 s[66:67], 0, s[44:45]
	v_add_co_u32 v5, vcc_lo, v12, v3
	s_wait_alu 0xfffe
	s_fmamk_f32 s2, s41, 0x4f800000, s2
	s_wait_alu 0xfffd
	v_add_co_ci_u32_e64 v7, null, v13, v3, vcc_lo
	v_xor_b32_e32 v5, v5, v3
	s_wait_alu 0xfffe
	v_s_rcp_f32 s2, s2
	s_delay_alu instid0(VALU_DEP_2) | instskip(SKIP_1) | instid1(TRANS32_DEP_1)
	v_xor_b32_e32 v7, v7, v3
	v_xor_b32_e32 v3, s42, v3
	s_mul_f32 s2, s2, 0x5f7ffffc
	s_wait_alu 0xfffe
	s_delay_alu instid0(SALU_CYCLE_2) | instskip(SKIP_1) | instid1(SALU_CYCLE_2)
	s_mul_f32 s41, s2, 0x2f800000
	s_wait_alu 0xfffe
	s_trunc_f32 s41, s41
	s_wait_alu 0xfffe
	s_delay_alu instid0(SALU_CYCLE_2) | instskip(SKIP_2) | instid1(SALU_CYCLE_1)
	s_fmamk_f32 s2, s41, 0xcf800000, s2
	s_cvt_u32_f32 s65, s41
	s_wait_alu 0xfffe
	s_cvt_u32_f32 s64, s2
	s_delay_alu instid0(SALU_CYCLE_3) | instskip(NEXT) | instid1(SALU_CYCLE_1)
	s_mul_u64 s[70:71], s[66:67], s[64:65]
	s_mul_hi_u32 s75, s64, s71
	s_mul_i32 s74, s64, s71
	s_mul_hi_u32 s68, s64, s70
	s_mul_i32 s41, s65, s70
	s_add_nc_u64 s[68:69], s[68:69], s[74:75]
	s_mul_hi_u32 s2, s65, s70
	s_mul_hi_u32 s43, s65, s71
	s_wait_alu 0xfffe
	s_add_co_u32 s41, s68, s41
	s_add_co_ci_u32 s72, s69, s2
	s_mul_i32 s70, s65, s71
	s_add_co_ci_u32 s71, s43, 0
	s_delay_alu instid0(SALU_CYCLE_1)
	s_add_nc_u64 s[68:69], s[72:73], s[70:71]
	s_mov_b32 s71, s17
	s_add_co_u32 s64, s64, s68
	s_cselect_b32 s2, -1, 0
	s_wait_alu 0xfffe
	s_cmp_lg_u32 s2, 0
	s_add_co_ci_u32 s65, s65, s69
	s_mov_b32 s69, s17
	s_mul_u64 s[66:67], s[66:67], s[64:65]
	s_delay_alu instid0(SALU_CYCLE_1)
	s_mul_hi_u32 s73, s64, s67
	s_mul_i32 s72, s64, s67
	s_mul_hi_u32 s70, s64, s66
	s_mul_i32 s41, s65, s66
	s_add_nc_u64 s[70:71], s[70:71], s[72:73]
	s_mul_hi_u32 s2, s65, s66
	s_mul_hi_u32 s43, s65, s67
	s_wait_alu 0xfffe
	s_add_co_u32 s41, s70, s41
	s_add_co_ci_u32 s68, s71, s2
	s_mul_i32 s66, s65, s67
	s_add_co_ci_u32 s67, s43, 0
	s_delay_alu instid0(SALU_CYCLE_1) | instskip(NEXT) | instid1(SALU_CYCLE_1)
	s_add_nc_u64 s[66:67], s[68:69], s[66:67]
	s_add_co_u32 s2, s64, s66
	s_cselect_b32 s41, -1, 0
	s_wait_alu 0xfffe
	v_mul_hi_u32 v9, v5, s2
	s_cmp_lg_u32 s41, 0
	v_mad_co_u64_u32 v[15:16], null, v7, s2, 0
	s_add_co_ci_u32 s41, s65, s67
	s_wait_alu 0xfffe
	v_mad_co_u64_u32 v[13:14], null, v5, s41, 0
	v_mad_co_u64_u32 v[22:23], null, v7, s41, 0
	s_delay_alu instid0(VALU_DEP_2) | instskip(SKIP_1) | instid1(VALU_DEP_3)
	v_add_co_u32 v9, vcc_lo, v9, v13
	s_wait_alu 0xfffd
	v_add_co_ci_u32_e64 v11, null, 0, v14, vcc_lo
	s_delay_alu instid0(VALU_DEP_2) | instskip(SKIP_1) | instid1(VALU_DEP_2)
	v_add_co_u32 v9, vcc_lo, v9, v15
	s_wait_alu 0xfffd
	v_add_co_ci_u32_e32 v9, vcc_lo, v11, v16, vcc_lo
	s_wait_alu 0xfffd
	v_add_co_ci_u32_e32 v11, vcc_lo, 0, v23, vcc_lo
	s_delay_alu instid0(VALU_DEP_2) | instskip(SKIP_1) | instid1(VALU_DEP_2)
	v_add_co_u32 v9, vcc_lo, v9, v22
	s_wait_alu 0xfffd
	v_add_co_ci_u32_e64 v11, null, 0, v11, vcc_lo
	s_delay_alu instid0(VALU_DEP_2) | instskip(SKIP_1) | instid1(VALU_DEP_3)
	v_mul_lo_u32 v15, s45, v9
	v_mad_co_u64_u32 v[13:14], null, s44, v9, 0
	v_mul_lo_u32 v16, s44, v11
	s_delay_alu instid0(VALU_DEP_2) | instskip(NEXT) | instid1(VALU_DEP_2)
	v_sub_co_u32 v5, vcc_lo, v5, v13
	v_add3_u32 v14, v14, v16, v15
	s_delay_alu instid0(VALU_DEP_1) | instskip(SKIP_2) | instid1(VALU_DEP_2)
	v_sub_nc_u32_e32 v15, v7, v14
	s_wait_alu 0xfffd
	v_sub_co_ci_u32_e64 v7, null, v7, v14, vcc_lo
	v_subrev_co_ci_u32_e64 v13, null, s45, v15, vcc_lo
	v_add_co_u32 v15, s2, v9, 2
	s_wait_alu 0xf1ff
	v_add_co_ci_u32_e64 v16, null, 0, v11, s2
	v_sub_co_u32 v17, s2, v5, s44
	s_wait_alu 0xf1ff
	v_subrev_co_ci_u32_e64 v13, null, 0, v13, s2
	s_delay_alu instid0(VALU_DEP_2) | instskip(SKIP_2) | instid1(VALU_DEP_3)
	v_cmp_le_u32_e32 vcc_lo, s44, v17
	s_wait_alu 0xfffd
	v_cndmask_b32_e64 v14, 0, -1, vcc_lo
	v_cmp_le_u32_e32 vcc_lo, s45, v13
	s_wait_alu 0xfffd
	v_cndmask_b32_e64 v17, 0, -1, vcc_lo
	;; [unrolled: 3-line block ×4, first 2 shown]
	v_cmp_eq_u32_e32 vcc_lo, s45, v13
	s_wait_alu 0xfffd
	v_cndmask_b32_e32 v13, v17, v14, vcc_lo
	v_add_co_u32 v14, vcc_lo, v9, 1
	s_wait_alu 0xfffd
	v_add_co_ci_u32_e64 v17, null, 0, v11, vcc_lo
	v_cmp_eq_u32_e32 vcc_lo, s45, v7
	s_wait_alu 0xfffd
	v_cndmask_b32_e32 v5, v22, v5, vcc_lo
	v_cmp_ne_u32_e32 vcc_lo, 0, v13
	s_delay_alu instid0(VALU_DEP_2) | instskip(SKIP_4) | instid1(VALU_DEP_2)
	v_cmp_ne_u32_e64 s2, 0, v5
	s_wait_alu 0xfffd
	v_cndmask_b32_e32 v5, v14, v15, vcc_lo
	v_cndmask_b32_e32 v7, v17, v16, vcc_lo
	s_wait_alu 0xf1ff
	v_cndmask_b32_e64 v5, v9, v5, s2
	s_delay_alu instid0(VALU_DEP_2) | instskip(NEXT) | instid1(VALU_DEP_2)
	v_cndmask_b32_e64 v7, v11, v7, s2
	v_xor_b32_e32 v5, v5, v3
	s_delay_alu instid0(VALU_DEP_2) | instskip(NEXT) | instid1(VALU_DEP_2)
	v_xor_b32_e32 v7, v7, v3
	v_sub_co_u32 v14, vcc_lo, v5, v3
	s_wait_alu 0xfffd
	s_delay_alu instid0(VALU_DEP_2)
	v_sub_co_ci_u32_e64 v15, null, v7, v3, vcc_lo
.LBB53_30:                              ;   in Loop: Header=BB53_20 Depth=2
	s_wait_alu 0xfffe
	s_and_not1_saveexec_b32 s2, s46
	s_cbranch_execz .LBB53_32
; %bb.31:                               ;   in Loop: Header=BB53_20 Depth=2
	v_cvt_f32_u32_e32 v3, s40
	s_sub_co_i32 s41, 0, s40
	v_mov_b32_e32 v15, v2
	s_delay_alu instid0(VALU_DEP_2) | instskip(NEXT) | instid1(TRANS32_DEP_1)
	v_rcp_iflag_f32_e32 v3, v3
	v_mul_f32_e32 v3, 0x4f7ffffe, v3
	s_delay_alu instid0(VALU_DEP_1) | instskip(SKIP_1) | instid1(VALU_DEP_1)
	v_cvt_u32_f32_e32 v3, v3
	s_wait_alu 0xfffe
	v_mul_lo_u32 v5, s41, v3
	s_delay_alu instid0(VALU_DEP_1) | instskip(NEXT) | instid1(VALU_DEP_1)
	v_mul_hi_u32 v5, v3, v5
	v_add_nc_u32_e32 v3, v3, v5
	s_delay_alu instid0(VALU_DEP_1) | instskip(NEXT) | instid1(VALU_DEP_1)
	v_mul_hi_u32 v3, v12, v3
	v_mul_lo_u32 v5, v3, s40
	v_add_nc_u32_e32 v7, 1, v3
	s_delay_alu instid0(VALU_DEP_2) | instskip(NEXT) | instid1(VALU_DEP_1)
	v_sub_nc_u32_e32 v5, v12, v5
	v_cmp_le_u32_e32 vcc_lo, s40, v5
	v_subrev_nc_u32_e32 v9, s40, v5
	s_wait_alu 0xfffd
	v_cndmask_b32_e32 v3, v3, v7, vcc_lo
	s_delay_alu instid0(VALU_DEP_1) | instskip(NEXT) | instid1(VALU_DEP_3)
	v_add_nc_u32_e32 v7, 1, v3
	v_cndmask_b32_e32 v5, v5, v9, vcc_lo
	s_delay_alu instid0(VALU_DEP_1) | instskip(SKIP_1) | instid1(VALU_DEP_3)
	v_cmp_le_u32_e32 vcc_lo, s40, v5
	s_wait_alu 0xfffd
	v_cndmask_b32_e32 v14, v3, v7, vcc_lo
.LBB53_32:                              ;   in Loop: Header=BB53_20 Depth=2
	s_wait_alu 0xfffe
	s_or_b32 exec_lo, exec_lo, s2
	s_add_co_i32 s42, s16, -3
	s_mov_b32 s43, s17
	s_add_nc_u64 s[50:51], s[0:1], s[50:51]
	s_wait_alu 0xfffe
	s_lshl_b64 s[46:47], s[42:43], 2
                                        ; implicit-def: $vgpr16_vgpr17
	s_mov_b32 s2, exec_lo
	s_wait_alu 0xfffe
	s_add_nc_u64 s[44:45], s[12:13], s[46:47]
	s_clause 0x2
	s_load_b32 s42, s[44:45], 0x8
	s_load_b32 s41, s[48:49], 0x6c
	;; [unrolled: 1-line block ×3, first 2 shown]
	s_wait_kmcnt 0x0
	s_ashr_i32 s43, s42, 31
	s_wait_alu 0xfffe
	v_or_b32_e32 v3, s43, v15
	s_delay_alu instid0(VALU_DEP_1)
	v_cmpx_ne_u64_e32 0, v[2:3]
	s_xor_b32 s64, exec_lo, s2
	s_cbranch_execz .LBB53_34
; %bb.33:                               ;   in Loop: Header=BB53_20 Depth=2
	s_ashr_i32 s48, s43, 31
	s_mov_b32 s71, s17
	s_wait_alu 0xfffe
	s_mov_b32 s49, s48
	s_mov_b32 s75, s17
	s_wait_alu 0xfffe
	s_add_nc_u64 s[50:51], s[42:43], s[48:49]
	v_ashrrev_i32_e32 v3, 31, v15
	s_wait_alu 0xfffe
	s_xor_b64 s[50:51], s[50:51], s[48:49]
	s_wait_alu 0xfffe
	s_cvt_f32_u32 s2, s50
	s_cvt_f32_u32 s43, s51
	s_sub_nc_u64 s[68:69], 0, s[50:51]
	v_add_co_u32 v5, vcc_lo, v14, v3
	s_wait_alu 0xfffe
	s_fmamk_f32 s2, s43, 0x4f800000, s2
	s_wait_alu 0xfffd
	v_add_co_ci_u32_e64 v7, null, v15, v3, vcc_lo
	v_xor_b32_e32 v5, v5, v3
	s_wait_alu 0xfffe
	v_s_rcp_f32 s2, s2
	s_delay_alu instid0(VALU_DEP_2) | instskip(SKIP_1) | instid1(TRANS32_DEP_1)
	v_xor_b32_e32 v7, v7, v3
	v_xor_b32_e32 v3, s48, v3
	s_mul_f32 s2, s2, 0x5f7ffffc
	s_wait_alu 0xfffe
	s_delay_alu instid0(SALU_CYCLE_2) | instskip(SKIP_1) | instid1(SALU_CYCLE_2)
	s_mul_f32 s43, s2, 0x2f800000
	s_wait_alu 0xfffe
	s_trunc_f32 s43, s43
	s_wait_alu 0xfffe
	s_delay_alu instid0(SALU_CYCLE_2) | instskip(SKIP_2) | instid1(SALU_CYCLE_1)
	s_fmamk_f32 s2, s43, 0xcf800000, s2
	s_cvt_u32_f32 s67, s43
	s_wait_alu 0xfffe
	s_cvt_u32_f32 s66, s2
	s_delay_alu instid0(SALU_CYCLE_3) | instskip(NEXT) | instid1(SALU_CYCLE_1)
	s_mul_u64 s[72:73], s[68:69], s[66:67]
	s_mul_hi_u32 s77, s66, s73
	s_mul_i32 s76, s66, s73
	s_mul_hi_u32 s70, s66, s72
	s_mul_i32 s43, s67, s72
	s_add_nc_u64 s[70:71], s[70:71], s[76:77]
	s_mul_hi_u32 s2, s67, s72
	s_mul_hi_u32 s49, s67, s73
	s_wait_alu 0xfffe
	s_add_co_u32 s43, s70, s43
	s_add_co_ci_u32 s74, s71, s2
	s_mul_i32 s72, s67, s73
	s_add_co_ci_u32 s73, s49, 0
	s_delay_alu instid0(SALU_CYCLE_1)
	s_add_nc_u64 s[70:71], s[74:75], s[72:73]
	s_mov_b32 s73, s17
	s_add_co_u32 s66, s66, s70
	s_cselect_b32 s2, -1, 0
	s_wait_alu 0xfffe
	s_cmp_lg_u32 s2, 0
	s_add_co_ci_u32 s67, s67, s71
	s_mov_b32 s71, s17
	s_mul_u64 s[68:69], s[68:69], s[66:67]
	s_delay_alu instid0(SALU_CYCLE_1)
	s_mul_hi_u32 s75, s66, s69
	s_mul_i32 s74, s66, s69
	s_mul_hi_u32 s72, s66, s68
	s_mul_i32 s43, s67, s68
	s_add_nc_u64 s[72:73], s[72:73], s[74:75]
	s_mul_hi_u32 s2, s67, s68
	s_mul_hi_u32 s49, s67, s69
	s_wait_alu 0xfffe
	s_add_co_u32 s43, s72, s43
	s_add_co_ci_u32 s70, s73, s2
	s_mul_i32 s68, s67, s69
	s_add_co_ci_u32 s69, s49, 0
	s_delay_alu instid0(SALU_CYCLE_1) | instskip(NEXT) | instid1(SALU_CYCLE_1)
	s_add_nc_u64 s[68:69], s[70:71], s[68:69]
	s_add_co_u32 s2, s66, s68
	s_cselect_b32 s43, -1, 0
	s_wait_alu 0xfffe
	v_mul_hi_u32 v9, v5, s2
	s_cmp_lg_u32 s43, 0
	v_mad_co_u64_u32 v[22:23], null, v7, s2, 0
	s_add_co_ci_u32 s43, s67, s69
	s_wait_alu 0xfffe
	v_mad_co_u64_u32 v[15:16], null, v5, s43, 0
	v_mad_co_u64_u32 v[24:25], null, v7, s43, 0
	s_delay_alu instid0(VALU_DEP_2) | instskip(SKIP_1) | instid1(VALU_DEP_3)
	v_add_co_u32 v9, vcc_lo, v9, v15
	s_wait_alu 0xfffd
	v_add_co_ci_u32_e64 v11, null, 0, v16, vcc_lo
	s_delay_alu instid0(VALU_DEP_2) | instskip(SKIP_1) | instid1(VALU_DEP_2)
	v_add_co_u32 v9, vcc_lo, v9, v22
	s_wait_alu 0xfffd
	v_add_co_ci_u32_e32 v9, vcc_lo, v11, v23, vcc_lo
	s_wait_alu 0xfffd
	v_add_co_ci_u32_e32 v11, vcc_lo, 0, v25, vcc_lo
	s_delay_alu instid0(VALU_DEP_2) | instskip(SKIP_1) | instid1(VALU_DEP_2)
	v_add_co_u32 v9, vcc_lo, v9, v24
	s_wait_alu 0xfffd
	v_add_co_ci_u32_e64 v11, null, 0, v11, vcc_lo
	s_delay_alu instid0(VALU_DEP_2) | instskip(SKIP_1) | instid1(VALU_DEP_3)
	v_mul_lo_u32 v13, s51, v9
	v_mad_co_u64_u32 v[15:16], null, s50, v9, 0
	v_mul_lo_u32 v17, s50, v11
	s_delay_alu instid0(VALU_DEP_2) | instskip(NEXT) | instid1(VALU_DEP_2)
	v_sub_co_u32 v5, vcc_lo, v5, v15
	v_add3_u32 v13, v16, v17, v13
	s_delay_alu instid0(VALU_DEP_1) | instskip(SKIP_2) | instid1(VALU_DEP_2)
	v_sub_nc_u32_e32 v16, v7, v13
	s_wait_alu 0xfffd
	v_sub_co_ci_u32_e64 v7, null, v7, v13, vcc_lo
	v_subrev_co_ci_u32_e64 v15, null, s51, v16, vcc_lo
	v_add_co_u32 v16, s2, v9, 2
	s_wait_alu 0xf1ff
	v_add_co_ci_u32_e64 v17, null, 0, v11, s2
	v_sub_co_u32 v22, s2, v5, s50
	s_wait_alu 0xf1ff
	v_subrev_co_ci_u32_e64 v15, null, 0, v15, s2
	s_delay_alu instid0(VALU_DEP_2) | instskip(SKIP_2) | instid1(VALU_DEP_3)
	v_cmp_le_u32_e32 vcc_lo, s50, v22
	s_wait_alu 0xfffd
	v_cndmask_b32_e64 v13, 0, -1, vcc_lo
	v_cmp_le_u32_e32 vcc_lo, s51, v15
	s_wait_alu 0xfffd
	v_cndmask_b32_e64 v22, 0, -1, vcc_lo
	;; [unrolled: 3-line block ×4, first 2 shown]
	v_cmp_eq_u32_e32 vcc_lo, s51, v15
	s_wait_alu 0xfffd
	v_cndmask_b32_e32 v13, v22, v13, vcc_lo
	v_add_co_u32 v15, vcc_lo, v9, 1
	s_wait_alu 0xfffd
	v_add_co_ci_u32_e64 v22, null, 0, v11, vcc_lo
	v_cmp_eq_u32_e32 vcc_lo, s51, v7
	s_wait_alu 0xfffd
	v_cndmask_b32_e32 v5, v23, v5, vcc_lo
	v_cmp_ne_u32_e32 vcc_lo, 0, v13
	s_delay_alu instid0(VALU_DEP_2) | instskip(SKIP_4) | instid1(VALU_DEP_2)
	v_cmp_ne_u32_e64 s2, 0, v5
	s_wait_alu 0xfffd
	v_cndmask_b32_e32 v5, v15, v16, vcc_lo
	v_cndmask_b32_e32 v7, v22, v17, vcc_lo
	s_wait_alu 0xf1ff
	v_cndmask_b32_e64 v5, v9, v5, s2
	s_delay_alu instid0(VALU_DEP_2) | instskip(NEXT) | instid1(VALU_DEP_2)
	v_cndmask_b32_e64 v7, v11, v7, s2
	v_xor_b32_e32 v5, v5, v3
	s_delay_alu instid0(VALU_DEP_2) | instskip(NEXT) | instid1(VALU_DEP_2)
	v_xor_b32_e32 v7, v7, v3
	v_sub_co_u32 v16, vcc_lo, v5, v3
	s_wait_alu 0xfffd
	s_delay_alu instid0(VALU_DEP_2)
	v_sub_co_ci_u32_e64 v17, null, v7, v3, vcc_lo
.LBB53_34:                              ;   in Loop: Header=BB53_20 Depth=2
	s_and_not1_saveexec_b32 s2, s64
	s_cbranch_execz .LBB53_36
; %bb.35:                               ;   in Loop: Header=BB53_20 Depth=2
	v_cvt_f32_u32_e32 v3, s42
	s_sub_co_i32 s43, 0, s42
	v_mov_b32_e32 v17, v2
	s_delay_alu instid0(VALU_DEP_2) | instskip(NEXT) | instid1(TRANS32_DEP_1)
	v_rcp_iflag_f32_e32 v3, v3
	v_mul_f32_e32 v3, 0x4f7ffffe, v3
	s_delay_alu instid0(VALU_DEP_1) | instskip(SKIP_1) | instid1(VALU_DEP_1)
	v_cvt_u32_f32_e32 v3, v3
	s_wait_alu 0xfffe
	v_mul_lo_u32 v5, s43, v3
	s_delay_alu instid0(VALU_DEP_1) | instskip(NEXT) | instid1(VALU_DEP_1)
	v_mul_hi_u32 v5, v3, v5
	v_add_nc_u32_e32 v3, v3, v5
	s_delay_alu instid0(VALU_DEP_1) | instskip(NEXT) | instid1(VALU_DEP_1)
	v_mul_hi_u32 v3, v14, v3
	v_mul_lo_u32 v5, v3, s42
	v_add_nc_u32_e32 v7, 1, v3
	s_delay_alu instid0(VALU_DEP_2) | instskip(NEXT) | instid1(VALU_DEP_1)
	v_sub_nc_u32_e32 v5, v14, v5
	v_cmp_le_u32_e32 vcc_lo, s42, v5
	v_subrev_nc_u32_e32 v9, s42, v5
	s_wait_alu 0xfffd
	v_cndmask_b32_e32 v3, v3, v7, vcc_lo
	s_delay_alu instid0(VALU_DEP_1) | instskip(NEXT) | instid1(VALU_DEP_3)
	v_add_nc_u32_e32 v7, 1, v3
	v_cndmask_b32_e32 v5, v5, v9, vcc_lo
	s_delay_alu instid0(VALU_DEP_1) | instskip(SKIP_1) | instid1(VALU_DEP_3)
	v_cmp_le_u32_e32 vcc_lo, s42, v5
	s_wait_alu 0xfffd
	v_cndmask_b32_e32 v16, v3, v7, vcc_lo
.LBB53_36:                              ;   in Loop: Header=BB53_20 Depth=2
	s_wait_alu 0xfffe
	s_or_b32 exec_lo, exec_lo, s2
	s_add_nc_u64 s[46:47], s[0:1], s[46:47]
	v_mul_lo_u32 v3, v10, s36
	s_clause 0x1
	s_load_b32 s2, s[44:45], 0x6c
	s_load_b32 s36, s[46:47], 0x6c
	v_mul_lo_u32 v5, v12, s38
	v_mul_lo_u32 v7, v14, s40
	;; [unrolled: 1-line block ×3, first 2 shown]
	s_add_co_i32 s16, s16, -4
	s_wait_alu 0xfffe
	s_cmp_eq_u32 s16, -1
	v_sub_nc_u32_e32 v3, v8, v3
	s_delay_alu instid0(VALU_DEP_4) | instskip(NEXT) | instid1(VALU_DEP_4)
	v_sub_nc_u32_e32 v5, v10, v5
	v_sub_nc_u32_e32 v7, v12, v7
	s_delay_alu instid0(VALU_DEP_4) | instskip(NEXT) | instid1(VALU_DEP_4)
	v_sub_nc_u32_e32 v8, v14, v9
	v_mul_lo_u32 v9, s35, v3
	v_mul_lo_u32 v3, s37, v3
	;; [unrolled: 1-line block ×6, first 2 shown]
	s_wait_kmcnt 0x0
	v_mul_lo_u32 v12, s2, v8
	v_mul_lo_u32 v8, s36, v8
	v_add3_u32 v6, v9, v6, v10
	v_add3_u32 v3, v3, v4, v5
	s_delay_alu instid0(VALU_DEP_2) | instskip(NEXT) | instid1(VALU_DEP_2)
	v_add3_u32 v6, v11, v6, v12
	v_add3_u32 v4, v7, v3, v8
	s_cbranch_scc1 .LBB53_38
; %bb.37:                               ;   in Loop: Header=BB53_20 Depth=2
	v_dual_mov_b32 v8, v16 :: v_dual_mov_b32 v9, v17
	s_branch .LBB53_20
.LBB53_38:                              ;   in Loop: Header=BB53_3 Depth=1
	v_sub_nc_u32_e32 v5, v20, v21
	v_mov_b32_e32 v3, 0
	s_mov_b32 s2, exec_lo
	s_delay_alu instid0(VALU_DEP_2) | instskip(NEXT) | instid1(VALU_DEP_1)
	v_add_nc_u32_e32 v7, 4, v5
	v_ashrrev_i32_e32 v8, 31, v7
	s_delay_alu instid0(VALU_DEP_1)
	v_cmpx_le_i64_e64 s[4:5], v[7:8]
	s_cbranch_execz .LBB53_48
; %bb.39:                               ;   in Loop: Header=BB53_3 Depth=1
	v_dual_mov_b32 v3, 0 :: v_dual_mov_b32 v10, 0
	v_mov_b32_e32 v9, 0
	v_mov_b32_e32 v11, 0
	s_mov_b32 s16, exec_lo
	v_cmpx_gt_i32_e64 s3, v20
	s_cbranch_execz .LBB53_47
; %bb.40:                               ;   in Loop: Header=BB53_3 Depth=1
	v_ashrrev_i32_e32 v3, 31, v6
	v_add_co_u32 v7, vcc_lo, s10, v6
	v_dual_mov_b32 v9, 0 :: v_dual_add_nc_u32 v10, 1, v20
	s_wait_alu 0xfffd
	s_delay_alu instid0(VALU_DEP_3) | instskip(SKIP_1) | instid1(VALU_DEP_3)
	v_add_co_ci_u32_e64 v8, null, s11, v3, vcc_lo
	v_mov_b32_e32 v11, 0
	v_cmp_gt_i32_e32 vcc_lo, s3, v10
	v_mov_b32_e32 v10, 0
	global_load_u8 v3, v[7:8], off
	s_and_saveexec_b32 s35, vcc_lo
	s_wait_alu 0xfffe
	s_xor_b32 s35, exec_lo, s35
	s_cbranch_execz .LBB53_46
; %bb.41:                               ;   in Loop: Header=BB53_3 Depth=1
	v_add_co_u32 v7, vcc_lo, v7, s55
	s_wait_alu 0xfffd
	v_add_co_ci_u32_e64 v8, null, s59, v8, vcc_lo
	v_mov_b32_e32 v11, 0
	s_mov_b32 s36, exec_lo
	v_mov_b32_e32 v10, 0
	global_load_u8 v9, v[7:8], off
	v_add_nc_u32_e32 v7, 2, v20
	s_delay_alu instid0(VALU_DEP_1)
	v_cmpx_gt_i32_e64 s3, v7
	s_wait_alu 0xfffe
	s_xor_b32 s36, exec_lo, s36
	s_cbranch_execz .LBB53_45
; %bb.42:                               ;   in Loop: Header=BB53_3 Depth=1
	v_dual_mov_b32 v11, 0 :: v_dual_add_nc_u32 v6, s23, v6
	s_mov_b32 s37, exec_lo
	s_delay_alu instid0(VALU_DEP_1) | instskip(SKIP_2) | instid1(VALU_DEP_2)
	v_ashrrev_i32_e32 v8, 31, v6
	v_add_co_u32 v7, vcc_lo, s10, v6
	s_wait_alu 0xfffd
	v_add_co_ci_u32_e64 v8, null, s11, v8, vcc_lo
	global_load_u8 v10, v[7:8], off
	v_add_nc_u32_e32 v7, 3, v20
	s_delay_alu instid0(VALU_DEP_1)
	v_cmpx_gt_i32_e64 s3, v7
	s_wait_alu 0xfffe
	s_xor_b32 s37, exec_lo, s37
	s_cbranch_execz .LBB53_44
; %bb.43:                               ;   in Loop: Header=BB53_3 Depth=1
	v_add_nc_u32_e32 v6, s55, v6
	s_delay_alu instid0(VALU_DEP_1) | instskip(SKIP_2) | instid1(VALU_DEP_2)
	v_ashrrev_i32_e32 v7, 31, v6
	v_add_co_u32 v6, vcc_lo, s10, v6
	s_wait_alu 0xfffd
	v_add_co_ci_u32_e64 v7, null, s11, v7, vcc_lo
	global_load_u8 v11, v[6:7], off
.LBB53_44:                              ;   in Loop: Header=BB53_3 Depth=1
	s_wait_alu 0xfffe
	s_or_b32 exec_lo, exec_lo, s37
.LBB53_45:                              ;   in Loop: Header=BB53_3 Depth=1
	s_wait_alu 0xfffe
	s_or_b32 exec_lo, exec_lo, s36
.LBB53_46:                              ;   in Loop: Header=BB53_3 Depth=1
	s_wait_alu 0xfffe
	s_or_b32 exec_lo, exec_lo, s35
.LBB53_47:                              ;   in Loop: Header=BB53_3 Depth=1
	s_wait_alu 0xfffe
	s_or_b32 exec_lo, exec_lo, s16
	v_ashrrev_i32_e32 v6, 31, v5
	v_add_nc_u32_e32 v7, 1, v5
	v_add_nc_u32_e32 v14, 3, v5
	s_delay_alu instid0(VALU_DEP_3) | instskip(NEXT) | instid1(VALU_DEP_3)
	v_cmp_le_i64_e32 vcc_lo, s[18:19], v[5:6]
	v_ashrrev_i32_e32 v8, 31, v7
	v_add_nc_u32_e32 v12, 2, v5
	s_delay_alu instid0(VALU_DEP_4)
	v_ashrrev_i32_e32 v15, 31, v14
	s_wait_loadcnt 0x0
	s_wait_alu 0xfffd
	v_cndmask_b32_e32 v3, 0, v3, vcc_lo
	v_cmp_le_i64_e32 vcc_lo, s[20:21], v[7:8]
	v_ashrrev_i32_e32 v13, 31, v12
	s_delay_alu instid0(VALU_DEP_3) | instskip(SKIP_3) | instid1(VALU_DEP_2)
	v_and_b32_e32 v3, 0xff, v3
	s_wait_alu 0xfffd
	v_cndmask_b32_e32 v5, 0, v9, vcc_lo
	v_cmp_le_i64_e32 vcc_lo, s[28:29], v[14:15]
	v_lshlrev_b16 v5, 8, v5
	s_wait_alu 0xfffd
	v_cndmask_b32_e32 v6, 0, v11, vcc_lo
	v_cmp_le_i64_e32 vcc_lo, s[24:25], v[12:13]
	s_delay_alu instid0(VALU_DEP_3) | instskip(NEXT) | instid1(VALU_DEP_3)
	v_or_b32_e32 v3, v3, v5
	v_lshlrev_b16 v6, 8, v6
	s_wait_alu 0xfffd
	v_cndmask_b32_e32 v7, 0, v10, vcc_lo
	s_delay_alu instid0(VALU_DEP_3) | instskip(NEXT) | instid1(VALU_DEP_2)
	v_and_b32_e32 v3, 0xffff, v3
	v_and_b32_e32 v7, 0xff, v7
	s_delay_alu instid0(VALU_DEP_1) | instskip(NEXT) | instid1(VALU_DEP_1)
	v_or_b32_e32 v5, v7, v6
	v_lshlrev_b32_e32 v5, 16, v5
	s_delay_alu instid0(VALU_DEP_1)
	v_or_b32_e32 v3, v3, v5
.LBB53_48:                              ;   in Loop: Header=BB53_3 Depth=1
	s_wait_alu 0xfffe
	s_or_b32 exec_lo, exec_lo, s2
	s_delay_alu instid0(SALU_CYCLE_1)
	s_mov_b32 s2, exec_lo
	v_cmpx_gt_i32_e64 s3, v20
	s_cbranch_execz .LBB53_2
; %bb.49:                               ;   in Loop: Header=BB53_3 Depth=1
	v_ashrrev_i32_e32 v6, 31, v4
	v_add_co_u32 v5, vcc_lo, s14, v4
	v_add_nc_u32_e32 v7, 1, v20
	s_mov_b32 s16, exec_lo
	s_wait_alu 0xfffd
	v_add_co_ci_u32_e64 v6, null, s15, v6, vcc_lo
	global_store_b8 v[5:6], v3, off
	v_cmpx_gt_i32_e64 s3, v7
	s_wait_alu 0xfffe
	s_xor_b32 s16, exec_lo, s16
	s_cbranch_execz .LBB53_2
; %bb.50:                               ;   in Loop: Header=BB53_3 Depth=1
	v_add_co_u32 v5, vcc_lo, v5, s56
	v_lshrrev_b32_e32 v7, 8, v3
	v_add_nc_u32_e32 v8, 2, v20
	s_wait_alu 0xfffd
	v_add_co_ci_u32_e64 v6, null, s60, v6, vcc_lo
	s_mov_b32 s16, exec_lo
	global_store_b8 v[5:6], v7, off
	v_cmpx_gt_i32_e64 s3, v8
	s_wait_alu 0xfffe
	s_xor_b32 s16, exec_lo, s16
	s_cbranch_execz .LBB53_2
; %bb.51:                               ;   in Loop: Header=BB53_3 Depth=1
	v_add_nc_u32_e32 v4, s27, v4
	v_add_nc_u32_e32 v7, 3, v20
	s_mov_b32 s16, exec_lo
	s_delay_alu instid0(VALU_DEP_2) | instskip(SKIP_2) | instid1(VALU_DEP_2)
	v_ashrrev_i32_e32 v6, 31, v4
	v_add_co_u32 v5, vcc_lo, s14, v4
	s_wait_alu 0xfffd
	v_add_co_ci_u32_e64 v6, null, s15, v6, vcc_lo
	global_store_d16_hi_b8 v[5:6], v3, off
	v_cmpx_gt_i32_e64 s3, v7
	s_wait_alu 0xfffe
	s_xor_b32 s16, exec_lo, s16
	s_cbranch_execz .LBB53_2
; %bb.52:                               ;   in Loop: Header=BB53_3 Depth=1
	v_add_nc_u32_e32 v4, s56, v4
	v_lshrrev_b32_e32 v6, 24, v3
	s_delay_alu instid0(VALU_DEP_2) | instskip(SKIP_2) | instid1(VALU_DEP_2)
	v_ashrrev_i32_e32 v5, 31, v4
	v_add_co_u32 v3, vcc_lo, s14, v4
	s_wait_alu 0xfffd
	v_add_co_ci_u32_e64 v4, null, s15, v5, vcc_lo
	global_store_b8 v[3:4], v6, off
	s_branch .LBB53_2
.LBB53_53:
	s_endpgm
	.section	.rodata,"a",@progbits
	.p2align	6, 0x0
	.amdhsa_kernel _ZN2at6native16triu_tril_kernelIhiLb1ELi4ELb0EEEvNS_4cuda6detail10TensorInfoIT_T0_EENS4_IKS5_S6_EEllS6_
		.amdhsa_group_segment_fixed_size 0
		.amdhsa_private_segment_fixed_size 0
		.amdhsa_kernarg_size 712
		.amdhsa_user_sgpr_count 2
		.amdhsa_user_sgpr_dispatch_ptr 0
		.amdhsa_user_sgpr_queue_ptr 0
		.amdhsa_user_sgpr_kernarg_segment_ptr 1
		.amdhsa_user_sgpr_dispatch_id 0
		.amdhsa_user_sgpr_private_segment_size 0
		.amdhsa_wavefront_size32 1
		.amdhsa_uses_dynamic_stack 0
		.amdhsa_enable_private_segment 0
		.amdhsa_system_sgpr_workgroup_id_x 1
		.amdhsa_system_sgpr_workgroup_id_y 0
		.amdhsa_system_sgpr_workgroup_id_z 0
		.amdhsa_system_sgpr_workgroup_info 0
		.amdhsa_system_vgpr_workitem_id 0
		.amdhsa_next_free_vgpr 26
		.amdhsa_next_free_sgpr 78
		.amdhsa_reserve_vcc 1
		.amdhsa_float_round_mode_32 0
		.amdhsa_float_round_mode_16_64 0
		.amdhsa_float_denorm_mode_32 3
		.amdhsa_float_denorm_mode_16_64 3
		.amdhsa_fp16_overflow 0
		.amdhsa_workgroup_processor_mode 1
		.amdhsa_memory_ordered 1
		.amdhsa_forward_progress 1
		.amdhsa_inst_pref_size 69
		.amdhsa_round_robin_scheduling 0
		.amdhsa_exception_fp_ieee_invalid_op 0
		.amdhsa_exception_fp_denorm_src 0
		.amdhsa_exception_fp_ieee_div_zero 0
		.amdhsa_exception_fp_ieee_overflow 0
		.amdhsa_exception_fp_ieee_underflow 0
		.amdhsa_exception_fp_ieee_inexact 0
		.amdhsa_exception_int_div_zero 0
	.end_amdhsa_kernel
	.section	.text._ZN2at6native16triu_tril_kernelIhiLb1ELi4ELb0EEEvNS_4cuda6detail10TensorInfoIT_T0_EENS4_IKS5_S6_EEllS6_,"axG",@progbits,_ZN2at6native16triu_tril_kernelIhiLb1ELi4ELb0EEEvNS_4cuda6detail10TensorInfoIT_T0_EENS4_IKS5_S6_EEllS6_,comdat
.Lfunc_end53:
	.size	_ZN2at6native16triu_tril_kernelIhiLb1ELi4ELb0EEEvNS_4cuda6detail10TensorInfoIT_T0_EENS4_IKS5_S6_EEllS6_, .Lfunc_end53-_ZN2at6native16triu_tril_kernelIhiLb1ELi4ELb0EEEvNS_4cuda6detail10TensorInfoIT_T0_EENS4_IKS5_S6_EEllS6_
                                        ; -- End function
	.set _ZN2at6native16triu_tril_kernelIhiLb1ELi4ELb0EEEvNS_4cuda6detail10TensorInfoIT_T0_EENS4_IKS5_S6_EEllS6_.num_vgpr, 26
	.set _ZN2at6native16triu_tril_kernelIhiLb1ELi4ELb0EEEvNS_4cuda6detail10TensorInfoIT_T0_EENS4_IKS5_S6_EEllS6_.num_agpr, 0
	.set _ZN2at6native16triu_tril_kernelIhiLb1ELi4ELb0EEEvNS_4cuda6detail10TensorInfoIT_T0_EENS4_IKS5_S6_EEllS6_.numbered_sgpr, 78
	.set _ZN2at6native16triu_tril_kernelIhiLb1ELi4ELb0EEEvNS_4cuda6detail10TensorInfoIT_T0_EENS4_IKS5_S6_EEllS6_.num_named_barrier, 0
	.set _ZN2at6native16triu_tril_kernelIhiLb1ELi4ELb0EEEvNS_4cuda6detail10TensorInfoIT_T0_EENS4_IKS5_S6_EEllS6_.private_seg_size, 0
	.set _ZN2at6native16triu_tril_kernelIhiLb1ELi4ELb0EEEvNS_4cuda6detail10TensorInfoIT_T0_EENS4_IKS5_S6_EEllS6_.uses_vcc, 1
	.set _ZN2at6native16triu_tril_kernelIhiLb1ELi4ELb0EEEvNS_4cuda6detail10TensorInfoIT_T0_EENS4_IKS5_S6_EEllS6_.uses_flat_scratch, 0
	.set _ZN2at6native16triu_tril_kernelIhiLb1ELi4ELb0EEEvNS_4cuda6detail10TensorInfoIT_T0_EENS4_IKS5_S6_EEllS6_.has_dyn_sized_stack, 0
	.set _ZN2at6native16triu_tril_kernelIhiLb1ELi4ELb0EEEvNS_4cuda6detail10TensorInfoIT_T0_EENS4_IKS5_S6_EEllS6_.has_recursion, 0
	.set _ZN2at6native16triu_tril_kernelIhiLb1ELi4ELb0EEEvNS_4cuda6detail10TensorInfoIT_T0_EENS4_IKS5_S6_EEllS6_.has_indirect_call, 0
	.section	.AMDGPU.csdata,"",@progbits
; Kernel info:
; codeLenInByte = 8748
; TotalNumSgprs: 80
; NumVgprs: 26
; ScratchSize: 0
; MemoryBound: 0
; FloatMode: 240
; IeeeMode: 1
; LDSByteSize: 0 bytes/workgroup (compile time only)
; SGPRBlocks: 0
; VGPRBlocks: 3
; NumSGPRsForWavesPerEU: 80
; NumVGPRsForWavesPerEU: 26
; Occupancy: 16
; WaveLimiterHint : 1
; COMPUTE_PGM_RSRC2:SCRATCH_EN: 0
; COMPUTE_PGM_RSRC2:USER_SGPR: 2
; COMPUTE_PGM_RSRC2:TRAP_HANDLER: 0
; COMPUTE_PGM_RSRC2:TGID_X_EN: 1
; COMPUTE_PGM_RSRC2:TGID_Y_EN: 0
; COMPUTE_PGM_RSRC2:TGID_Z_EN: 0
; COMPUTE_PGM_RSRC2:TIDIG_COMP_CNT: 0
	.section	.text._ZN2at6native16triu_tril_kernelIhlLb1ELi4ELb1EEEvNS_4cuda6detail10TensorInfoIT_T0_EENS4_IKS5_S6_EEllS6_,"axG",@progbits,_ZN2at6native16triu_tril_kernelIhlLb1ELi4ELb1EEEvNS_4cuda6detail10TensorInfoIT_T0_EENS4_IKS5_S6_EEllS6_,comdat
	.protected	_ZN2at6native16triu_tril_kernelIhlLb1ELi4ELb1EEEvNS_4cuda6detail10TensorInfoIT_T0_EENS4_IKS5_S6_EEllS6_ ; -- Begin function _ZN2at6native16triu_tril_kernelIhlLb1ELi4ELb1EEEvNS_4cuda6detail10TensorInfoIT_T0_EENS4_IKS5_S6_EEllS6_
	.globl	_ZN2at6native16triu_tril_kernelIhlLb1ELi4ELb1EEEvNS_4cuda6detail10TensorInfoIT_T0_EENS4_IKS5_S6_EEllS6_
	.p2align	8
	.type	_ZN2at6native16triu_tril_kernelIhlLb1ELi4ELb1EEEvNS_4cuda6detail10TensorInfoIT_T0_EENS4_IKS5_S6_EEllS6_,@function
_ZN2at6native16triu_tril_kernelIhlLb1ELi4ELb1EEEvNS_4cuda6detail10TensorInfoIT_T0_EENS4_IKS5_S6_EEllS6_: ; @_ZN2at6native16triu_tril_kernelIhlLb1ELi4ELb1EEEvNS_4cuda6detail10TensorInfoIT_T0_EENS4_IKS5_S6_EEllS6_
; %bb.0:
	s_clause 0x1
	s_load_b32 s2, s[0:1], 0x364
	s_load_b128 s[4:7], s[0:1], 0x340
	v_mov_b32_e32 v2, 0
	s_mov_b32 s3, exec_lo
	s_delay_alu instid0(VALU_DEP_1)
	v_mov_b32_e32 v1, v2
	s_wait_kmcnt 0x0
	s_and_b32 s2, s2, 0xffff
	s_delay_alu instid0(VALU_DEP_1) | instid1(SALU_CYCLE_1)
	v_mad_co_u64_u32 v[0:1], null, s2, ttmp9, v[0:1]
	s_delay_alu instid0(VALU_DEP_1) | instskip(NEXT) | instid1(VALU_DEP_1)
	v_lshlrev_b64_e32 v[0:1], 2, v[0:1]
	v_cmpx_gt_i64_e64 s[6:7], v[0:1]
	s_cbranch_execz .LBB54_47
; %bb.1:
	s_load_b32 s22, s[0:1], 0x338
	s_add_nc_u64 s[12:13], s[0:1], 0x358
	s_clause 0x1
	s_load_b64 s[8:9], s[0:1], 0x350
	s_load_b64 s[10:11], s[0:1], 0x0
	s_add_nc_u64 s[28:29], s[0:1], 0x1a0
	s_load_b32 s3, s[12:13], 0x0
	s_movk_i32 s18, 0xffe0
	s_add_nc_u64 s[16:17], s[0:1], 0xb8
	s_mov_b32 s19, -1
	s_add_nc_u64 s[34:35], s[0:1], 0x190
	s_mov_b32 s65, 0
	s_wait_kmcnt 0x0
	s_add_co_i32 s14, s22, -2
	v_cvt_f32_u32_e32 v3, s8
	s_ashr_i32 s15, s14, 31
	s_add_co_i32 s20, s22, -3
	s_lshl_b64 s[12:13], s[14:15], 3
	s_ashr_i32 s23, s22, 31
	s_add_nc_u64 s[12:13], s[28:29], s[12:13]
	v_rcp_iflag_f32_e32 v3, v3
	s_load_b64 s[12:13], s[12:13], 0x8
	s_mul_i32 s24, s3, s2
	s_and_b32 s25, s20, 3
	s_lshl_b64 s[2:3], s[22:23], 3
	s_ashr_i32 s21, s20, 31
	s_and_b32 s14, s14, 3
	s_lshl_b32 s62, s24, 2
	s_cmp_lg_u32 s25, 3
	v_cmp_gt_i64_e64 s33, s[22:23], 2
	s_cselect_b32 s63, -1, 0
	s_cmp_gt_u32 s20, 2
	s_wait_alu 0xfffe
	s_add_nc_u64 s[22:23], s[0:1], s[2:3]
	s_add_nc_u64 s[24:25], s[28:29], s[2:3]
	s_cselect_b32 s64, -1, 0
	s_lshl_b64 s[2:3], s[20:21], 3
	s_mov_b32 s15, 0
	s_wait_alu 0xfffe
	s_add_nc_u64 s[30:31], s[0:1], s[2:3]
	s_add_nc_u64 s[2:3], s[28:29], s[2:3]
	s_mov_b64 s[26:27], s[14:15]
	s_add_nc_u64 s[28:29], s[30:31], 0xd0
	s_wait_kmcnt 0x0
	v_cvt_f32_u32_e32 v4, s12
	s_wait_alu 0xfffe
	s_add_nc_u64 s[30:31], s[2:3], 8
	s_ashr_i32 s36, s9, 31
	s_delay_alu instid0(VALU_DEP_1) | instskip(NEXT) | instid1(TRANS32_DEP_1)
	v_rcp_iflag_f32_e32 v4, v4
	v_dual_mul_f32 v3, 0x4f7ffffe, v3 :: v_dual_mul_f32 v4, 0x4f7ffffe, v4
	s_delay_alu instid0(VALU_DEP_1) | instskip(NEXT) | instid1(VALU_DEP_2)
	v_cvt_u32_f32_e32 v18, v3
	v_cvt_u32_f32_e32 v19, v4
	s_branch .LBB54_3
.LBB54_2:                               ;   in Loop: Header=BB54_3 Depth=1
	s_wait_alu 0xfffe
	s_or_b32 exec_lo, exec_lo, s37
	v_add_co_u32 v0, vcc_lo, v0, s62
	s_wait_alu 0xfffd
	v_add_co_ci_u32_e64 v1, null, 0, v1, vcc_lo
	s_delay_alu instid0(VALU_DEP_1) | instskip(SKIP_1) | instid1(SALU_CYCLE_1)
	v_cmp_le_i64_e32 vcc_lo, s[6:7], v[0:1]
	s_or_b32 s65, vcc_lo, s65
	s_and_not1_b32 exec_lo, exec_lo, s65
	s_cbranch_execz .LBB54_47
.LBB54_3:                               ; =>This Loop Header: Depth=1
                                        ;     Child Loop BB54_17 Depth 2
                                        ;     Child Loop BB54_22 Depth 2
	v_or_b32_e32 v3, s9, v1
                                        ; implicit-def: $vgpr6_vgpr7
	s_mov_b32 s0, exec_lo
	s_delay_alu instid0(VALU_DEP_1)
	v_cmpx_ne_u64_e32 0, v[2:3]
	s_wait_alu 0xfffe
	s_xor_b32 s1, exec_lo, s0
	s_cbranch_execz .LBB54_5
; %bb.4:                                ;   in Loop: Header=BB54_3 Depth=1
	s_mov_b32 s37, s36
	v_ashrrev_i32_e32 v9, 31, v1
	s_wait_alu 0xfffe
	s_add_nc_u64 s[2:3], s[8:9], s[36:37]
	s_wait_alu 0xfffe
	s_xor_b64 s[2:3], s[2:3], s[36:37]
	v_add_co_u32 v3, vcc_lo, v0, v9
	s_wait_alu 0xfffe
	s_cvt_f32_u32 s0, s2
	s_cvt_f32_u32 s14, s3
	s_sub_nc_u64 s[40:41], 0, s[2:3]
	s_wait_alu 0xfffd
	v_add_co_ci_u32_e64 v4, null, v1, v9, vcc_lo
	s_wait_alu 0xfffe
	s_fmamk_f32 s0, s14, 0x4f800000, s0
	v_xor_b32_e32 v10, v3, v9
	s_delay_alu instid0(VALU_DEP_2) | instskip(SKIP_2) | instid1(TRANS32_DEP_1)
	v_xor_b32_e32 v11, v4, v9
	s_wait_alu 0xfffe
	v_s_rcp_f32 s0, s0
	s_mul_f32 s0, s0, 0x5f7ffffc
	s_wait_alu 0xfffe
	s_delay_alu instid0(SALU_CYCLE_2) | instskip(SKIP_1) | instid1(SALU_CYCLE_2)
	s_mul_f32 s14, s0, 0x2f800000
	s_wait_alu 0xfffe
	s_trunc_f32 s14, s14
	s_wait_alu 0xfffe
	s_delay_alu instid0(SALU_CYCLE_2) | instskip(SKIP_2) | instid1(SALU_CYCLE_1)
	s_fmamk_f32 s0, s14, 0xcf800000, s0
	s_cvt_u32_f32 s39, s14
	s_wait_alu 0xfffe
	s_cvt_u32_f32 s38, s0
	s_wait_alu 0xfffe
	s_delay_alu instid0(SALU_CYCLE_2) | instskip(NEXT) | instid1(SALU_CYCLE_1)
	s_mul_u64 s[42:43], s[40:41], s[38:39]
	s_mul_hi_u32 s45, s38, s43
	s_mul_i32 s44, s38, s43
	s_mul_hi_u32 s14, s38, s42
	s_mul_i32 s37, s39, s42
	s_wait_alu 0xfffe
	s_add_nc_u64 s[44:45], s[14:15], s[44:45]
	s_mul_hi_u32 s0, s39, s42
	s_mul_hi_u32 s46, s39, s43
	s_wait_alu 0xfffe
	s_add_co_u32 s14, s44, s37
	s_add_co_ci_u32 s14, s45, s0
	s_mul_i32 s42, s39, s43
	s_add_co_ci_u32 s43, s46, 0
	s_wait_alu 0xfffe
	s_add_nc_u64 s[42:43], s[14:15], s[42:43]
	s_delay_alu instid0(SALU_CYCLE_1)
	s_add_co_u32 s38, s38, s42
	s_cselect_b32 s0, -1, 0
	s_wait_alu 0xfffe
	s_cmp_lg_u32 s0, 0
	s_add_co_ci_u32 s39, s39, s43
	s_wait_alu 0xfffe
	s_mul_u64 s[40:41], s[40:41], s[38:39]
	s_delay_alu instid0(SALU_CYCLE_1)
	s_mul_hi_u32 s43, s38, s41
	s_mul_i32 s42, s38, s41
	s_mul_hi_u32 s14, s38, s40
	s_mul_i32 s37, s39, s40
	s_wait_alu 0xfffe
	s_add_nc_u64 s[42:43], s[14:15], s[42:43]
	s_mul_hi_u32 s0, s39, s40
	s_mul_hi_u32 s44, s39, s41
	s_add_co_u32 s14, s42, s37
	s_wait_alu 0xfffe
	s_add_co_ci_u32 s14, s43, s0
	s_mul_i32 s40, s39, s41
	s_add_co_ci_u32 s41, s44, 0
	s_wait_alu 0xfffe
	s_add_nc_u64 s[40:41], s[14:15], s[40:41]
	s_delay_alu instid0(SALU_CYCLE_1)
	s_add_co_u32 s0, s38, s40
	s_cselect_b32 s14, -1, 0
	s_wait_alu 0xfffe
	v_mul_hi_u32 v12, v10, s0
	s_cmp_lg_u32 s14, 0
	v_mad_co_u64_u32 v[5:6], null, v11, s0, 0
	s_add_co_ci_u32 s14, s39, s41
	s_wait_alu 0xfffe
	v_mad_co_u64_u32 v[3:4], null, v10, s14, 0
	v_mad_co_u64_u32 v[7:8], null, v11, s14, 0
	s_delay_alu instid0(VALU_DEP_2) | instskip(SKIP_1) | instid1(VALU_DEP_3)
	v_add_co_u32 v3, vcc_lo, v12, v3
	s_wait_alu 0xfffd
	v_add_co_ci_u32_e64 v4, null, 0, v4, vcc_lo
	s_delay_alu instid0(VALU_DEP_2) | instskip(SKIP_1) | instid1(VALU_DEP_2)
	v_add_co_u32 v3, vcc_lo, v3, v5
	s_wait_alu 0xfffd
	v_add_co_ci_u32_e32 v3, vcc_lo, v4, v6, vcc_lo
	s_wait_alu 0xfffd
	v_add_co_ci_u32_e32 v4, vcc_lo, 0, v8, vcc_lo
	s_delay_alu instid0(VALU_DEP_2) | instskip(SKIP_1) | instid1(VALU_DEP_2)
	v_add_co_u32 v5, vcc_lo, v3, v7
	s_wait_alu 0xfffd
	v_add_co_ci_u32_e64 v6, null, 0, v4, vcc_lo
	s_delay_alu instid0(VALU_DEP_2) | instskip(SKIP_1) | instid1(VALU_DEP_3)
	v_mul_lo_u32 v7, s3, v5
	v_mad_co_u64_u32 v[3:4], null, s2, v5, 0
	v_mul_lo_u32 v8, s2, v6
	s_delay_alu instid0(VALU_DEP_2) | instskip(NEXT) | instid1(VALU_DEP_2)
	v_sub_co_u32 v3, vcc_lo, v10, v3
	v_add3_u32 v4, v4, v8, v7
	v_add_co_u32 v8, s0, v5, 2
	s_wait_alu 0xf1ff
	v_add_co_ci_u32_e64 v10, null, 0, v6, s0
	s_delay_alu instid0(VALU_DEP_3) | instskip(SKIP_3) | instid1(VALU_DEP_3)
	v_sub_nc_u32_e32 v7, v11, v4
	v_sub_co_u32 v12, s0, v3, s2
	s_wait_alu 0xfffd
	v_sub_co_ci_u32_e64 v4, null, v11, v4, vcc_lo
	v_subrev_co_ci_u32_e64 v7, null, s3, v7, vcc_lo
	s_delay_alu instid0(VALU_DEP_3) | instskip(SKIP_1) | instid1(VALU_DEP_2)
	v_cmp_le_u32_e32 vcc_lo, s2, v12
	s_wait_alu 0xf1ff
	v_subrev_co_ci_u32_e64 v7, null, 0, v7, s0
	s_wait_alu 0xfffd
	v_cndmask_b32_e64 v11, 0, -1, vcc_lo
	s_delay_alu instid0(VALU_DEP_2)
	v_cmp_le_u32_e32 vcc_lo, s3, v7
	s_wait_alu 0xfffd
	v_cndmask_b32_e64 v12, 0, -1, vcc_lo
	v_cmp_le_u32_e32 vcc_lo, s2, v3
	s_wait_alu 0xfffd
	v_cndmask_b32_e64 v3, 0, -1, vcc_lo
	;; [unrolled: 3-line block ×3, first 2 shown]
	v_cmp_eq_u32_e32 vcc_lo, s3, v7
	s_wait_alu 0xfffd
	v_cndmask_b32_e32 v7, v12, v11, vcc_lo
	v_add_co_u32 v11, vcc_lo, v5, 1
	s_wait_alu 0xfffd
	v_add_co_ci_u32_e64 v12, null, 0, v6, vcc_lo
	v_cmp_eq_u32_e32 vcc_lo, s3, v4
	s_wait_alu 0xfffd
	v_cndmask_b32_e32 v3, v13, v3, vcc_lo
	v_cmp_ne_u32_e32 vcc_lo, 0, v7
	v_xor_b32_e32 v7, s36, v9
	s_wait_alu 0xfffd
	v_cndmask_b32_e32 v4, v12, v10, vcc_lo
	v_cmp_ne_u32_e64 s0, 0, v3
	v_cndmask_b32_e32 v3, v11, v8, vcc_lo
	s_wait_alu 0xf1ff
	s_delay_alu instid0(VALU_DEP_2) | instskip(NEXT) | instid1(VALU_DEP_2)
	v_cndmask_b32_e64 v4, v6, v4, s0
	v_cndmask_b32_e64 v3, v5, v3, s0
	s_delay_alu instid0(VALU_DEP_2) | instskip(NEXT) | instid1(VALU_DEP_2)
	v_xor_b32_e32 v4, v4, v7
	v_xor_b32_e32 v3, v3, v7
	s_delay_alu instid0(VALU_DEP_1) | instskip(SKIP_1) | instid1(VALU_DEP_3)
	v_sub_co_u32 v6, vcc_lo, v3, v7
	s_wait_alu 0xfffd
	v_sub_co_ci_u32_e64 v7, null, v4, v7, vcc_lo
.LBB54_5:                               ;   in Loop: Header=BB54_3 Depth=1
	s_wait_alu 0xfffe
	s_and_not1_saveexec_b32 s0, s1
	s_cbranch_execz .LBB54_7
; %bb.6:                                ;   in Loop: Header=BB54_3 Depth=1
	s_sub_co_i32 s1, 0, s8
	v_mov_b32_e32 v7, v2
	s_wait_alu 0xfffe
	v_mul_lo_u32 v3, s1, v18
	s_delay_alu instid0(VALU_DEP_1) | instskip(NEXT) | instid1(VALU_DEP_1)
	v_mul_hi_u32 v3, v18, v3
	v_add_nc_u32_e32 v3, v18, v3
	s_delay_alu instid0(VALU_DEP_1) | instskip(NEXT) | instid1(VALU_DEP_1)
	v_mul_hi_u32 v3, v0, v3
	v_mul_lo_u32 v4, v3, s8
	v_add_nc_u32_e32 v5, 1, v3
	s_delay_alu instid0(VALU_DEP_2) | instskip(NEXT) | instid1(VALU_DEP_1)
	v_sub_nc_u32_e32 v4, v0, v4
	v_subrev_nc_u32_e32 v6, s8, v4
	v_cmp_le_u32_e32 vcc_lo, s8, v4
	s_wait_alu 0xfffd
	s_delay_alu instid0(VALU_DEP_2) | instskip(NEXT) | instid1(VALU_DEP_1)
	v_dual_cndmask_b32 v4, v4, v6 :: v_dual_cndmask_b32 v3, v3, v5
	v_cmp_le_u32_e32 vcc_lo, s8, v4
	s_delay_alu instid0(VALU_DEP_2) | instskip(SKIP_1) | instid1(VALU_DEP_1)
	v_add_nc_u32_e32 v5, 1, v3
	s_wait_alu 0xfffd
	v_cndmask_b32_e32 v6, v3, v5, vcc_lo
.LBB54_7:                               ;   in Loop: Header=BB54_3 Depth=1
	s_wait_alu 0xfffe
	s_or_b32 exec_lo, exec_lo, s0
	v_or_b32_e32 v3, s13, v7
                                        ; implicit-def: $vgpr8_vgpr9
	s_mov_b32 s0, exec_lo
	s_delay_alu instid0(VALU_DEP_1)
	v_cmpx_ne_u64_e32 0, v[2:3]
	s_wait_alu 0xfffe
	s_xor_b32 s1, exec_lo, s0
	s_cbranch_execz .LBB54_9
; %bb.8:                                ;   in Loop: Header=BB54_3 Depth=1
	s_ashr_i32 s2, s13, 31
	v_ashrrev_i32_e32 v5, 31, v7
	s_wait_alu 0xfffe
	s_mov_b32 s3, s2
	s_wait_alu 0xfffe
	s_add_nc_u64 s[38:39], s[12:13], s[2:3]
	v_add_co_u32 v3, vcc_lo, v6, v5
	s_wait_alu 0xfffe
	s_xor_b64 s[38:39], s[38:39], s[2:3]
	s_wait_alu 0xfffd
	v_add_co_ci_u32_e64 v4, null, v7, v5, vcc_lo
	s_wait_alu 0xfffe
	s_cvt_f32_u32 s0, s38
	s_cvt_f32_u32 s3, s39
	s_sub_nc_u64 s[42:43], 0, s[38:39]
	v_xor_b32_e32 v12, v3, v5
	v_xor_b32_e32 v13, v4, v5
	s_wait_alu 0xfffe
	s_fmamk_f32 s0, s3, 0x4f800000, s0
	v_xor_b32_e32 v5, s2, v5
	s_wait_alu 0xfffe
	s_delay_alu instid0(SALU_CYCLE_1) | instskip(NEXT) | instid1(TRANS32_DEP_1)
	v_s_rcp_f32 s0, s0
	s_mul_f32 s0, s0, 0x5f7ffffc
	s_wait_alu 0xfffe
	s_delay_alu instid0(SALU_CYCLE_2) | instskip(SKIP_1) | instid1(SALU_CYCLE_2)
	s_mul_f32 s3, s0, 0x2f800000
	s_wait_alu 0xfffe
	s_trunc_f32 s3, s3
	s_wait_alu 0xfffe
	s_delay_alu instid0(SALU_CYCLE_2) | instskip(SKIP_2) | instid1(SALU_CYCLE_1)
	s_fmamk_f32 s0, s3, 0xcf800000, s0
	s_cvt_u32_f32 s41, s3
	s_wait_alu 0xfffe
	s_cvt_u32_f32 s40, s0
	s_delay_alu instid0(SALU_CYCLE_3)
	s_mul_u64 s[44:45], s[42:43], s[40:41]
	s_wait_alu 0xfffe
	s_mul_hi_u32 s47, s40, s45
	s_mul_i32 s46, s40, s45
	s_mul_hi_u32 s14, s40, s44
	s_mul_i32 s3, s41, s44
	s_wait_alu 0xfffe
	s_add_nc_u64 s[46:47], s[14:15], s[46:47]
	s_mul_hi_u32 s0, s41, s44
	s_mul_hi_u32 s37, s41, s45
	s_wait_alu 0xfffe
	s_add_co_u32 s3, s46, s3
	s_add_co_ci_u32 s14, s47, s0
	s_mul_i32 s44, s41, s45
	s_add_co_ci_u32 s45, s37, 0
	s_wait_alu 0xfffe
	s_add_nc_u64 s[44:45], s[14:15], s[44:45]
	s_wait_alu 0xfffe
	s_add_co_u32 s40, s40, s44
	s_cselect_b32 s0, -1, 0
	s_wait_alu 0xfffe
	s_cmp_lg_u32 s0, 0
	s_add_co_ci_u32 s41, s41, s45
	s_delay_alu instid0(SALU_CYCLE_1) | instskip(NEXT) | instid1(SALU_CYCLE_1)
	s_mul_u64 s[42:43], s[42:43], s[40:41]
	s_mul_hi_u32 s45, s40, s43
	s_mul_i32 s44, s40, s43
	s_mul_hi_u32 s14, s40, s42
	s_mul_i32 s3, s41, s42
	s_wait_alu 0xfffe
	s_add_nc_u64 s[44:45], s[14:15], s[44:45]
	s_mul_hi_u32 s0, s41, s42
	s_mul_hi_u32 s37, s41, s43
	s_wait_alu 0xfffe
	s_add_co_u32 s3, s44, s3
	s_add_co_ci_u32 s14, s45, s0
	s_mul_i32 s42, s41, s43
	s_add_co_ci_u32 s43, s37, 0
	s_wait_alu 0xfffe
	s_add_nc_u64 s[42:43], s[14:15], s[42:43]
	s_delay_alu instid0(SALU_CYCLE_1)
	s_add_co_u32 s0, s40, s42
	s_cselect_b32 s3, -1, 0
	s_wait_alu 0xfffe
	v_mul_hi_u32 v14, v12, s0
	s_cmp_lg_u32 s3, 0
	v_mad_co_u64_u32 v[8:9], null, v13, s0, 0
	s_add_co_ci_u32 s3, s41, s43
	s_wait_alu 0xfffe
	v_mad_co_u64_u32 v[3:4], null, v12, s3, 0
	v_mad_co_u64_u32 v[10:11], null, v13, s3, 0
	s_delay_alu instid0(VALU_DEP_2) | instskip(SKIP_1) | instid1(VALU_DEP_3)
	v_add_co_u32 v3, vcc_lo, v14, v3
	s_wait_alu 0xfffd
	v_add_co_ci_u32_e64 v4, null, 0, v4, vcc_lo
	s_delay_alu instid0(VALU_DEP_2) | instskip(SKIP_1) | instid1(VALU_DEP_2)
	v_add_co_u32 v3, vcc_lo, v3, v8
	s_wait_alu 0xfffd
	v_add_co_ci_u32_e32 v3, vcc_lo, v4, v9, vcc_lo
	s_wait_alu 0xfffd
	v_add_co_ci_u32_e32 v4, vcc_lo, 0, v11, vcc_lo
	s_delay_alu instid0(VALU_DEP_2) | instskip(SKIP_1) | instid1(VALU_DEP_2)
	v_add_co_u32 v8, vcc_lo, v3, v10
	s_wait_alu 0xfffd
	v_add_co_ci_u32_e64 v9, null, 0, v4, vcc_lo
	s_delay_alu instid0(VALU_DEP_2) | instskip(SKIP_1) | instid1(VALU_DEP_3)
	v_mul_lo_u32 v10, s39, v8
	v_mad_co_u64_u32 v[3:4], null, s38, v8, 0
	v_mul_lo_u32 v11, s38, v9
	s_delay_alu instid0(VALU_DEP_2) | instskip(NEXT) | instid1(VALU_DEP_2)
	v_sub_co_u32 v3, vcc_lo, v12, v3
	v_add3_u32 v4, v4, v11, v10
	v_add_co_u32 v11, s0, v8, 2
	s_wait_alu 0xf1ff
	v_add_co_ci_u32_e64 v12, null, 0, v9, s0
	s_delay_alu instid0(VALU_DEP_3) | instskip(SKIP_3) | instid1(VALU_DEP_3)
	v_sub_nc_u32_e32 v10, v13, v4
	v_sub_co_u32 v14, s0, v3, s38
	s_wait_alu 0xfffd
	v_sub_co_ci_u32_e64 v4, null, v13, v4, vcc_lo
	v_subrev_co_ci_u32_e64 v10, null, s39, v10, vcc_lo
	s_delay_alu instid0(VALU_DEP_3) | instskip(SKIP_1) | instid1(VALU_DEP_2)
	v_cmp_le_u32_e32 vcc_lo, s38, v14
	s_wait_alu 0xf1ff
	v_subrev_co_ci_u32_e64 v10, null, 0, v10, s0
	s_wait_alu 0xfffd
	v_cndmask_b32_e64 v13, 0, -1, vcc_lo
	s_delay_alu instid0(VALU_DEP_2)
	v_cmp_le_u32_e32 vcc_lo, s39, v10
	s_wait_alu 0xfffd
	v_cndmask_b32_e64 v14, 0, -1, vcc_lo
	v_cmp_le_u32_e32 vcc_lo, s38, v3
	s_wait_alu 0xfffd
	v_cndmask_b32_e64 v3, 0, -1, vcc_lo
	;; [unrolled: 3-line block ×3, first 2 shown]
	v_cmp_eq_u32_e32 vcc_lo, s39, v10
	s_wait_alu 0xfffd
	v_cndmask_b32_e32 v10, v14, v13, vcc_lo
	v_add_co_u32 v13, vcc_lo, v8, 1
	s_wait_alu 0xfffd
	v_add_co_ci_u32_e64 v14, null, 0, v9, vcc_lo
	v_cmp_eq_u32_e32 vcc_lo, s39, v4
	s_wait_alu 0xfffd
	v_cndmask_b32_e32 v3, v15, v3, vcc_lo
	v_cmp_ne_u32_e32 vcc_lo, 0, v10
	s_delay_alu instid0(VALU_DEP_2) | instskip(SKIP_3) | instid1(VALU_DEP_1)
	v_cmp_ne_u32_e64 s0, 0, v3
	s_wait_alu 0xfffd
	v_dual_cndmask_b32 v4, v14, v12 :: v_dual_cndmask_b32 v3, v13, v11
	s_wait_alu 0xf1ff
	v_cndmask_b32_e64 v4, v9, v4, s0
	s_delay_alu instid0(VALU_DEP_2) | instskip(NEXT) | instid1(VALU_DEP_2)
	v_cndmask_b32_e64 v3, v8, v3, s0
	v_xor_b32_e32 v4, v4, v5
	s_delay_alu instid0(VALU_DEP_2) | instskip(NEXT) | instid1(VALU_DEP_1)
	v_xor_b32_e32 v3, v3, v5
	v_sub_co_u32 v8, vcc_lo, v3, v5
	s_wait_alu 0xfffd
	s_delay_alu instid0(VALU_DEP_3)
	v_sub_co_ci_u32_e64 v9, null, v4, v5, vcc_lo
.LBB54_9:                               ;   in Loop: Header=BB54_3 Depth=1
	s_wait_alu 0xfffe
	s_and_not1_saveexec_b32 s0, s1
	s_cbranch_execz .LBB54_11
; %bb.10:                               ;   in Loop: Header=BB54_3 Depth=1
	s_sub_co_i32 s1, 0, s12
	v_mov_b32_e32 v9, v2
	s_wait_alu 0xfffe
	v_mul_lo_u32 v3, s1, v19
	s_delay_alu instid0(VALU_DEP_1) | instskip(NEXT) | instid1(VALU_DEP_1)
	v_mul_hi_u32 v3, v19, v3
	v_add_nc_u32_e32 v3, v19, v3
	s_delay_alu instid0(VALU_DEP_1) | instskip(NEXT) | instid1(VALU_DEP_1)
	v_mul_hi_u32 v3, v6, v3
	v_mul_lo_u32 v4, v3, s12
	v_add_nc_u32_e32 v5, 1, v3
	s_delay_alu instid0(VALU_DEP_2) | instskip(NEXT) | instid1(VALU_DEP_1)
	v_sub_nc_u32_e32 v4, v6, v4
	v_subrev_nc_u32_e32 v8, s12, v4
	v_cmp_le_u32_e32 vcc_lo, s12, v4
	s_wait_alu 0xfffd
	s_delay_alu instid0(VALU_DEP_2) | instskip(NEXT) | instid1(VALU_DEP_1)
	v_dual_cndmask_b32 v4, v4, v8 :: v_dual_cndmask_b32 v3, v3, v5
	v_cmp_le_u32_e32 vcc_lo, s12, v4
	s_delay_alu instid0(VALU_DEP_2) | instskip(SKIP_1) | instid1(VALU_DEP_1)
	v_add_nc_u32_e32 v5, 1, v3
	s_wait_alu 0xfffd
	v_cndmask_b32_e32 v8, v3, v5, vcc_lo
.LBB54_11:                              ;   in Loop: Header=BB54_3 Depth=1
	s_wait_alu 0xfffe
	s_or_b32 exec_lo, exec_lo, s0
	v_mul_lo_u32 v5, v7, s8
	v_mul_lo_u32 v12, v6, s9
	v_mad_co_u64_u32 v[3:4], null, v6, s8, 0
	v_mul_lo_u32 v13, v9, s12
	v_mul_lo_u32 v14, v8, s13
	v_mad_co_u64_u32 v[10:11], null, v8, s12, 0
	s_mov_b32 s37, exec_lo
	v_add3_u32 v5, v4, v12, v5
	v_sub_co_u32 v4, vcc_lo, v0, v3
	v_add3_u32 v11, v11, v14, v13
	s_wait_alu 0xfffd
	s_delay_alu instid0(VALU_DEP_3) | instskip(SKIP_3) | instid1(VALU_DEP_2)
	v_sub_co_ci_u32_e64 v5, null, v1, v5, vcc_lo
	v_sub_co_u32 v20, vcc_lo, v6, v10
	s_wait_alu 0xfffd
	v_sub_co_ci_u32_e64 v21, null, v7, v11, vcc_lo
	v_sub_co_u32 v6, vcc_lo, v4, v20
	s_wait_alu 0xfffd
	s_delay_alu instid0(VALU_DEP_2) | instskip(NEXT) | instid1(VALU_DEP_1)
	v_sub_co_ci_u32_e64 v7, null, v5, v21, vcc_lo
	v_cmpx_gt_i64_e64 s[4:5], v[6:7]
	s_cbranch_execz .LBB54_2
; %bb.12:                               ;   in Loop: Header=BB54_3 Depth=1
	s_load_b128 s[0:3], s[22:23], 0xc0
	s_and_not1_b32 vcc_lo, exec_lo, s33
	s_wait_kmcnt 0x0
	v_mul_lo_u32 v3, s3, v4
	v_mul_lo_u32 v10, s2, v5
	v_mad_co_u64_u32 v[6:7], null, s2, v4, 0
	s_delay_alu instid0(VALU_DEP_1) | instskip(SKIP_2) | instid1(VALU_DEP_3)
	v_add3_u32 v7, v7, v10, v3
	v_mul_lo_u32 v3, s0, v21
	v_mul_lo_u32 v10, s1, v20
	v_mad_co_u64_u32 v[6:7], null, s0, v20, v[6:7]
	s_delay_alu instid0(VALU_DEP_1)
	v_add3_u32 v7, v10, v7, v3
	s_wait_alu 0xfffe
	s_cbranch_vccnz .LBB54_38
; %bb.13:                               ;   in Loop: Header=BB54_3 Depth=1
	s_mov_b64 s[38:39], s[26:27]
	s_mov_b64 s[40:41], s[30:31]
	s_and_not1_b32 vcc_lo, exec_lo, s63
	s_mov_b64 s[44:45], s[28:29]
	s_mov_b64 s[42:43], s[20:21]
	s_wait_alu 0xfffe
	s_cbranch_vccz .LBB54_17
.LBB54_14:                              ;   in Loop: Header=BB54_3 Depth=1
	s_and_not1_b32 vcc_lo, exec_lo, s64
	s_wait_alu 0xfffe
	s_cbranch_vccnz .LBB54_38
; %bb.15:                               ;   in Loop: Header=BB54_3 Depth=1
	s_lshl_b64 s[0:1], s[42:43], 3
	s_add_nc_u64 s[42:43], s[42:43], 1
	s_wait_alu 0xfffe
	s_add_nc_u64 s[38:39], s[16:17], s[0:1]
	s_add_nc_u64 s[40:41], s[34:35], s[0:1]
	s_branch .LBB54_22
.LBB54_16:                              ;   in Loop: Header=BB54_17 Depth=2
	s_wait_alu 0xfffe
	s_or_b32 exec_lo, exec_lo, s0
	s_load_b64 s[0:1], s[44:45], 0x0
	v_mul_lo_u32 v3, v11, s46
	v_mul_lo_u32 v14, v10, s47
	v_mad_co_u64_u32 v[12:13], null, v10, s46, 0
	s_add_nc_u64 s[38:39], s[38:39], -1
	s_add_nc_u64 s[42:43], s[42:43], -1
	s_add_nc_u64 s[44:45], s[44:45], -8
	s_wait_alu 0xfffe
	s_cmp_lg_u64 s[38:39], 0
	s_add_nc_u64 s[40:41], s[40:41], -8
	v_add3_u32 v3, v13, v14, v3
	v_sub_co_u32 v8, vcc_lo, v8, v12
	s_wait_alu 0xfffd
	s_delay_alu instid0(VALU_DEP_2) | instskip(SKIP_1) | instid1(VALU_DEP_2)
	v_sub_co_ci_u32_e64 v3, null, v9, v3, vcc_lo
	s_wait_kmcnt 0x0
	v_mul_lo_u32 v9, s1, v8
	s_delay_alu instid0(VALU_DEP_2) | instskip(SKIP_1) | instid1(VALU_DEP_1)
	v_mul_lo_u32 v3, s0, v3
	v_mad_co_u64_u32 v[6:7], null, s0, v8, v[6:7]
	v_add3_u32 v7, v9, v7, v3
	v_dual_mov_b32 v8, v10 :: v_dual_mov_b32 v9, v11
	s_cbranch_scc0 .LBB54_14
.LBB54_17:                              ;   Parent Loop BB54_3 Depth=1
                                        ; =>  This Inner Loop Header: Depth=2
	s_load_b64 s[46:47], s[40:41], 0x0
                                        ; implicit-def: $vgpr10_vgpr11
	s_mov_b32 s0, exec_lo
	s_wait_kmcnt 0x0
	v_or_b32_e32 v3, s47, v9
	s_delay_alu instid0(VALU_DEP_1)
	v_cmpx_ne_u64_e32 0, v[2:3]
	s_wait_alu 0xfffe
	s_xor_b32 s1, exec_lo, s0
	s_cbranch_execz .LBB54_19
; %bb.18:                               ;   in Loop: Header=BB54_17 Depth=2
	s_ashr_i32 s48, s47, 31
	v_ashrrev_i32_e32 v3, 31, v9
	s_wait_alu 0xfffe
	s_mov_b32 s49, s48
	s_wait_alu 0xfffe
	s_add_nc_u64 s[50:51], s[46:47], s[48:49]
	v_add_co_u32 v10, vcc_lo, v8, v3
	s_wait_alu 0xfffe
	s_xor_b64 s[50:51], s[50:51], s[48:49]
	s_wait_alu 0xfffd
	v_add_co_ci_u32_e64 v11, null, v9, v3, vcc_lo
	s_wait_alu 0xfffe
	s_cvt_f32_u32 s0, s50
	s_cvt_f32_u32 s14, s51
	s_sub_nc_u64 s[54:55], 0, s[50:51]
	v_xor_b32_e32 v16, v10, v3
	v_xor_b32_e32 v17, v11, v3
	s_wait_alu 0xfffe
	s_fmamk_f32 s0, s14, 0x4f800000, s0
	v_xor_b32_e32 v3, s48, v3
	s_wait_alu 0xfffe
	s_delay_alu instid0(SALU_CYCLE_1) | instskip(NEXT) | instid1(TRANS32_DEP_1)
	v_s_rcp_f32 s0, s0
	s_mul_f32 s0, s0, 0x5f7ffffc
	s_wait_alu 0xfffe
	s_delay_alu instid0(SALU_CYCLE_2) | instskip(SKIP_1) | instid1(SALU_CYCLE_2)
	s_mul_f32 s14, s0, 0x2f800000
	s_wait_alu 0xfffe
	s_trunc_f32 s14, s14
	s_wait_alu 0xfffe
	s_delay_alu instid0(SALU_CYCLE_2) | instskip(SKIP_2) | instid1(SALU_CYCLE_1)
	s_fmamk_f32 s0, s14, 0xcf800000, s0
	s_cvt_u32_f32 s53, s14
	s_wait_alu 0xfffe
	s_cvt_u32_f32 s52, s0
	s_wait_alu 0xfffe
	s_delay_alu instid0(SALU_CYCLE_2)
	s_mul_u64 s[56:57], s[54:55], s[52:53]
	s_wait_alu 0xfffe
	s_mul_hi_u32 s59, s52, s57
	s_mul_i32 s58, s52, s57
	s_mul_hi_u32 s14, s52, s56
	s_mul_i32 s49, s53, s56
	s_wait_alu 0xfffe
	s_add_nc_u64 s[58:59], s[14:15], s[58:59]
	s_mul_hi_u32 s0, s53, s56
	s_mul_hi_u32 s60, s53, s57
	s_wait_alu 0xfffe
	s_add_co_u32 s14, s58, s49
	s_add_co_ci_u32 s14, s59, s0
	s_mul_i32 s56, s53, s57
	s_add_co_ci_u32 s57, s60, 0
	s_wait_alu 0xfffe
	s_add_nc_u64 s[56:57], s[14:15], s[56:57]
	s_wait_alu 0xfffe
	s_add_co_u32 s52, s52, s56
	s_cselect_b32 s0, -1, 0
	s_wait_alu 0xfffe
	s_cmp_lg_u32 s0, 0
	s_add_co_ci_u32 s53, s53, s57
	s_wait_alu 0xfffe
	s_mul_u64 s[54:55], s[54:55], s[52:53]
	s_wait_alu 0xfffe
	s_mul_hi_u32 s57, s52, s55
	s_mul_i32 s56, s52, s55
	s_mul_hi_u32 s14, s52, s54
	s_mul_i32 s49, s53, s54
	s_wait_alu 0xfffe
	s_add_nc_u64 s[56:57], s[14:15], s[56:57]
	s_mul_hi_u32 s0, s53, s54
	s_mul_hi_u32 s58, s53, s55
	s_wait_alu 0xfffe
	s_add_co_u32 s14, s56, s49
	s_add_co_ci_u32 s14, s57, s0
	s_mul_i32 s54, s53, s55
	s_add_co_ci_u32 s55, s58, 0
	s_wait_alu 0xfffe
	s_add_nc_u64 s[54:55], s[14:15], s[54:55]
	s_wait_alu 0xfffe
	s_add_co_u32 s0, s52, s54
	s_cselect_b32 s14, -1, 0
	s_wait_alu 0xfffe
	v_mul_hi_u32 v22, v16, s0
	s_cmp_lg_u32 s14, 0
	v_mad_co_u64_u32 v[12:13], null, v17, s0, 0
	s_add_co_ci_u32 s14, s53, s55
	s_wait_alu 0xfffe
	v_mad_co_u64_u32 v[10:11], null, v16, s14, 0
	v_mad_co_u64_u32 v[14:15], null, v17, s14, 0
	s_delay_alu instid0(VALU_DEP_2) | instskip(SKIP_1) | instid1(VALU_DEP_3)
	v_add_co_u32 v10, vcc_lo, v22, v10
	s_wait_alu 0xfffd
	v_add_co_ci_u32_e64 v11, null, 0, v11, vcc_lo
	s_delay_alu instid0(VALU_DEP_2) | instskip(SKIP_1) | instid1(VALU_DEP_2)
	v_add_co_u32 v10, vcc_lo, v10, v12
	s_wait_alu 0xfffd
	v_add_co_ci_u32_e32 v10, vcc_lo, v11, v13, vcc_lo
	s_wait_alu 0xfffd
	v_add_co_ci_u32_e32 v11, vcc_lo, 0, v15, vcc_lo
	s_delay_alu instid0(VALU_DEP_2) | instskip(SKIP_1) | instid1(VALU_DEP_2)
	v_add_co_u32 v12, vcc_lo, v10, v14
	s_wait_alu 0xfffd
	v_add_co_ci_u32_e64 v13, null, 0, v11, vcc_lo
	s_delay_alu instid0(VALU_DEP_2) | instskip(SKIP_1) | instid1(VALU_DEP_3)
	v_mul_lo_u32 v14, s51, v12
	v_mad_co_u64_u32 v[10:11], null, s50, v12, 0
	v_mul_lo_u32 v15, s50, v13
	s_delay_alu instid0(VALU_DEP_2) | instskip(NEXT) | instid1(VALU_DEP_2)
	v_sub_co_u32 v10, vcc_lo, v16, v10
	v_add3_u32 v11, v11, v15, v14
	v_add_co_u32 v15, s0, v12, 2
	s_wait_alu 0xf1ff
	v_add_co_ci_u32_e64 v16, null, 0, v13, s0
	s_delay_alu instid0(VALU_DEP_3) | instskip(SKIP_3) | instid1(VALU_DEP_3)
	v_sub_nc_u32_e32 v14, v17, v11
	v_sub_co_u32 v22, s0, v10, s50
	s_wait_alu 0xfffd
	v_sub_co_ci_u32_e64 v11, null, v17, v11, vcc_lo
	v_subrev_co_ci_u32_e64 v14, null, s51, v14, vcc_lo
	s_delay_alu instid0(VALU_DEP_3) | instskip(SKIP_1) | instid1(VALU_DEP_2)
	v_cmp_le_u32_e32 vcc_lo, s50, v22
	s_wait_alu 0xf1ff
	v_subrev_co_ci_u32_e64 v14, null, 0, v14, s0
	s_wait_alu 0xfffd
	v_cndmask_b32_e64 v17, 0, -1, vcc_lo
	s_delay_alu instid0(VALU_DEP_2)
	v_cmp_le_u32_e32 vcc_lo, s51, v14
	s_wait_alu 0xfffd
	v_cndmask_b32_e64 v22, 0, -1, vcc_lo
	v_cmp_le_u32_e32 vcc_lo, s50, v10
	s_wait_alu 0xfffd
	v_cndmask_b32_e64 v10, 0, -1, vcc_lo
	;; [unrolled: 3-line block ×3, first 2 shown]
	v_cmp_eq_u32_e32 vcc_lo, s51, v14
	s_wait_alu 0xfffd
	v_cndmask_b32_e32 v14, v22, v17, vcc_lo
	v_add_co_u32 v17, vcc_lo, v12, 1
	s_wait_alu 0xfffd
	v_add_co_ci_u32_e64 v22, null, 0, v13, vcc_lo
	v_cmp_eq_u32_e32 vcc_lo, s51, v11
	s_wait_alu 0xfffd
	v_cndmask_b32_e32 v10, v23, v10, vcc_lo
	v_cmp_ne_u32_e32 vcc_lo, 0, v14
	s_wait_alu 0xfffd
	v_cndmask_b32_e32 v11, v22, v16, vcc_lo
	s_delay_alu instid0(VALU_DEP_3) | instskip(SKIP_2) | instid1(VALU_DEP_2)
	v_cmp_ne_u32_e64 s0, 0, v10
	v_cndmask_b32_e32 v10, v17, v15, vcc_lo
	s_wait_alu 0xf1ff
	v_cndmask_b32_e64 v11, v13, v11, s0
	s_delay_alu instid0(VALU_DEP_2) | instskip(NEXT) | instid1(VALU_DEP_2)
	v_cndmask_b32_e64 v10, v12, v10, s0
	v_xor_b32_e32 v11, v11, v3
	s_delay_alu instid0(VALU_DEP_2) | instskip(NEXT) | instid1(VALU_DEP_1)
	v_xor_b32_e32 v10, v10, v3
	v_sub_co_u32 v10, vcc_lo, v10, v3
	s_wait_alu 0xfffd
	s_delay_alu instid0(VALU_DEP_3)
	v_sub_co_ci_u32_e64 v11, null, v11, v3, vcc_lo
.LBB54_19:                              ;   in Loop: Header=BB54_17 Depth=2
	s_wait_alu 0xfffe
	s_and_not1_saveexec_b32 s0, s1
	s_cbranch_execz .LBB54_16
; %bb.20:                               ;   in Loop: Header=BB54_17 Depth=2
	v_cvt_f32_u32_e32 v3, s46
	s_sub_co_i32 s1, 0, s46
	s_delay_alu instid0(VALU_DEP_1) | instskip(NEXT) | instid1(TRANS32_DEP_1)
	v_rcp_iflag_f32_e32 v3, v3
	v_mul_f32_e32 v3, 0x4f7ffffe, v3
	s_delay_alu instid0(VALU_DEP_1) | instskip(SKIP_1) | instid1(VALU_DEP_1)
	v_cvt_u32_f32_e32 v3, v3
	s_wait_alu 0xfffe
	v_mul_lo_u32 v10, s1, v3
	s_delay_alu instid0(VALU_DEP_1) | instskip(NEXT) | instid1(VALU_DEP_1)
	v_mul_hi_u32 v10, v3, v10
	v_add_nc_u32_e32 v3, v3, v10
	s_delay_alu instid0(VALU_DEP_1) | instskip(NEXT) | instid1(VALU_DEP_1)
	v_mul_hi_u32 v3, v8, v3
	v_mul_lo_u32 v10, v3, s46
	v_add_nc_u32_e32 v11, 1, v3
	s_delay_alu instid0(VALU_DEP_2) | instskip(NEXT) | instid1(VALU_DEP_1)
	v_sub_nc_u32_e32 v10, v8, v10
	v_subrev_nc_u32_e32 v12, s46, v10
	v_cmp_le_u32_e32 vcc_lo, s46, v10
	s_wait_alu 0xfffd
	s_delay_alu instid0(VALU_DEP_2) | instskip(NEXT) | instid1(VALU_DEP_1)
	v_dual_cndmask_b32 v10, v10, v12 :: v_dual_cndmask_b32 v3, v3, v11
	v_cmp_le_u32_e32 vcc_lo, s46, v10
	s_delay_alu instid0(VALU_DEP_2) | instskip(SKIP_1) | instid1(VALU_DEP_1)
	v_add_nc_u32_e32 v11, 1, v3
	s_wait_alu 0xfffd
	v_dual_cndmask_b32 v10, v3, v11 :: v_dual_mov_b32 v11, v2
	s_branch .LBB54_16
.LBB54_21:                              ;   in Loop: Header=BB54_22 Depth=2
	s_wait_alu 0xfffe
	s_or_b32 exec_lo, exec_lo, s0
	v_mul_lo_u32 v3, v11, s44
	v_mul_lo_u32 v26, v10, s45
	v_mad_co_u64_u32 v[22:23], null, v10, s44, 0
	v_mul_lo_u32 v27, v13, s48
	v_mul_lo_u32 v28, v12, s49
	v_mad_co_u64_u32 v[24:25], null, v12, s48, 0
	s_load_b64 s[0:1], s[38:39], 0x0
	s_add_nc_u64 s[42:43], s[42:43], -4
	v_add3_u32 v3, v23, v26, v3
	v_sub_co_u32 v8, vcc_lo, v8, v22
	v_mul_lo_u32 v22, v15, s52
	v_add3_u32 v23, v25, v28, v27
	s_wait_alu 0xfffd
	v_sub_co_ci_u32_e64 v3, null, v9, v3, vcc_lo
	v_mul_lo_u32 v25, s47, v8
	v_mad_co_u64_u32 v[6:7], null, s46, v8, v[6:7]
	s_delay_alu instid0(VALU_DEP_3)
	v_mul_lo_u32 v3, s46, v3
	v_mul_lo_u32 v26, v14, s53
	v_mad_co_u64_u32 v[8:9], null, v14, s52, 0
	v_sub_co_u32 v10, vcc_lo, v10, v24
	s_wait_alu 0xfffd
	v_sub_co_ci_u32_e64 v11, null, v11, v23, vcc_lo
	v_add3_u32 v7, v25, v7, v3
	s_add_nc_u64 s[38:39], s[38:39], s[18:19]
	s_delay_alu instid0(VALU_DEP_4)
	v_add3_u32 v3, v9, v26, v22
	v_mul_lo_u32 v22, s51, v10
	v_mul_lo_u32 v11, s50, v11
	v_mad_co_u64_u32 v[6:7], null, s50, v10, v[6:7]
	v_sub_co_u32 v10, vcc_lo, v12, v8
	s_wait_alu 0xfffd
	v_sub_co_ci_u32_e64 v3, null, v13, v3, vcc_lo
	v_mul_lo_u32 v12, v17, s56
	v_mul_lo_u32 v13, v16, s57
	v_mad_co_u64_u32 v[8:9], null, v16, s56, 0
	v_add3_u32 v7, v22, v7, v11
	v_mul_lo_u32 v3, s54, v3
	s_cmp_eq_u64 s[42:43], 0
	s_add_nc_u64 s[40:41], s[40:41], s[18:19]
	s_delay_alu instid0(VALU_DEP_2) | instskip(SKIP_4) | instid1(VALU_DEP_2)
	v_mad_co_u64_u32 v[6:7], null, s54, v10, v[6:7]
	v_mul_lo_u32 v10, s55, v10
	v_add3_u32 v9, v9, v13, v12
	v_sub_co_u32 v8, vcc_lo, v14, v8
	s_wait_alu 0xfffd
	v_sub_co_ci_u32_e64 v9, null, v15, v9, vcc_lo
	s_delay_alu instid0(VALU_DEP_4) | instskip(SKIP_1) | instid1(VALU_DEP_2)
	v_add3_u32 v7, v10, v7, v3
	s_wait_kmcnt 0x0
	v_mul_lo_u32 v3, s0, v9
	v_mul_lo_u32 v9, s1, v8
	s_delay_alu instid0(VALU_DEP_3) | instskip(NEXT) | instid1(VALU_DEP_1)
	v_mad_co_u64_u32 v[6:7], null, s0, v8, v[6:7]
	v_add3_u32 v7, v9, v7, v3
	v_dual_mov_b32 v8, v16 :: v_dual_mov_b32 v9, v17
	s_cbranch_scc1 .LBB54_38
.LBB54_22:                              ;   Parent Loop BB54_3 Depth=1
                                        ; =>  This Inner Loop Header: Depth=2
	s_load_b64 s[44:45], s[40:41], 0x18
                                        ; implicit-def: $vgpr10_vgpr11
	s_mov_b32 s0, exec_lo
	s_wait_kmcnt 0x0
	v_or_b32_e32 v3, s45, v9
	s_delay_alu instid0(VALU_DEP_1)
	v_cmpx_ne_u64_e32 0, v[2:3]
	s_wait_alu 0xfffe
	s_xor_b32 s1, exec_lo, s0
	s_cbranch_execz .LBB54_24
; %bb.23:                               ;   in Loop: Header=BB54_22 Depth=2
	s_ashr_i32 s46, s45, 31
	v_ashrrev_i32_e32 v3, 31, v9
	s_wait_alu 0xfffe
	s_mov_b32 s47, s46
	s_wait_alu 0xfffe
	s_add_nc_u64 s[48:49], s[44:45], s[46:47]
	v_add_co_u32 v10, vcc_lo, v8, v3
	s_wait_alu 0xfffe
	s_xor_b64 s[48:49], s[48:49], s[46:47]
	s_wait_alu 0xfffd
	v_add_co_ci_u32_e64 v11, null, v9, v3, vcc_lo
	s_wait_alu 0xfffe
	s_cvt_f32_u32 s0, s48
	s_cvt_f32_u32 s14, s49
	s_sub_nc_u64 s[52:53], 0, s[48:49]
	v_xor_b32_e32 v16, v10, v3
	v_xor_b32_e32 v17, v11, v3
	s_wait_alu 0xfffe
	s_fmamk_f32 s0, s14, 0x4f800000, s0
	v_xor_b32_e32 v3, s46, v3
	s_wait_alu 0xfffe
	s_delay_alu instid0(SALU_CYCLE_1) | instskip(NEXT) | instid1(TRANS32_DEP_1)
	v_s_rcp_f32 s0, s0
	s_mul_f32 s0, s0, 0x5f7ffffc
	s_wait_alu 0xfffe
	s_delay_alu instid0(SALU_CYCLE_2) | instskip(SKIP_1) | instid1(SALU_CYCLE_2)
	s_mul_f32 s14, s0, 0x2f800000
	s_wait_alu 0xfffe
	s_trunc_f32 s14, s14
	s_wait_alu 0xfffe
	s_delay_alu instid0(SALU_CYCLE_2) | instskip(SKIP_2) | instid1(SALU_CYCLE_1)
	s_fmamk_f32 s0, s14, 0xcf800000, s0
	s_cvt_u32_f32 s51, s14
	s_wait_alu 0xfffe
	s_cvt_u32_f32 s50, s0
	s_wait_alu 0xfffe
	s_delay_alu instid0(SALU_CYCLE_2)
	s_mul_u64 s[54:55], s[52:53], s[50:51]
	s_wait_alu 0xfffe
	s_mul_hi_u32 s57, s50, s55
	s_mul_i32 s56, s50, s55
	s_mul_hi_u32 s14, s50, s54
	s_mul_i32 s47, s51, s54
	s_wait_alu 0xfffe
	s_add_nc_u64 s[56:57], s[14:15], s[56:57]
	s_mul_hi_u32 s0, s51, s54
	s_mul_hi_u32 s58, s51, s55
	s_wait_alu 0xfffe
	s_add_co_u32 s14, s56, s47
	s_add_co_ci_u32 s14, s57, s0
	s_mul_i32 s54, s51, s55
	s_add_co_ci_u32 s55, s58, 0
	s_wait_alu 0xfffe
	s_add_nc_u64 s[54:55], s[14:15], s[54:55]
	s_wait_alu 0xfffe
	s_add_co_u32 s50, s50, s54
	s_cselect_b32 s0, -1, 0
	s_wait_alu 0xfffe
	s_cmp_lg_u32 s0, 0
	s_add_co_ci_u32 s51, s51, s55
	s_wait_alu 0xfffe
	s_mul_u64 s[52:53], s[52:53], s[50:51]
	s_wait_alu 0xfffe
	s_mul_hi_u32 s55, s50, s53
	s_mul_i32 s54, s50, s53
	s_mul_hi_u32 s14, s50, s52
	s_mul_i32 s47, s51, s52
	s_wait_alu 0xfffe
	s_add_nc_u64 s[54:55], s[14:15], s[54:55]
	s_mul_hi_u32 s0, s51, s52
	s_mul_hi_u32 s56, s51, s53
	s_wait_alu 0xfffe
	s_add_co_u32 s14, s54, s47
	s_add_co_ci_u32 s14, s55, s0
	s_mul_i32 s52, s51, s53
	s_add_co_ci_u32 s53, s56, 0
	s_wait_alu 0xfffe
	s_add_nc_u64 s[52:53], s[14:15], s[52:53]
	s_wait_alu 0xfffe
	s_add_co_u32 s0, s50, s52
	s_cselect_b32 s14, -1, 0
	s_wait_alu 0xfffe
	v_mul_hi_u32 v22, v16, s0
	s_cmp_lg_u32 s14, 0
	v_mad_co_u64_u32 v[12:13], null, v17, s0, 0
	s_add_co_ci_u32 s14, s51, s53
	s_wait_alu 0xfffe
	v_mad_co_u64_u32 v[10:11], null, v16, s14, 0
	v_mad_co_u64_u32 v[14:15], null, v17, s14, 0
	s_delay_alu instid0(VALU_DEP_2) | instskip(SKIP_1) | instid1(VALU_DEP_3)
	v_add_co_u32 v10, vcc_lo, v22, v10
	s_wait_alu 0xfffd
	v_add_co_ci_u32_e64 v11, null, 0, v11, vcc_lo
	s_delay_alu instid0(VALU_DEP_2) | instskip(SKIP_1) | instid1(VALU_DEP_2)
	v_add_co_u32 v10, vcc_lo, v10, v12
	s_wait_alu 0xfffd
	v_add_co_ci_u32_e32 v10, vcc_lo, v11, v13, vcc_lo
	s_wait_alu 0xfffd
	v_add_co_ci_u32_e32 v11, vcc_lo, 0, v15, vcc_lo
	s_delay_alu instid0(VALU_DEP_2) | instskip(SKIP_1) | instid1(VALU_DEP_2)
	v_add_co_u32 v12, vcc_lo, v10, v14
	s_wait_alu 0xfffd
	v_add_co_ci_u32_e64 v13, null, 0, v11, vcc_lo
	s_delay_alu instid0(VALU_DEP_2) | instskip(SKIP_1) | instid1(VALU_DEP_3)
	v_mul_lo_u32 v14, s49, v12
	v_mad_co_u64_u32 v[10:11], null, s48, v12, 0
	v_mul_lo_u32 v15, s48, v13
	s_delay_alu instid0(VALU_DEP_2) | instskip(NEXT) | instid1(VALU_DEP_2)
	v_sub_co_u32 v10, vcc_lo, v16, v10
	v_add3_u32 v11, v11, v15, v14
	v_add_co_u32 v15, s0, v12, 2
	s_wait_alu 0xf1ff
	v_add_co_ci_u32_e64 v16, null, 0, v13, s0
	s_delay_alu instid0(VALU_DEP_3) | instskip(SKIP_3) | instid1(VALU_DEP_3)
	v_sub_nc_u32_e32 v14, v17, v11
	v_sub_co_u32 v22, s0, v10, s48
	s_wait_alu 0xfffd
	v_sub_co_ci_u32_e64 v11, null, v17, v11, vcc_lo
	v_subrev_co_ci_u32_e64 v14, null, s49, v14, vcc_lo
	s_delay_alu instid0(VALU_DEP_3) | instskip(SKIP_1) | instid1(VALU_DEP_2)
	v_cmp_le_u32_e32 vcc_lo, s48, v22
	s_wait_alu 0xf1ff
	v_subrev_co_ci_u32_e64 v14, null, 0, v14, s0
	s_wait_alu 0xfffd
	v_cndmask_b32_e64 v17, 0, -1, vcc_lo
	s_delay_alu instid0(VALU_DEP_2)
	v_cmp_le_u32_e32 vcc_lo, s49, v14
	s_wait_alu 0xfffd
	v_cndmask_b32_e64 v22, 0, -1, vcc_lo
	v_cmp_le_u32_e32 vcc_lo, s48, v10
	s_wait_alu 0xfffd
	v_cndmask_b32_e64 v10, 0, -1, vcc_lo
	;; [unrolled: 3-line block ×3, first 2 shown]
	v_cmp_eq_u32_e32 vcc_lo, s49, v14
	s_wait_alu 0xfffd
	v_cndmask_b32_e32 v14, v22, v17, vcc_lo
	v_add_co_u32 v17, vcc_lo, v12, 1
	s_wait_alu 0xfffd
	v_add_co_ci_u32_e64 v22, null, 0, v13, vcc_lo
	v_cmp_eq_u32_e32 vcc_lo, s49, v11
	s_wait_alu 0xfffd
	v_cndmask_b32_e32 v10, v23, v10, vcc_lo
	v_cmp_ne_u32_e32 vcc_lo, 0, v14
	s_wait_alu 0xfffd
	v_cndmask_b32_e32 v11, v22, v16, vcc_lo
	s_delay_alu instid0(VALU_DEP_3) | instskip(SKIP_2) | instid1(VALU_DEP_2)
	v_cmp_ne_u32_e64 s0, 0, v10
	v_cndmask_b32_e32 v10, v17, v15, vcc_lo
	s_wait_alu 0xf1ff
	v_cndmask_b32_e64 v11, v13, v11, s0
	s_delay_alu instid0(VALU_DEP_2) | instskip(NEXT) | instid1(VALU_DEP_2)
	v_cndmask_b32_e64 v10, v12, v10, s0
	v_xor_b32_e32 v11, v11, v3
	s_delay_alu instid0(VALU_DEP_2) | instskip(NEXT) | instid1(VALU_DEP_1)
	v_xor_b32_e32 v10, v10, v3
	v_sub_co_u32 v10, vcc_lo, v10, v3
	s_wait_alu 0xfffd
	s_delay_alu instid0(VALU_DEP_3)
	v_sub_co_ci_u32_e64 v11, null, v11, v3, vcc_lo
.LBB54_24:                              ;   in Loop: Header=BB54_22 Depth=2
	s_wait_alu 0xfffe
	s_and_not1_saveexec_b32 s0, s1
	s_cbranch_execz .LBB54_26
; %bb.25:                               ;   in Loop: Header=BB54_22 Depth=2
	v_cvt_f32_u32_e32 v3, s44
	s_sub_co_i32 s1, 0, s44
	s_delay_alu instid0(VALU_DEP_1) | instskip(NEXT) | instid1(TRANS32_DEP_1)
	v_rcp_iflag_f32_e32 v3, v3
	v_mul_f32_e32 v3, 0x4f7ffffe, v3
	s_delay_alu instid0(VALU_DEP_1) | instskip(SKIP_1) | instid1(VALU_DEP_1)
	v_cvt_u32_f32_e32 v3, v3
	s_wait_alu 0xfffe
	v_mul_lo_u32 v10, s1, v3
	s_delay_alu instid0(VALU_DEP_1) | instskip(NEXT) | instid1(VALU_DEP_1)
	v_mul_hi_u32 v10, v3, v10
	v_add_nc_u32_e32 v3, v3, v10
	s_delay_alu instid0(VALU_DEP_1) | instskip(NEXT) | instid1(VALU_DEP_1)
	v_mul_hi_u32 v3, v8, v3
	v_mul_lo_u32 v10, v3, s44
	v_add_nc_u32_e32 v11, 1, v3
	s_delay_alu instid0(VALU_DEP_2) | instskip(NEXT) | instid1(VALU_DEP_1)
	v_sub_nc_u32_e32 v10, v8, v10
	v_subrev_nc_u32_e32 v12, s44, v10
	v_cmp_le_u32_e32 vcc_lo, s44, v10
	s_wait_alu 0xfffd
	s_delay_alu instid0(VALU_DEP_2) | instskip(NEXT) | instid1(VALU_DEP_1)
	v_dual_cndmask_b32 v10, v10, v12 :: v_dual_cndmask_b32 v3, v3, v11
	v_cmp_le_u32_e32 vcc_lo, s44, v10
	s_delay_alu instid0(VALU_DEP_2) | instskip(SKIP_1) | instid1(VALU_DEP_1)
	v_add_nc_u32_e32 v11, 1, v3
	s_wait_alu 0xfffd
	v_dual_cndmask_b32 v10, v3, v11 :: v_dual_mov_b32 v11, v2
.LBB54_26:                              ;   in Loop: Header=BB54_22 Depth=2
	s_wait_alu 0xfffe
	s_or_b32 exec_lo, exec_lo, s0
	s_load_b64 s[48:49], s[40:41], 0x10
	s_load_b64 s[46:47], s[38:39], 0x18
                                        ; implicit-def: $vgpr12_vgpr13
	s_mov_b32 s0, exec_lo
	s_wait_kmcnt 0x0
	v_or_b32_e32 v3, s49, v11
	s_delay_alu instid0(VALU_DEP_1)
	v_cmpx_ne_u64_e32 0, v[2:3]
	s_wait_alu 0xfffe
	s_xor_b32 s1, exec_lo, s0
	s_cbranch_execz .LBB54_28
; %bb.27:                               ;   in Loop: Header=BB54_22 Depth=2
	s_ashr_i32 s50, s49, 31
	v_ashrrev_i32_e32 v3, 31, v11
	s_wait_alu 0xfffe
	s_mov_b32 s51, s50
	s_wait_alu 0xfffe
	s_add_nc_u64 s[52:53], s[48:49], s[50:51]
	v_add_co_u32 v12, vcc_lo, v10, v3
	s_wait_alu 0xfffe
	s_xor_b64 s[52:53], s[52:53], s[50:51]
	s_wait_alu 0xfffd
	v_add_co_ci_u32_e64 v13, null, v11, v3, vcc_lo
	s_wait_alu 0xfffe
	s_cvt_f32_u32 s0, s52
	s_cvt_f32_u32 s14, s53
	s_sub_nc_u64 s[56:57], 0, s[52:53]
	v_xor_b32_e32 v22, v12, v3
	v_xor_b32_e32 v23, v13, v3
	s_wait_alu 0xfffe
	s_fmamk_f32 s0, s14, 0x4f800000, s0
	v_xor_b32_e32 v3, s50, v3
	s_wait_alu 0xfffe
	s_delay_alu instid0(SALU_CYCLE_1) | instskip(NEXT) | instid1(TRANS32_DEP_1)
	v_s_rcp_f32 s0, s0
	s_mul_f32 s0, s0, 0x5f7ffffc
	s_wait_alu 0xfffe
	s_delay_alu instid0(SALU_CYCLE_2) | instskip(SKIP_1) | instid1(SALU_CYCLE_2)
	s_mul_f32 s14, s0, 0x2f800000
	s_wait_alu 0xfffe
	s_trunc_f32 s14, s14
	s_wait_alu 0xfffe
	s_delay_alu instid0(SALU_CYCLE_2) | instskip(SKIP_2) | instid1(SALU_CYCLE_1)
	s_fmamk_f32 s0, s14, 0xcf800000, s0
	s_cvt_u32_f32 s55, s14
	s_wait_alu 0xfffe
	s_cvt_u32_f32 s54, s0
	s_wait_alu 0xfffe
	s_delay_alu instid0(SALU_CYCLE_2)
	s_mul_u64 s[58:59], s[56:57], s[54:55]
	s_wait_alu 0xfffe
	s_mul_hi_u32 s61, s54, s59
	s_mul_i32 s60, s54, s59
	s_mul_hi_u32 s14, s54, s58
	s_mul_i32 s51, s55, s58
	s_wait_alu 0xfffe
	s_add_nc_u64 s[60:61], s[14:15], s[60:61]
	s_mul_hi_u32 s0, s55, s58
	s_mul_hi_u32 s66, s55, s59
	s_wait_alu 0xfffe
	s_add_co_u32 s14, s60, s51
	s_add_co_ci_u32 s14, s61, s0
	s_mul_i32 s58, s55, s59
	s_add_co_ci_u32 s59, s66, 0
	s_wait_alu 0xfffe
	s_add_nc_u64 s[58:59], s[14:15], s[58:59]
	s_wait_alu 0xfffe
	s_add_co_u32 s54, s54, s58
	s_cselect_b32 s0, -1, 0
	s_wait_alu 0xfffe
	s_cmp_lg_u32 s0, 0
	s_add_co_ci_u32 s55, s55, s59
	s_wait_alu 0xfffe
	s_mul_u64 s[56:57], s[56:57], s[54:55]
	s_wait_alu 0xfffe
	s_mul_hi_u32 s59, s54, s57
	s_mul_i32 s58, s54, s57
	s_mul_hi_u32 s14, s54, s56
	s_mul_i32 s51, s55, s56
	s_wait_alu 0xfffe
	s_add_nc_u64 s[58:59], s[14:15], s[58:59]
	s_mul_hi_u32 s0, s55, s56
	s_mul_hi_u32 s60, s55, s57
	s_wait_alu 0xfffe
	s_add_co_u32 s14, s58, s51
	s_add_co_ci_u32 s14, s59, s0
	s_mul_i32 s56, s55, s57
	s_add_co_ci_u32 s57, s60, 0
	s_wait_alu 0xfffe
	s_add_nc_u64 s[56:57], s[14:15], s[56:57]
	s_wait_alu 0xfffe
	s_add_co_u32 s0, s54, s56
	s_cselect_b32 s14, -1, 0
	s_wait_alu 0xfffe
	v_mul_hi_u32 v24, v22, s0
	s_cmp_lg_u32 s14, 0
	v_mad_co_u64_u32 v[14:15], null, v23, s0, 0
	s_add_co_ci_u32 s14, s55, s57
	s_wait_alu 0xfffe
	v_mad_co_u64_u32 v[12:13], null, v22, s14, 0
	v_mad_co_u64_u32 v[16:17], null, v23, s14, 0
	s_delay_alu instid0(VALU_DEP_2) | instskip(SKIP_1) | instid1(VALU_DEP_3)
	v_add_co_u32 v12, vcc_lo, v24, v12
	s_wait_alu 0xfffd
	v_add_co_ci_u32_e64 v13, null, 0, v13, vcc_lo
	s_delay_alu instid0(VALU_DEP_2) | instskip(SKIP_1) | instid1(VALU_DEP_2)
	v_add_co_u32 v12, vcc_lo, v12, v14
	s_wait_alu 0xfffd
	v_add_co_ci_u32_e32 v12, vcc_lo, v13, v15, vcc_lo
	s_wait_alu 0xfffd
	v_add_co_ci_u32_e32 v13, vcc_lo, 0, v17, vcc_lo
	s_delay_alu instid0(VALU_DEP_2) | instskip(SKIP_1) | instid1(VALU_DEP_2)
	v_add_co_u32 v14, vcc_lo, v12, v16
	s_wait_alu 0xfffd
	v_add_co_ci_u32_e64 v15, null, 0, v13, vcc_lo
	s_delay_alu instid0(VALU_DEP_2) | instskip(SKIP_1) | instid1(VALU_DEP_3)
	v_mul_lo_u32 v16, s53, v14
	v_mad_co_u64_u32 v[12:13], null, s52, v14, 0
	v_mul_lo_u32 v17, s52, v15
	s_delay_alu instid0(VALU_DEP_2) | instskip(NEXT) | instid1(VALU_DEP_2)
	v_sub_co_u32 v12, vcc_lo, v22, v12
	v_add3_u32 v13, v13, v17, v16
	v_add_co_u32 v17, s0, v14, 2
	s_wait_alu 0xf1ff
	v_add_co_ci_u32_e64 v22, null, 0, v15, s0
	s_delay_alu instid0(VALU_DEP_3) | instskip(SKIP_3) | instid1(VALU_DEP_3)
	v_sub_nc_u32_e32 v16, v23, v13
	v_sub_co_u32 v24, s0, v12, s52
	s_wait_alu 0xfffd
	v_sub_co_ci_u32_e64 v13, null, v23, v13, vcc_lo
	v_subrev_co_ci_u32_e64 v16, null, s53, v16, vcc_lo
	s_delay_alu instid0(VALU_DEP_3) | instskip(SKIP_1) | instid1(VALU_DEP_2)
	v_cmp_le_u32_e32 vcc_lo, s52, v24
	s_wait_alu 0xf1ff
	v_subrev_co_ci_u32_e64 v16, null, 0, v16, s0
	s_wait_alu 0xfffd
	v_cndmask_b32_e64 v23, 0, -1, vcc_lo
	s_delay_alu instid0(VALU_DEP_2)
	v_cmp_le_u32_e32 vcc_lo, s53, v16
	s_wait_alu 0xfffd
	v_cndmask_b32_e64 v24, 0, -1, vcc_lo
	v_cmp_le_u32_e32 vcc_lo, s52, v12
	s_wait_alu 0xfffd
	v_cndmask_b32_e64 v12, 0, -1, vcc_lo
	;; [unrolled: 3-line block ×3, first 2 shown]
	v_cmp_eq_u32_e32 vcc_lo, s53, v16
	s_wait_alu 0xfffd
	v_cndmask_b32_e32 v16, v24, v23, vcc_lo
	v_add_co_u32 v23, vcc_lo, v14, 1
	s_wait_alu 0xfffd
	v_add_co_ci_u32_e64 v24, null, 0, v15, vcc_lo
	v_cmp_eq_u32_e32 vcc_lo, s53, v13
	s_wait_alu 0xfffd
	v_cndmask_b32_e32 v12, v25, v12, vcc_lo
	v_cmp_ne_u32_e32 vcc_lo, 0, v16
	s_wait_alu 0xfffd
	v_cndmask_b32_e32 v13, v24, v22, vcc_lo
	s_delay_alu instid0(VALU_DEP_3) | instskip(SKIP_2) | instid1(VALU_DEP_2)
	v_cmp_ne_u32_e64 s0, 0, v12
	v_cndmask_b32_e32 v12, v23, v17, vcc_lo
	s_wait_alu 0xf1ff
	v_cndmask_b32_e64 v13, v15, v13, s0
	s_delay_alu instid0(VALU_DEP_2) | instskip(NEXT) | instid1(VALU_DEP_2)
	v_cndmask_b32_e64 v12, v14, v12, s0
	v_xor_b32_e32 v13, v13, v3
	s_delay_alu instid0(VALU_DEP_2) | instskip(NEXT) | instid1(VALU_DEP_1)
	v_xor_b32_e32 v12, v12, v3
	v_sub_co_u32 v12, vcc_lo, v12, v3
	s_wait_alu 0xfffd
	s_delay_alu instid0(VALU_DEP_3)
	v_sub_co_ci_u32_e64 v13, null, v13, v3, vcc_lo
.LBB54_28:                              ;   in Loop: Header=BB54_22 Depth=2
	s_wait_alu 0xfffe
	s_and_not1_saveexec_b32 s0, s1
	s_cbranch_execz .LBB54_30
; %bb.29:                               ;   in Loop: Header=BB54_22 Depth=2
	v_cvt_f32_u32_e32 v3, s48
	s_sub_co_i32 s1, 0, s48
	s_delay_alu instid0(VALU_DEP_1) | instskip(NEXT) | instid1(TRANS32_DEP_1)
	v_rcp_iflag_f32_e32 v3, v3
	v_mul_f32_e32 v3, 0x4f7ffffe, v3
	s_delay_alu instid0(VALU_DEP_1) | instskip(SKIP_1) | instid1(VALU_DEP_1)
	v_cvt_u32_f32_e32 v3, v3
	s_wait_alu 0xfffe
	v_mul_lo_u32 v12, s1, v3
	s_delay_alu instid0(VALU_DEP_1) | instskip(NEXT) | instid1(VALU_DEP_1)
	v_mul_hi_u32 v12, v3, v12
	v_add_nc_u32_e32 v3, v3, v12
	s_delay_alu instid0(VALU_DEP_1) | instskip(NEXT) | instid1(VALU_DEP_1)
	v_mul_hi_u32 v3, v10, v3
	v_mul_lo_u32 v12, v3, s48
	v_add_nc_u32_e32 v13, 1, v3
	s_delay_alu instid0(VALU_DEP_2) | instskip(NEXT) | instid1(VALU_DEP_1)
	v_sub_nc_u32_e32 v12, v10, v12
	v_subrev_nc_u32_e32 v14, s48, v12
	v_cmp_le_u32_e32 vcc_lo, s48, v12
	s_wait_alu 0xfffd
	s_delay_alu instid0(VALU_DEP_2) | instskip(NEXT) | instid1(VALU_DEP_1)
	v_dual_cndmask_b32 v12, v12, v14 :: v_dual_cndmask_b32 v3, v3, v13
	v_cmp_le_u32_e32 vcc_lo, s48, v12
	s_delay_alu instid0(VALU_DEP_2) | instskip(SKIP_1) | instid1(VALU_DEP_1)
	v_add_nc_u32_e32 v13, 1, v3
	s_wait_alu 0xfffd
	v_dual_cndmask_b32 v12, v3, v13 :: v_dual_mov_b32 v13, v2
.LBB54_30:                              ;   in Loop: Header=BB54_22 Depth=2
	s_wait_alu 0xfffe
	s_or_b32 exec_lo, exec_lo, s0
	s_load_b64 s[52:53], s[40:41], 0x8
	s_load_b64 s[50:51], s[38:39], 0x10
                                        ; implicit-def: $vgpr14_vgpr15
	s_mov_b32 s0, exec_lo
	s_wait_kmcnt 0x0
	v_or_b32_e32 v3, s53, v13
	s_delay_alu instid0(VALU_DEP_1)
	v_cmpx_ne_u64_e32 0, v[2:3]
	s_wait_alu 0xfffe
	s_xor_b32 s1, exec_lo, s0
	s_cbranch_execz .LBB54_32
; %bb.31:                               ;   in Loop: Header=BB54_22 Depth=2
	s_ashr_i32 s54, s53, 31
	v_ashrrev_i32_e32 v3, 31, v13
	s_wait_alu 0xfffe
	s_mov_b32 s55, s54
	s_wait_alu 0xfffe
	s_add_nc_u64 s[56:57], s[52:53], s[54:55]
	v_add_co_u32 v14, vcc_lo, v12, v3
	s_wait_alu 0xfffe
	s_xor_b64 s[56:57], s[56:57], s[54:55]
	s_wait_alu 0xfffd
	v_add_co_ci_u32_e64 v15, null, v13, v3, vcc_lo
	s_wait_alu 0xfffe
	s_cvt_f32_u32 s0, s56
	s_cvt_f32_u32 s14, s57
	s_sub_nc_u64 s[60:61], 0, s[56:57]
	v_xor_b32_e32 v24, v14, v3
	v_xor_b32_e32 v25, v15, v3
	s_wait_alu 0xfffe
	s_fmamk_f32 s0, s14, 0x4f800000, s0
	v_xor_b32_e32 v3, s54, v3
	s_wait_alu 0xfffe
	s_delay_alu instid0(SALU_CYCLE_1) | instskip(NEXT) | instid1(TRANS32_DEP_1)
	v_s_rcp_f32 s0, s0
	s_mul_f32 s0, s0, 0x5f7ffffc
	s_wait_alu 0xfffe
	s_delay_alu instid0(SALU_CYCLE_2) | instskip(SKIP_1) | instid1(SALU_CYCLE_2)
	s_mul_f32 s14, s0, 0x2f800000
	s_wait_alu 0xfffe
	s_trunc_f32 s14, s14
	s_wait_alu 0xfffe
	s_delay_alu instid0(SALU_CYCLE_2) | instskip(SKIP_2) | instid1(SALU_CYCLE_1)
	s_fmamk_f32 s0, s14, 0xcf800000, s0
	s_cvt_u32_f32 s59, s14
	s_wait_alu 0xfffe
	s_cvt_u32_f32 s58, s0
	s_wait_alu 0xfffe
	s_delay_alu instid0(SALU_CYCLE_2) | instskip(NEXT) | instid1(SALU_CYCLE_1)
	s_mul_u64 s[66:67], s[60:61], s[58:59]
	s_mul_hi_u32 s69, s58, s67
	s_mul_i32 s68, s58, s67
	s_mul_hi_u32 s14, s58, s66
	s_mul_i32 s55, s59, s66
	s_wait_alu 0xfffe
	s_add_nc_u64 s[68:69], s[14:15], s[68:69]
	s_mul_hi_u32 s0, s59, s66
	s_mul_hi_u32 s70, s59, s67
	s_add_co_u32 s14, s68, s55
	s_wait_alu 0xfffe
	s_add_co_ci_u32 s14, s69, s0
	s_mul_i32 s66, s59, s67
	s_add_co_ci_u32 s67, s70, 0
	s_wait_alu 0xfffe
	s_add_nc_u64 s[66:67], s[14:15], s[66:67]
	s_delay_alu instid0(SALU_CYCLE_1)
	s_add_co_u32 s58, s58, s66
	s_cselect_b32 s0, -1, 0
	s_wait_alu 0xfffe
	s_cmp_lg_u32 s0, 0
	s_add_co_ci_u32 s59, s59, s67
	s_wait_alu 0xfffe
	s_mul_u64 s[60:61], s[60:61], s[58:59]
	s_wait_alu 0xfffe
	s_mul_hi_u32 s67, s58, s61
	s_mul_i32 s66, s58, s61
	s_mul_hi_u32 s14, s58, s60
	s_mul_i32 s55, s59, s60
	s_wait_alu 0xfffe
	s_add_nc_u64 s[66:67], s[14:15], s[66:67]
	s_mul_hi_u32 s0, s59, s60
	s_mul_hi_u32 s68, s59, s61
	s_add_co_u32 s14, s66, s55
	s_wait_alu 0xfffe
	s_add_co_ci_u32 s14, s67, s0
	s_mul_i32 s60, s59, s61
	s_add_co_ci_u32 s61, s68, 0
	s_wait_alu 0xfffe
	s_add_nc_u64 s[60:61], s[14:15], s[60:61]
	s_wait_alu 0xfffe
	s_add_co_u32 s0, s58, s60
	s_cselect_b32 s14, -1, 0
	s_wait_alu 0xfffe
	v_mul_hi_u32 v26, v24, s0
	s_cmp_lg_u32 s14, 0
	v_mad_co_u64_u32 v[16:17], null, v25, s0, 0
	s_add_co_ci_u32 s14, s59, s61
	s_wait_alu 0xfffe
	v_mad_co_u64_u32 v[14:15], null, v24, s14, 0
	v_mad_co_u64_u32 v[22:23], null, v25, s14, 0
	s_delay_alu instid0(VALU_DEP_2) | instskip(SKIP_1) | instid1(VALU_DEP_3)
	v_add_co_u32 v14, vcc_lo, v26, v14
	s_wait_alu 0xfffd
	v_add_co_ci_u32_e64 v15, null, 0, v15, vcc_lo
	s_delay_alu instid0(VALU_DEP_2) | instskip(SKIP_1) | instid1(VALU_DEP_2)
	v_add_co_u32 v14, vcc_lo, v14, v16
	s_wait_alu 0xfffd
	v_add_co_ci_u32_e32 v14, vcc_lo, v15, v17, vcc_lo
	s_wait_alu 0xfffd
	v_add_co_ci_u32_e32 v15, vcc_lo, 0, v23, vcc_lo
	s_delay_alu instid0(VALU_DEP_2) | instskip(SKIP_1) | instid1(VALU_DEP_2)
	v_add_co_u32 v16, vcc_lo, v14, v22
	s_wait_alu 0xfffd
	v_add_co_ci_u32_e64 v17, null, 0, v15, vcc_lo
	s_delay_alu instid0(VALU_DEP_2) | instskip(SKIP_1) | instid1(VALU_DEP_3)
	v_mul_lo_u32 v22, s57, v16
	v_mad_co_u64_u32 v[14:15], null, s56, v16, 0
	v_mul_lo_u32 v23, s56, v17
	s_delay_alu instid0(VALU_DEP_2) | instskip(NEXT) | instid1(VALU_DEP_2)
	v_sub_co_u32 v14, vcc_lo, v24, v14
	v_add3_u32 v15, v15, v23, v22
	v_add_co_u32 v23, s0, v16, 2
	s_wait_alu 0xf1ff
	v_add_co_ci_u32_e64 v24, null, 0, v17, s0
	s_delay_alu instid0(VALU_DEP_3) | instskip(SKIP_3) | instid1(VALU_DEP_3)
	v_sub_nc_u32_e32 v22, v25, v15
	v_sub_co_u32 v26, s0, v14, s56
	s_wait_alu 0xfffd
	v_sub_co_ci_u32_e64 v15, null, v25, v15, vcc_lo
	v_subrev_co_ci_u32_e64 v22, null, s57, v22, vcc_lo
	s_delay_alu instid0(VALU_DEP_3) | instskip(SKIP_1) | instid1(VALU_DEP_2)
	v_cmp_le_u32_e32 vcc_lo, s56, v26
	s_wait_alu 0xf1ff
	v_subrev_co_ci_u32_e64 v22, null, 0, v22, s0
	s_wait_alu 0xfffd
	v_cndmask_b32_e64 v25, 0, -1, vcc_lo
	s_delay_alu instid0(VALU_DEP_2)
	v_cmp_le_u32_e32 vcc_lo, s57, v22
	s_wait_alu 0xfffd
	v_cndmask_b32_e64 v26, 0, -1, vcc_lo
	v_cmp_le_u32_e32 vcc_lo, s56, v14
	s_wait_alu 0xfffd
	v_cndmask_b32_e64 v14, 0, -1, vcc_lo
	v_cmp_le_u32_e32 vcc_lo, s57, v15
	s_wait_alu 0xfffd
	v_cndmask_b32_e64 v27, 0, -1, vcc_lo
	v_cmp_eq_u32_e32 vcc_lo, s57, v22
	s_wait_alu 0xfffd
	v_cndmask_b32_e32 v22, v26, v25, vcc_lo
	v_add_co_u32 v25, vcc_lo, v16, 1
	s_wait_alu 0xfffd
	v_add_co_ci_u32_e64 v26, null, 0, v17, vcc_lo
	v_cmp_eq_u32_e32 vcc_lo, s57, v15
	s_wait_alu 0xfffd
	v_cndmask_b32_e32 v14, v27, v14, vcc_lo
	v_cmp_ne_u32_e32 vcc_lo, 0, v22
	s_wait_alu 0xfffd
	v_cndmask_b32_e32 v15, v26, v24, vcc_lo
	s_delay_alu instid0(VALU_DEP_3) | instskip(SKIP_2) | instid1(VALU_DEP_2)
	v_cmp_ne_u32_e64 s0, 0, v14
	v_cndmask_b32_e32 v14, v25, v23, vcc_lo
	s_wait_alu 0xf1ff
	v_cndmask_b32_e64 v15, v17, v15, s0
	s_delay_alu instid0(VALU_DEP_2) | instskip(NEXT) | instid1(VALU_DEP_2)
	v_cndmask_b32_e64 v14, v16, v14, s0
	v_xor_b32_e32 v15, v15, v3
	s_delay_alu instid0(VALU_DEP_2) | instskip(NEXT) | instid1(VALU_DEP_1)
	v_xor_b32_e32 v14, v14, v3
	v_sub_co_u32 v14, vcc_lo, v14, v3
	s_wait_alu 0xfffd
	s_delay_alu instid0(VALU_DEP_3)
	v_sub_co_ci_u32_e64 v15, null, v15, v3, vcc_lo
.LBB54_32:                              ;   in Loop: Header=BB54_22 Depth=2
	s_wait_alu 0xfffe
	s_and_not1_saveexec_b32 s0, s1
	s_cbranch_execz .LBB54_34
; %bb.33:                               ;   in Loop: Header=BB54_22 Depth=2
	v_cvt_f32_u32_e32 v3, s52
	s_sub_co_i32 s1, 0, s52
	s_delay_alu instid0(VALU_DEP_1) | instskip(NEXT) | instid1(TRANS32_DEP_1)
	v_rcp_iflag_f32_e32 v3, v3
	v_mul_f32_e32 v3, 0x4f7ffffe, v3
	s_delay_alu instid0(VALU_DEP_1) | instskip(SKIP_1) | instid1(VALU_DEP_1)
	v_cvt_u32_f32_e32 v3, v3
	s_wait_alu 0xfffe
	v_mul_lo_u32 v14, s1, v3
	s_delay_alu instid0(VALU_DEP_1) | instskip(NEXT) | instid1(VALU_DEP_1)
	v_mul_hi_u32 v14, v3, v14
	v_add_nc_u32_e32 v3, v3, v14
	s_delay_alu instid0(VALU_DEP_1) | instskip(NEXT) | instid1(VALU_DEP_1)
	v_mul_hi_u32 v3, v12, v3
	v_mul_lo_u32 v14, v3, s52
	v_add_nc_u32_e32 v15, 1, v3
	s_delay_alu instid0(VALU_DEP_2) | instskip(NEXT) | instid1(VALU_DEP_1)
	v_sub_nc_u32_e32 v14, v12, v14
	v_subrev_nc_u32_e32 v16, s52, v14
	v_cmp_le_u32_e32 vcc_lo, s52, v14
	s_wait_alu 0xfffd
	s_delay_alu instid0(VALU_DEP_2) | instskip(NEXT) | instid1(VALU_DEP_1)
	v_dual_cndmask_b32 v14, v14, v16 :: v_dual_cndmask_b32 v3, v3, v15
	v_cmp_le_u32_e32 vcc_lo, s52, v14
	s_delay_alu instid0(VALU_DEP_2) | instskip(SKIP_1) | instid1(VALU_DEP_1)
	v_add_nc_u32_e32 v15, 1, v3
	s_wait_alu 0xfffd
	v_dual_cndmask_b32 v14, v3, v15 :: v_dual_mov_b32 v15, v2
.LBB54_34:                              ;   in Loop: Header=BB54_22 Depth=2
	s_wait_alu 0xfffe
	s_or_b32 exec_lo, exec_lo, s0
	s_load_b64 s[56:57], s[40:41], 0x0
	s_load_b64 s[54:55], s[38:39], 0x8
                                        ; implicit-def: $vgpr16_vgpr17
	s_mov_b32 s0, exec_lo
	s_wait_kmcnt 0x0
	v_or_b32_e32 v3, s57, v15
	s_delay_alu instid0(VALU_DEP_1)
	v_cmpx_ne_u64_e32 0, v[2:3]
	s_wait_alu 0xfffe
	s_xor_b32 s1, exec_lo, s0
	s_cbranch_execz .LBB54_36
; %bb.35:                               ;   in Loop: Header=BB54_22 Depth=2
	s_ashr_i32 s58, s57, 31
	v_ashrrev_i32_e32 v3, 31, v15
	s_wait_alu 0xfffe
	s_mov_b32 s59, s58
	s_wait_alu 0xfffe
	s_add_nc_u64 s[60:61], s[56:57], s[58:59]
	v_add_co_u32 v16, vcc_lo, v14, v3
	s_wait_alu 0xfffe
	s_xor_b64 s[60:61], s[60:61], s[58:59]
	s_wait_alu 0xfffd
	v_add_co_ci_u32_e64 v17, null, v15, v3, vcc_lo
	s_wait_alu 0xfffe
	s_cvt_f32_u32 s0, s60
	s_cvt_f32_u32 s14, s61
	s_sub_nc_u64 s[68:69], 0, s[60:61]
	v_xor_b32_e32 v26, v16, v3
	v_xor_b32_e32 v27, v17, v3
	s_wait_alu 0xfffe
	s_fmamk_f32 s0, s14, 0x4f800000, s0
	v_xor_b32_e32 v3, s58, v3
	s_wait_alu 0xfffe
	s_delay_alu instid0(SALU_CYCLE_1) | instskip(NEXT) | instid1(TRANS32_DEP_1)
	v_s_rcp_f32 s0, s0
	s_mul_f32 s0, s0, 0x5f7ffffc
	s_wait_alu 0xfffe
	s_delay_alu instid0(SALU_CYCLE_2) | instskip(SKIP_1) | instid1(SALU_CYCLE_2)
	s_mul_f32 s14, s0, 0x2f800000
	s_wait_alu 0xfffe
	s_trunc_f32 s14, s14
	s_wait_alu 0xfffe
	s_delay_alu instid0(SALU_CYCLE_2) | instskip(SKIP_2) | instid1(SALU_CYCLE_1)
	s_fmamk_f32 s0, s14, 0xcf800000, s0
	s_cvt_u32_f32 s67, s14
	s_wait_alu 0xfffe
	s_cvt_u32_f32 s66, s0
	s_delay_alu instid0(SALU_CYCLE_3) | instskip(NEXT) | instid1(SALU_CYCLE_1)
	s_mul_u64 s[70:71], s[68:69], s[66:67]
	s_mul_hi_u32 s73, s66, s71
	s_mul_i32 s72, s66, s71
	s_mul_hi_u32 s14, s66, s70
	s_mul_i32 s59, s67, s70
	s_wait_alu 0xfffe
	s_add_nc_u64 s[72:73], s[14:15], s[72:73]
	s_mul_hi_u32 s0, s67, s70
	s_mul_hi_u32 s74, s67, s71
	s_add_co_u32 s14, s72, s59
	s_wait_alu 0xfffe
	s_add_co_ci_u32 s14, s73, s0
	s_mul_i32 s70, s67, s71
	s_add_co_ci_u32 s71, s74, 0
	s_wait_alu 0xfffe
	s_add_nc_u64 s[70:71], s[14:15], s[70:71]
	s_delay_alu instid0(SALU_CYCLE_1) | instskip(SKIP_4) | instid1(SALU_CYCLE_1)
	s_add_co_u32 s66, s66, s70
	s_cselect_b32 s0, -1, 0
	s_wait_alu 0xfffe
	s_cmp_lg_u32 s0, 0
	s_add_co_ci_u32 s67, s67, s71
	s_mul_u64 s[68:69], s[68:69], s[66:67]
	s_delay_alu instid0(SALU_CYCLE_1)
	s_mul_hi_u32 s71, s66, s69
	s_mul_i32 s70, s66, s69
	s_mul_hi_u32 s14, s66, s68
	s_mul_i32 s59, s67, s68
	s_wait_alu 0xfffe
	s_add_nc_u64 s[70:71], s[14:15], s[70:71]
	s_mul_hi_u32 s0, s67, s68
	s_mul_hi_u32 s72, s67, s69
	s_add_co_u32 s14, s70, s59
	s_wait_alu 0xfffe
	s_add_co_ci_u32 s14, s71, s0
	s_mul_i32 s68, s67, s69
	s_add_co_ci_u32 s69, s72, 0
	s_wait_alu 0xfffe
	s_add_nc_u64 s[68:69], s[14:15], s[68:69]
	s_delay_alu instid0(SALU_CYCLE_1)
	s_add_co_u32 s0, s66, s68
	s_cselect_b32 s14, -1, 0
	s_wait_alu 0xfffe
	v_mul_hi_u32 v28, v26, s0
	s_cmp_lg_u32 s14, 0
	v_mad_co_u64_u32 v[22:23], null, v27, s0, 0
	s_add_co_ci_u32 s14, s67, s69
	s_wait_alu 0xfffe
	v_mad_co_u64_u32 v[16:17], null, v26, s14, 0
	v_mad_co_u64_u32 v[24:25], null, v27, s14, 0
	s_delay_alu instid0(VALU_DEP_2) | instskip(SKIP_1) | instid1(VALU_DEP_3)
	v_add_co_u32 v16, vcc_lo, v28, v16
	s_wait_alu 0xfffd
	v_add_co_ci_u32_e64 v17, null, 0, v17, vcc_lo
	s_delay_alu instid0(VALU_DEP_2) | instskip(SKIP_1) | instid1(VALU_DEP_2)
	v_add_co_u32 v16, vcc_lo, v16, v22
	s_wait_alu 0xfffd
	v_add_co_ci_u32_e32 v16, vcc_lo, v17, v23, vcc_lo
	s_wait_alu 0xfffd
	v_add_co_ci_u32_e32 v17, vcc_lo, 0, v25, vcc_lo
	s_delay_alu instid0(VALU_DEP_2) | instskip(SKIP_1) | instid1(VALU_DEP_2)
	v_add_co_u32 v22, vcc_lo, v16, v24
	s_wait_alu 0xfffd
	v_add_co_ci_u32_e64 v23, null, 0, v17, vcc_lo
	s_delay_alu instid0(VALU_DEP_2) | instskip(SKIP_1) | instid1(VALU_DEP_3)
	v_mul_lo_u32 v24, s61, v22
	v_mad_co_u64_u32 v[16:17], null, s60, v22, 0
	v_mul_lo_u32 v25, s60, v23
	s_delay_alu instid0(VALU_DEP_2) | instskip(NEXT) | instid1(VALU_DEP_2)
	v_sub_co_u32 v16, vcc_lo, v26, v16
	v_add3_u32 v17, v17, v25, v24
	v_add_co_u32 v25, s0, v22, 2
	s_wait_alu 0xf1ff
	v_add_co_ci_u32_e64 v26, null, 0, v23, s0
	s_delay_alu instid0(VALU_DEP_3) | instskip(SKIP_3) | instid1(VALU_DEP_3)
	v_sub_nc_u32_e32 v24, v27, v17
	v_sub_co_u32 v28, s0, v16, s60
	s_wait_alu 0xfffd
	v_sub_co_ci_u32_e64 v17, null, v27, v17, vcc_lo
	v_subrev_co_ci_u32_e64 v24, null, s61, v24, vcc_lo
	s_delay_alu instid0(VALU_DEP_3) | instskip(SKIP_1) | instid1(VALU_DEP_2)
	v_cmp_le_u32_e32 vcc_lo, s60, v28
	s_wait_alu 0xf1ff
	v_subrev_co_ci_u32_e64 v24, null, 0, v24, s0
	s_wait_alu 0xfffd
	v_cndmask_b32_e64 v27, 0, -1, vcc_lo
	s_delay_alu instid0(VALU_DEP_2)
	v_cmp_le_u32_e32 vcc_lo, s61, v24
	s_wait_alu 0xfffd
	v_cndmask_b32_e64 v28, 0, -1, vcc_lo
	v_cmp_le_u32_e32 vcc_lo, s60, v16
	s_wait_alu 0xfffd
	v_cndmask_b32_e64 v16, 0, -1, vcc_lo
	;; [unrolled: 3-line block ×3, first 2 shown]
	v_cmp_eq_u32_e32 vcc_lo, s61, v24
	s_wait_alu 0xfffd
	v_cndmask_b32_e32 v24, v28, v27, vcc_lo
	v_add_co_u32 v27, vcc_lo, v22, 1
	s_wait_alu 0xfffd
	v_add_co_ci_u32_e64 v28, null, 0, v23, vcc_lo
	v_cmp_eq_u32_e32 vcc_lo, s61, v17
	s_wait_alu 0xfffd
	v_cndmask_b32_e32 v16, v29, v16, vcc_lo
	v_cmp_ne_u32_e32 vcc_lo, 0, v24
	s_wait_alu 0xfffd
	v_cndmask_b32_e32 v17, v28, v26, vcc_lo
	s_delay_alu instid0(VALU_DEP_3) | instskip(SKIP_2) | instid1(VALU_DEP_2)
	v_cmp_ne_u32_e64 s0, 0, v16
	v_cndmask_b32_e32 v16, v27, v25, vcc_lo
	s_wait_alu 0xf1ff
	v_cndmask_b32_e64 v17, v23, v17, s0
	s_delay_alu instid0(VALU_DEP_2) | instskip(NEXT) | instid1(VALU_DEP_2)
	v_cndmask_b32_e64 v16, v22, v16, s0
	v_xor_b32_e32 v17, v17, v3
	s_delay_alu instid0(VALU_DEP_2) | instskip(NEXT) | instid1(VALU_DEP_1)
	v_xor_b32_e32 v16, v16, v3
	v_sub_co_u32 v16, vcc_lo, v16, v3
	s_wait_alu 0xfffd
	s_delay_alu instid0(VALU_DEP_3)
	v_sub_co_ci_u32_e64 v17, null, v17, v3, vcc_lo
.LBB54_36:                              ;   in Loop: Header=BB54_22 Depth=2
	s_wait_alu 0xfffe
	s_and_not1_saveexec_b32 s0, s1
	s_cbranch_execz .LBB54_21
; %bb.37:                               ;   in Loop: Header=BB54_22 Depth=2
	v_cvt_f32_u32_e32 v3, s56
	s_sub_co_i32 s1, 0, s56
	s_delay_alu instid0(VALU_DEP_1) | instskip(NEXT) | instid1(TRANS32_DEP_1)
	v_rcp_iflag_f32_e32 v3, v3
	v_mul_f32_e32 v3, 0x4f7ffffe, v3
	s_delay_alu instid0(VALU_DEP_1) | instskip(SKIP_1) | instid1(VALU_DEP_1)
	v_cvt_u32_f32_e32 v3, v3
	s_wait_alu 0xfffe
	v_mul_lo_u32 v16, s1, v3
	s_delay_alu instid0(VALU_DEP_1) | instskip(NEXT) | instid1(VALU_DEP_1)
	v_mul_hi_u32 v16, v3, v16
	v_add_nc_u32_e32 v3, v3, v16
	s_delay_alu instid0(VALU_DEP_1) | instskip(NEXT) | instid1(VALU_DEP_1)
	v_mul_hi_u32 v3, v14, v3
	v_mul_lo_u32 v16, v3, s56
	v_add_nc_u32_e32 v17, 1, v3
	s_delay_alu instid0(VALU_DEP_2) | instskip(NEXT) | instid1(VALU_DEP_1)
	v_sub_nc_u32_e32 v16, v14, v16
	v_subrev_nc_u32_e32 v22, s56, v16
	v_cmp_le_u32_e32 vcc_lo, s56, v16
	s_wait_alu 0xfffd
	s_delay_alu instid0(VALU_DEP_2) | instskip(NEXT) | instid1(VALU_DEP_1)
	v_dual_cndmask_b32 v16, v16, v22 :: v_dual_cndmask_b32 v3, v3, v17
	v_cmp_le_u32_e32 vcc_lo, s56, v16
	s_delay_alu instid0(VALU_DEP_2) | instskip(SKIP_1) | instid1(VALU_DEP_1)
	v_add_nc_u32_e32 v17, 1, v3
	s_wait_alu 0xfffd
	v_dual_cndmask_b32 v16, v3, v17 :: v_dual_mov_b32 v17, v2
	s_branch .LBB54_21
.LBB54_38:                              ;   in Loop: Header=BB54_3 Depth=1
	s_load_b64 s[0:1], s[24:25], 0x0
	s_wait_kmcnt 0x0
	v_cmp_gt_i64_e32 vcc_lo, s[0:1], v[4:5]
	s_and_b32 exec_lo, exec_lo, vcc_lo
	s_cbranch_execz .LBB54_2
; %bb.39:                               ;   in Loop: Header=BB54_3 Depth=1
	v_add_co_u32 v8, vcc_lo, v4, 1
	s_wait_alu 0xfffd
	v_add_co_ci_u32_e64 v9, null, 0, v5, vcc_lo
	v_add_co_u32 v6, vcc_lo, s10, v6
	s_wait_alu 0xfffd
	v_add_co_ci_u32_e64 v7, null, s11, v7, vcc_lo
	s_delay_alu instid0(VALU_DEP_3)
	v_cmp_gt_i64_e32 vcc_lo, s[0:1], v[8:9]
	global_store_b8 v[6:7], v2, off
	s_and_b32 exec_lo, exec_lo, vcc_lo
	s_cbranch_execz .LBB54_2
; %bb.40:                               ;   in Loop: Header=BB54_3 Depth=1
	v_sub_co_u32 v8, vcc_lo, v8, v20
	s_wait_alu 0xfffd
	v_sub_co_ci_u32_e64 v9, null, v9, v21, vcc_lo
	s_mov_b32 s14, exec_lo
	v_cmpx_gt_i64_e64 s[4:5], v[8:9]
	s_cbranch_execz .LBB54_42
; %bb.41:                               ;   in Loop: Header=BB54_3 Depth=1
	v_add_co_u32 v8, vcc_lo, v6, s2
	s_wait_alu 0xfffd
	v_add_co_ci_u32_e64 v9, null, s3, v7, vcc_lo
	global_store_b8 v[8:9], v2, off
.LBB54_42:                              ;   in Loop: Header=BB54_3 Depth=1
	s_wait_alu 0xfffe
	s_or_b32 exec_lo, exec_lo, s14
	v_add_co_u32 v8, vcc_lo, v4, 2
	s_wait_alu 0xfffd
	v_add_co_ci_u32_e64 v9, null, 0, v5, vcc_lo
	s_delay_alu instid0(VALU_DEP_1)
	v_cmp_gt_i64_e32 vcc_lo, s[0:1], v[8:9]
	s_and_b32 exec_lo, exec_lo, vcc_lo
	s_cbranch_execz .LBB54_2
; %bb.43:                               ;   in Loop: Header=BB54_3 Depth=1
	v_sub_co_u32 v8, vcc_lo, v8, v20
	s_wait_alu 0xfffd
	v_sub_co_ci_u32_e64 v9, null, v9, v21, vcc_lo
	s_mov_b32 s14, exec_lo
	v_cmpx_gt_i64_e64 s[4:5], v[8:9]
	s_cbranch_execz .LBB54_45
; %bb.44:                               ;   in Loop: Header=BB54_3 Depth=1
	s_lshl_b64 s[38:39], s[2:3], 1
	s_wait_alu 0xfffe
	v_add_co_u32 v8, vcc_lo, v6, s38
	s_wait_alu 0xfffd
	v_add_co_ci_u32_e64 v9, null, s39, v7, vcc_lo
	global_store_b8 v[8:9], v2, off
.LBB54_45:                              ;   in Loop: Header=BB54_3 Depth=1
	s_wait_alu 0xfffe
	s_or_b32 exec_lo, exec_lo, s14
	v_add_co_u32 v3, vcc_lo, v4, 3
	s_wait_alu 0xfffd
	v_add_co_ci_u32_e64 v4, null, 0, v5, vcc_lo
	s_delay_alu instid0(VALU_DEP_2) | instskip(SKIP_1) | instid1(VALU_DEP_2)
	v_sub_co_u32 v8, vcc_lo, v3, v20
	s_wait_alu 0xfffd
	v_sub_co_ci_u32_e64 v9, null, v4, v21, vcc_lo
	v_cmp_gt_i64_e32 vcc_lo, s[0:1], v[3:4]
	s_delay_alu instid0(VALU_DEP_2)
	v_cmp_gt_i64_e64 s0, s[4:5], v[8:9]
	s_and_b32 s0, vcc_lo, s0
	s_wait_alu 0xfffe
	s_and_b32 exec_lo, exec_lo, s0
	s_cbranch_execz .LBB54_2
; %bb.46:                               ;   in Loop: Header=BB54_3 Depth=1
	v_mad_co_u64_u32 v[3:4], null, s2, 3, v[6:7]
	s_delay_alu instid0(VALU_DEP_1)
	v_mad_co_u64_u32 v[4:5], null, s3, 3, v[4:5]
	global_store_b8 v[3:4], v2, off
	s_branch .LBB54_2
.LBB54_47:
	s_endpgm
	.section	.rodata,"a",@progbits
	.p2align	6, 0x0
	.amdhsa_kernel _ZN2at6native16triu_tril_kernelIhlLb1ELi4ELb1EEEvNS_4cuda6detail10TensorInfoIT_T0_EENS4_IKS5_S6_EEllS6_
		.amdhsa_group_segment_fixed_size 0
		.amdhsa_private_segment_fixed_size 0
		.amdhsa_kernarg_size 1112
		.amdhsa_user_sgpr_count 2
		.amdhsa_user_sgpr_dispatch_ptr 0
		.amdhsa_user_sgpr_queue_ptr 0
		.amdhsa_user_sgpr_kernarg_segment_ptr 1
		.amdhsa_user_sgpr_dispatch_id 0
		.amdhsa_user_sgpr_private_segment_size 0
		.amdhsa_wavefront_size32 1
		.amdhsa_uses_dynamic_stack 0
		.amdhsa_enable_private_segment 0
		.amdhsa_system_sgpr_workgroup_id_x 1
		.amdhsa_system_sgpr_workgroup_id_y 0
		.amdhsa_system_sgpr_workgroup_id_z 0
		.amdhsa_system_sgpr_workgroup_info 0
		.amdhsa_system_vgpr_workitem_id 0
		.amdhsa_next_free_vgpr 30
		.amdhsa_next_free_sgpr 75
		.amdhsa_reserve_vcc 1
		.amdhsa_float_round_mode_32 0
		.amdhsa_float_round_mode_16_64 0
		.amdhsa_float_denorm_mode_32 3
		.amdhsa_float_denorm_mode_16_64 3
		.amdhsa_fp16_overflow 0
		.amdhsa_workgroup_processor_mode 1
		.amdhsa_memory_ordered 1
		.amdhsa_forward_progress 1
		.amdhsa_inst_pref_size 67
		.amdhsa_round_robin_scheduling 0
		.amdhsa_exception_fp_ieee_invalid_op 0
		.amdhsa_exception_fp_denorm_src 0
		.amdhsa_exception_fp_ieee_div_zero 0
		.amdhsa_exception_fp_ieee_overflow 0
		.amdhsa_exception_fp_ieee_underflow 0
		.amdhsa_exception_fp_ieee_inexact 0
		.amdhsa_exception_int_div_zero 0
	.end_amdhsa_kernel
	.section	.text._ZN2at6native16triu_tril_kernelIhlLb1ELi4ELb1EEEvNS_4cuda6detail10TensorInfoIT_T0_EENS4_IKS5_S6_EEllS6_,"axG",@progbits,_ZN2at6native16triu_tril_kernelIhlLb1ELi4ELb1EEEvNS_4cuda6detail10TensorInfoIT_T0_EENS4_IKS5_S6_EEllS6_,comdat
.Lfunc_end54:
	.size	_ZN2at6native16triu_tril_kernelIhlLb1ELi4ELb1EEEvNS_4cuda6detail10TensorInfoIT_T0_EENS4_IKS5_S6_EEllS6_, .Lfunc_end54-_ZN2at6native16triu_tril_kernelIhlLb1ELi4ELb1EEEvNS_4cuda6detail10TensorInfoIT_T0_EENS4_IKS5_S6_EEllS6_
                                        ; -- End function
	.set _ZN2at6native16triu_tril_kernelIhlLb1ELi4ELb1EEEvNS_4cuda6detail10TensorInfoIT_T0_EENS4_IKS5_S6_EEllS6_.num_vgpr, 30
	.set _ZN2at6native16triu_tril_kernelIhlLb1ELi4ELb1EEEvNS_4cuda6detail10TensorInfoIT_T0_EENS4_IKS5_S6_EEllS6_.num_agpr, 0
	.set _ZN2at6native16triu_tril_kernelIhlLb1ELi4ELb1EEEvNS_4cuda6detail10TensorInfoIT_T0_EENS4_IKS5_S6_EEllS6_.numbered_sgpr, 75
	.set _ZN2at6native16triu_tril_kernelIhlLb1ELi4ELb1EEEvNS_4cuda6detail10TensorInfoIT_T0_EENS4_IKS5_S6_EEllS6_.num_named_barrier, 0
	.set _ZN2at6native16triu_tril_kernelIhlLb1ELi4ELb1EEEvNS_4cuda6detail10TensorInfoIT_T0_EENS4_IKS5_S6_EEllS6_.private_seg_size, 0
	.set _ZN2at6native16triu_tril_kernelIhlLb1ELi4ELb1EEEvNS_4cuda6detail10TensorInfoIT_T0_EENS4_IKS5_S6_EEllS6_.uses_vcc, 1
	.set _ZN2at6native16triu_tril_kernelIhlLb1ELi4ELb1EEEvNS_4cuda6detail10TensorInfoIT_T0_EENS4_IKS5_S6_EEllS6_.uses_flat_scratch, 0
	.set _ZN2at6native16triu_tril_kernelIhlLb1ELi4ELb1EEEvNS_4cuda6detail10TensorInfoIT_T0_EENS4_IKS5_S6_EEllS6_.has_dyn_sized_stack, 0
	.set _ZN2at6native16triu_tril_kernelIhlLb1ELi4ELb1EEEvNS_4cuda6detail10TensorInfoIT_T0_EENS4_IKS5_S6_EEllS6_.has_recursion, 0
	.set _ZN2at6native16triu_tril_kernelIhlLb1ELi4ELb1EEEvNS_4cuda6detail10TensorInfoIT_T0_EENS4_IKS5_S6_EEllS6_.has_indirect_call, 0
	.section	.AMDGPU.csdata,"",@progbits
; Kernel info:
; codeLenInByte = 8532
; TotalNumSgprs: 77
; NumVgprs: 30
; ScratchSize: 0
; MemoryBound: 0
; FloatMode: 240
; IeeeMode: 1
; LDSByteSize: 0 bytes/workgroup (compile time only)
; SGPRBlocks: 0
; VGPRBlocks: 3
; NumSGPRsForWavesPerEU: 77
; NumVGPRsForWavesPerEU: 30
; Occupancy: 16
; WaveLimiterHint : 0
; COMPUTE_PGM_RSRC2:SCRATCH_EN: 0
; COMPUTE_PGM_RSRC2:USER_SGPR: 2
; COMPUTE_PGM_RSRC2:TRAP_HANDLER: 0
; COMPUTE_PGM_RSRC2:TGID_X_EN: 1
; COMPUTE_PGM_RSRC2:TGID_Y_EN: 0
; COMPUTE_PGM_RSRC2:TGID_Z_EN: 0
; COMPUTE_PGM_RSRC2:TIDIG_COMP_CNT: 0
	.section	.text._ZN2at6native16triu_tril_kernelIhlLb1ELi4ELb0EEEvNS_4cuda6detail10TensorInfoIT_T0_EENS4_IKS5_S6_EEllS6_,"axG",@progbits,_ZN2at6native16triu_tril_kernelIhlLb1ELi4ELb0EEEvNS_4cuda6detail10TensorInfoIT_T0_EENS4_IKS5_S6_EEllS6_,comdat
	.protected	_ZN2at6native16triu_tril_kernelIhlLb1ELi4ELb0EEEvNS_4cuda6detail10TensorInfoIT_T0_EENS4_IKS5_S6_EEllS6_ ; -- Begin function _ZN2at6native16triu_tril_kernelIhlLb1ELi4ELb0EEEvNS_4cuda6detail10TensorInfoIT_T0_EENS4_IKS5_S6_EEllS6_
	.globl	_ZN2at6native16triu_tril_kernelIhlLb1ELi4ELb0EEEvNS_4cuda6detail10TensorInfoIT_T0_EENS4_IKS5_S6_EEllS6_
	.p2align	8
	.type	_ZN2at6native16triu_tril_kernelIhlLb1ELi4ELb0EEEvNS_4cuda6detail10TensorInfoIT_T0_EENS4_IKS5_S6_EEllS6_,@function
_ZN2at6native16triu_tril_kernelIhlLb1ELi4ELb0EEEvNS_4cuda6detail10TensorInfoIT_T0_EENS4_IKS5_S6_EEllS6_: ; @_ZN2at6native16triu_tril_kernelIhlLb1ELi4ELb0EEEvNS_4cuda6detail10TensorInfoIT_T0_EENS4_IKS5_S6_EEllS6_
; %bb.0:
	s_clause 0x1
	s_load_b32 s2, s[0:1], 0x364
	s_load_b128 s[4:7], s[0:1], 0x340
	v_mov_b32_e32 v2, 0
	s_delay_alu instid0(VALU_DEP_1) | instskip(SKIP_3) | instid1(VALU_DEP_1)
	v_mov_b32_e32 v1, v2
	s_wait_kmcnt 0x0
	s_and_b32 s16, s2, 0xffff
	s_mov_b32 s2, exec_lo
	v_mad_co_u64_u32 v[0:1], null, s16, ttmp9, v[0:1]
	s_delay_alu instid0(VALU_DEP_1) | instskip(NEXT) | instid1(VALU_DEP_1)
	v_lshlrev_b64_e32 v[0:1], 2, v[0:1]
	v_cmpx_gt_i64_e64 s[6:7], v[0:1]
	s_cbranch_execz .LBB55_44
; %bb.1:
	s_clause 0x1
	s_load_b32 s46, s[0:1], 0x338
	s_load_b64 s[2:3], s[0:1], 0x1a0
	s_add_nc_u64 s[20:21], s[0:1], 0x1a0
	s_load_b64 s[22:23], s[0:1], 0x350
	s_add_nc_u64 s[14:15], s[0:1], 0x358
	s_mov_b32 s27, 0
	s_mov_b32 s28, s4
	;; [unrolled: 1-line block ×10, first 2 shown]
	s_wait_kmcnt 0x0
	s_ashr_i32 s47, s46, 31
	s_add_co_i32 s38, s46, -3
	s_lshl_b64 s[18:19], s[46:47], 3
	s_ashr_i32 s39, s38, 31
	s_add_nc_u64 s[12:13], s[20:21], s[18:19]
	v_cmp_gt_i64_e64 s70, s[46:47], 2
	s_add_nc_u64 s[8:9], s[12:13], -8
	s_add_nc_u64 s[40:41], s[38:39], -1
	s_load_b128 s[8:11], s[8:9], 0x0
	s_load_b32 s17, s[14:15], 0x0
	s_clause 0x1
	s_load_b64 s[24:25], s[0:1], 0x0
	s_load_b128 s[12:15], s[12:13], 0xc0
	v_cvt_f32_u32_e32 v3, s22
	s_add_nc_u64 s[46:47], s[0:1], 0xc8
	s_delay_alu instid0(VALU_DEP_1)
	v_rcp_iflag_f32_e32 v3, v3
	s_wait_kmcnt 0x0
	v_cvt_f32_u32_e32 v4, s8
	s_mul_i32 s26, s17, s16
	s_add_nc_u64 s[16:17], s[0:1], s[18:19]
	s_lshl_b32 s33, s26, 2
	s_load_b128 s[16:19], s[16:17], 0xc0
	v_rcp_iflag_f32_e32 v4, v4
	s_delay_alu instid0(TRANS32_DEP_2)
	v_mul_f32_e32 v3, 0x4f7ffffe, v3
	s_bitcmp0_b32 s38, 0
	s_cselect_b32 s68, -1, 0
	s_lshl_b64 s[44:45], s[38:39], 3
	s_cmp_lg_u32 s38, 0
	s_add_nc_u64 s[42:43], s[20:21], s[44:45]
	s_add_nc_u64 s[44:45], s[0:1], s[44:45]
	s_cselect_b32 s69, -1, 0
	s_delay_alu instid0(TRANS32_DEP_1) | instskip(SKIP_2) | instid1(VALU_DEP_2)
	v_mul_f32_e32 v4, 0x4f7ffffe, v4
	v_cvt_u32_f32_e32 v16, v3
	s_ashr_i32 s48, s23, 31
	v_cvt_u32_f32_e32 v17, v4
	s_branch .LBB55_3
.LBB55_2:                               ;   in Loop: Header=BB55_3 Depth=1
	s_wait_alu 0xfffe
	s_or_b32 exec_lo, exec_lo, s0
	v_add_co_u32 v0, vcc_lo, v0, s33
	s_wait_alu 0xfffd
	v_add_co_ci_u32_e64 v1, null, 0, v1, vcc_lo
	s_delay_alu instid0(VALU_DEP_1) | instskip(SKIP_1) | instid1(SALU_CYCLE_1)
	v_cmp_le_i64_e32 vcc_lo, s[6:7], v[0:1]
	s_or_b32 s71, vcc_lo, s71
	s_and_not1_b32 exec_lo, exec_lo, s71
	s_cbranch_execz .LBB55_44
.LBB55_3:                               ; =>This Loop Header: Depth=1
                                        ;     Child Loop BB55_21 Depth 2
	v_or_b32_e32 v3, s23, v1
                                        ; implicit-def: $vgpr6_vgpr7
	s_mov_b32 s0, exec_lo
	s_delay_alu instid0(VALU_DEP_1)
	v_cmpx_ne_u64_e32 0, v[2:3]
	s_wait_alu 0xfffe
	s_xor_b32 s1, exec_lo, s0
	s_cbranch_execz .LBB55_5
; %bb.4:                                ;   in Loop: Header=BB55_3 Depth=1
	s_mov_b32 s49, s48
	v_ashrrev_i32_e32 v9, 31, v1
	s_wait_alu 0xfffe
	s_add_nc_u64 s[50:51], s[22:23], s[48:49]
	s_wait_alu 0xfffe
	s_xor_b64 s[50:51], s[50:51], s[48:49]
	v_add_co_u32 v3, vcc_lo, v0, v9
	s_wait_alu 0xfffe
	s_cvt_f32_u32 s0, s50
	s_cvt_f32_u32 s26, s51
	s_sub_nc_u64 s[54:55], 0, s[50:51]
	s_wait_alu 0xfffd
	v_add_co_ci_u32_e64 v4, null, v1, v9, vcc_lo
	s_wait_alu 0xfffe
	s_fmamk_f32 s0, s26, 0x4f800000, s0
	v_xor_b32_e32 v10, v3, v9
	s_delay_alu instid0(VALU_DEP_2) | instskip(SKIP_2) | instid1(TRANS32_DEP_1)
	v_xor_b32_e32 v11, v4, v9
	s_wait_alu 0xfffe
	v_s_rcp_f32 s0, s0
	s_mul_f32 s0, s0, 0x5f7ffffc
	s_wait_alu 0xfffe
	s_delay_alu instid0(SALU_CYCLE_2) | instskip(SKIP_1) | instid1(SALU_CYCLE_2)
	s_mul_f32 s26, s0, 0x2f800000
	s_wait_alu 0xfffe
	s_trunc_f32 s26, s26
	s_wait_alu 0xfffe
	s_delay_alu instid0(SALU_CYCLE_2) | instskip(SKIP_2) | instid1(SALU_CYCLE_1)
	s_fmamk_f32 s0, s26, 0xcf800000, s0
	s_cvt_u32_f32 s53, s26
	s_wait_alu 0xfffe
	s_cvt_u32_f32 s52, s0
	s_wait_alu 0xfffe
	s_delay_alu instid0(SALU_CYCLE_2)
	s_mul_u64 s[56:57], s[54:55], s[52:53]
	s_wait_alu 0xfffe
	s_mul_hi_u32 s59, s52, s57
	s_mul_i32 s58, s52, s57
	s_mul_hi_u32 s26, s52, s56
	s_mul_i32 s49, s53, s56
	s_wait_alu 0xfffe
	s_add_nc_u64 s[58:59], s[26:27], s[58:59]
	s_mul_hi_u32 s0, s53, s56
	s_mul_hi_u32 s60, s53, s57
	s_wait_alu 0xfffe
	s_add_co_u32 s26, s58, s49
	s_add_co_ci_u32 s26, s59, s0
	s_mul_i32 s56, s53, s57
	s_add_co_ci_u32 s57, s60, 0
	s_wait_alu 0xfffe
	s_add_nc_u64 s[56:57], s[26:27], s[56:57]
	s_wait_alu 0xfffe
	s_add_co_u32 s52, s52, s56
	s_cselect_b32 s0, -1, 0
	s_wait_alu 0xfffe
	s_cmp_lg_u32 s0, 0
	s_add_co_ci_u32 s53, s53, s57
	s_wait_alu 0xfffe
	s_mul_u64 s[54:55], s[54:55], s[52:53]
	s_wait_alu 0xfffe
	s_mul_hi_u32 s57, s52, s55
	s_mul_i32 s56, s52, s55
	s_mul_hi_u32 s26, s52, s54
	s_mul_i32 s49, s53, s54
	s_wait_alu 0xfffe
	s_add_nc_u64 s[56:57], s[26:27], s[56:57]
	s_mul_hi_u32 s0, s53, s54
	s_mul_hi_u32 s58, s53, s55
	s_wait_alu 0xfffe
	s_add_co_u32 s26, s56, s49
	s_add_co_ci_u32 s26, s57, s0
	s_mul_i32 s54, s53, s55
	s_add_co_ci_u32 s55, s58, 0
	s_wait_alu 0xfffe
	s_add_nc_u64 s[54:55], s[26:27], s[54:55]
	s_wait_alu 0xfffe
	s_add_co_u32 s0, s52, s54
	s_cselect_b32 s26, -1, 0
	s_wait_alu 0xfffe
	v_mul_hi_u32 v12, v10, s0
	s_cmp_lg_u32 s26, 0
	v_mad_co_u64_u32 v[5:6], null, v11, s0, 0
	s_add_co_ci_u32 s26, s53, s55
	s_wait_alu 0xfffe
	v_mad_co_u64_u32 v[3:4], null, v10, s26, 0
	v_mad_co_u64_u32 v[7:8], null, v11, s26, 0
	s_delay_alu instid0(VALU_DEP_2) | instskip(SKIP_1) | instid1(VALU_DEP_3)
	v_add_co_u32 v3, vcc_lo, v12, v3
	s_wait_alu 0xfffd
	v_add_co_ci_u32_e64 v4, null, 0, v4, vcc_lo
	s_delay_alu instid0(VALU_DEP_2) | instskip(SKIP_1) | instid1(VALU_DEP_2)
	v_add_co_u32 v3, vcc_lo, v3, v5
	s_wait_alu 0xfffd
	v_add_co_ci_u32_e32 v3, vcc_lo, v4, v6, vcc_lo
	s_wait_alu 0xfffd
	v_add_co_ci_u32_e32 v4, vcc_lo, 0, v8, vcc_lo
	s_delay_alu instid0(VALU_DEP_2) | instskip(SKIP_1) | instid1(VALU_DEP_2)
	v_add_co_u32 v5, vcc_lo, v3, v7
	s_wait_alu 0xfffd
	v_add_co_ci_u32_e64 v6, null, 0, v4, vcc_lo
	s_delay_alu instid0(VALU_DEP_2) | instskip(SKIP_1) | instid1(VALU_DEP_3)
	v_mul_lo_u32 v7, s51, v5
	v_mad_co_u64_u32 v[3:4], null, s50, v5, 0
	v_mul_lo_u32 v8, s50, v6
	s_delay_alu instid0(VALU_DEP_2) | instskip(NEXT) | instid1(VALU_DEP_2)
	v_sub_co_u32 v3, vcc_lo, v10, v3
	v_add3_u32 v4, v4, v8, v7
	v_add_co_u32 v8, s0, v5, 2
	s_wait_alu 0xf1ff
	v_add_co_ci_u32_e64 v10, null, 0, v6, s0
	s_delay_alu instid0(VALU_DEP_3) | instskip(SKIP_3) | instid1(VALU_DEP_3)
	v_sub_nc_u32_e32 v7, v11, v4
	v_sub_co_u32 v12, s0, v3, s50
	s_wait_alu 0xfffd
	v_sub_co_ci_u32_e64 v4, null, v11, v4, vcc_lo
	v_subrev_co_ci_u32_e64 v7, null, s51, v7, vcc_lo
	s_delay_alu instid0(VALU_DEP_3) | instskip(SKIP_1) | instid1(VALU_DEP_2)
	v_cmp_le_u32_e32 vcc_lo, s50, v12
	s_wait_alu 0xf1ff
	v_subrev_co_ci_u32_e64 v7, null, 0, v7, s0
	s_wait_alu 0xfffd
	v_cndmask_b32_e64 v11, 0, -1, vcc_lo
	s_delay_alu instid0(VALU_DEP_2)
	v_cmp_le_u32_e32 vcc_lo, s51, v7
	s_wait_alu 0xfffd
	v_cndmask_b32_e64 v12, 0, -1, vcc_lo
	v_cmp_le_u32_e32 vcc_lo, s50, v3
	s_wait_alu 0xfffd
	v_cndmask_b32_e64 v3, 0, -1, vcc_lo
	;; [unrolled: 3-line block ×3, first 2 shown]
	v_cmp_eq_u32_e32 vcc_lo, s51, v7
	s_wait_alu 0xfffd
	v_cndmask_b32_e32 v7, v12, v11, vcc_lo
	v_add_co_u32 v11, vcc_lo, v5, 1
	s_wait_alu 0xfffd
	v_add_co_ci_u32_e64 v12, null, 0, v6, vcc_lo
	v_cmp_eq_u32_e32 vcc_lo, s51, v4
	s_wait_alu 0xfffd
	v_cndmask_b32_e32 v3, v13, v3, vcc_lo
	v_cmp_ne_u32_e32 vcc_lo, 0, v7
	v_xor_b32_e32 v7, s48, v9
	s_wait_alu 0xfffd
	v_cndmask_b32_e32 v4, v12, v10, vcc_lo
	v_cmp_ne_u32_e64 s0, 0, v3
	v_cndmask_b32_e32 v3, v11, v8, vcc_lo
	s_wait_alu 0xf1ff
	s_delay_alu instid0(VALU_DEP_2) | instskip(NEXT) | instid1(VALU_DEP_2)
	v_cndmask_b32_e64 v4, v6, v4, s0
	v_cndmask_b32_e64 v3, v5, v3, s0
	s_delay_alu instid0(VALU_DEP_2) | instskip(NEXT) | instid1(VALU_DEP_2)
	v_xor_b32_e32 v4, v4, v7
	v_xor_b32_e32 v3, v3, v7
	s_delay_alu instid0(VALU_DEP_1) | instskip(SKIP_1) | instid1(VALU_DEP_3)
	v_sub_co_u32 v6, vcc_lo, v3, v7
	s_wait_alu 0xfffd
	v_sub_co_ci_u32_e64 v7, null, v4, v7, vcc_lo
.LBB55_5:                               ;   in Loop: Header=BB55_3 Depth=1
	s_wait_alu 0xfffe
	s_and_not1_saveexec_b32 s0, s1
	s_cbranch_execz .LBB55_7
; %bb.6:                                ;   in Loop: Header=BB55_3 Depth=1
	s_sub_co_i32 s1, 0, s22
	v_mov_b32_e32 v7, v2
	s_wait_alu 0xfffe
	v_mul_lo_u32 v3, s1, v16
	s_delay_alu instid0(VALU_DEP_1) | instskip(NEXT) | instid1(VALU_DEP_1)
	v_mul_hi_u32 v3, v16, v3
	v_add_nc_u32_e32 v3, v16, v3
	s_delay_alu instid0(VALU_DEP_1) | instskip(NEXT) | instid1(VALU_DEP_1)
	v_mul_hi_u32 v3, v0, v3
	v_mul_lo_u32 v4, v3, s22
	s_delay_alu instid0(VALU_DEP_1) | instskip(NEXT) | instid1(VALU_DEP_1)
	v_sub_nc_u32_e32 v4, v0, v4
	v_subrev_nc_u32_e32 v6, s22, v4
	v_cmp_le_u32_e32 vcc_lo, s22, v4
	s_wait_alu 0xfffd
	s_delay_alu instid0(VALU_DEP_2) | instskip(NEXT) | instid1(VALU_DEP_1)
	v_dual_cndmask_b32 v4, v4, v6 :: v_dual_add_nc_u32 v5, 1, v3
	v_cndmask_b32_e32 v3, v3, v5, vcc_lo
	s_delay_alu instid0(VALU_DEP_2) | instskip(NEXT) | instid1(VALU_DEP_2)
	v_cmp_le_u32_e32 vcc_lo, s22, v4
	v_add_nc_u32_e32 v5, 1, v3
	s_wait_alu 0xfffd
	s_delay_alu instid0(VALU_DEP_1)
	v_cndmask_b32_e32 v6, v3, v5, vcc_lo
.LBB55_7:                               ;   in Loop: Header=BB55_3 Depth=1
	s_wait_alu 0xfffe
	s_or_b32 exec_lo, exec_lo, s0
	v_or_b32_e32 v3, s9, v7
                                        ; implicit-def: $vgpr10_vgpr11
	s_mov_b32 s0, exec_lo
	s_delay_alu instid0(VALU_DEP_1)
	v_cmpx_ne_u64_e32 0, v[2:3]
	s_wait_alu 0xfffe
	s_xor_b32 s1, exec_lo, s0
	s_cbranch_execz .LBB55_9
; %bb.8:                                ;   in Loop: Header=BB55_3 Depth=1
	s_ashr_i32 s50, s9, 31
	v_ashrrev_i32_e32 v5, 31, v7
	s_wait_alu 0xfffe
	s_mov_b32 s51, s50
	s_wait_alu 0xfffe
	s_add_nc_u64 s[52:53], s[8:9], s[50:51]
	v_add_co_u32 v3, vcc_lo, v6, v5
	s_wait_alu 0xfffe
	s_xor_b64 s[52:53], s[52:53], s[50:51]
	s_wait_alu 0xfffd
	v_add_co_ci_u32_e64 v4, null, v7, v5, vcc_lo
	s_wait_alu 0xfffe
	s_cvt_f32_u32 s0, s52
	s_cvt_f32_u32 s26, s53
	s_sub_nc_u64 s[56:57], 0, s[52:53]
	v_xor_b32_e32 v12, v3, v5
	v_xor_b32_e32 v13, v4, v5
	s_wait_alu 0xfffe
	s_fmamk_f32 s0, s26, 0x4f800000, s0
	v_xor_b32_e32 v5, s50, v5
	s_wait_alu 0xfffe
	s_delay_alu instid0(SALU_CYCLE_1) | instskip(NEXT) | instid1(TRANS32_DEP_1)
	v_s_rcp_f32 s0, s0
	s_mul_f32 s0, s0, 0x5f7ffffc
	s_wait_alu 0xfffe
	s_delay_alu instid0(SALU_CYCLE_2) | instskip(SKIP_1) | instid1(SALU_CYCLE_2)
	s_mul_f32 s26, s0, 0x2f800000
	s_wait_alu 0xfffe
	s_trunc_f32 s26, s26
	s_wait_alu 0xfffe
	s_delay_alu instid0(SALU_CYCLE_2) | instskip(SKIP_2) | instid1(SALU_CYCLE_1)
	s_fmamk_f32 s0, s26, 0xcf800000, s0
	s_cvt_u32_f32 s55, s26
	s_wait_alu 0xfffe
	s_cvt_u32_f32 s54, s0
	s_wait_alu 0xfffe
	s_delay_alu instid0(SALU_CYCLE_2)
	s_mul_u64 s[58:59], s[56:57], s[54:55]
	s_wait_alu 0xfffe
	s_mul_hi_u32 s61, s54, s59
	s_mul_i32 s60, s54, s59
	s_mul_hi_u32 s26, s54, s58
	s_mul_i32 s49, s55, s58
	s_wait_alu 0xfffe
	s_add_nc_u64 s[60:61], s[26:27], s[60:61]
	s_mul_hi_u32 s0, s55, s58
	s_mul_hi_u32 s51, s55, s59
	s_wait_alu 0xfffe
	s_add_co_u32 s26, s60, s49
	s_add_co_ci_u32 s26, s61, s0
	s_mul_i32 s58, s55, s59
	s_add_co_ci_u32 s59, s51, 0
	s_wait_alu 0xfffe
	s_add_nc_u64 s[58:59], s[26:27], s[58:59]
	s_wait_alu 0xfffe
	s_add_co_u32 s54, s54, s58
	s_cselect_b32 s0, -1, 0
	s_wait_alu 0xfffe
	s_cmp_lg_u32 s0, 0
	s_add_co_ci_u32 s55, s55, s59
	s_wait_alu 0xfffe
	s_mul_u64 s[56:57], s[56:57], s[54:55]
	s_wait_alu 0xfffe
	s_mul_hi_u32 s59, s54, s57
	s_mul_i32 s58, s54, s57
	s_mul_hi_u32 s26, s54, s56
	s_mul_i32 s49, s55, s56
	s_wait_alu 0xfffe
	s_add_nc_u64 s[58:59], s[26:27], s[58:59]
	s_mul_hi_u32 s0, s55, s56
	s_mul_hi_u32 s51, s55, s57
	s_wait_alu 0xfffe
	s_add_co_u32 s26, s58, s49
	s_add_co_ci_u32 s26, s59, s0
	s_mul_i32 s56, s55, s57
	s_add_co_ci_u32 s57, s51, 0
	s_wait_alu 0xfffe
	s_add_nc_u64 s[56:57], s[26:27], s[56:57]
	s_wait_alu 0xfffe
	s_add_co_u32 s0, s54, s56
	s_cselect_b32 s26, -1, 0
	s_wait_alu 0xfffe
	v_mul_hi_u32 v14, v12, s0
	s_cmp_lg_u32 s26, 0
	v_mad_co_u64_u32 v[8:9], null, v13, s0, 0
	s_add_co_ci_u32 s26, s55, s57
	s_wait_alu 0xfffe
	v_mad_co_u64_u32 v[3:4], null, v12, s26, 0
	v_mad_co_u64_u32 v[10:11], null, v13, s26, 0
	s_delay_alu instid0(VALU_DEP_2) | instskip(SKIP_1) | instid1(VALU_DEP_3)
	v_add_co_u32 v3, vcc_lo, v14, v3
	s_wait_alu 0xfffd
	v_add_co_ci_u32_e64 v4, null, 0, v4, vcc_lo
	s_delay_alu instid0(VALU_DEP_2) | instskip(SKIP_1) | instid1(VALU_DEP_2)
	v_add_co_u32 v3, vcc_lo, v3, v8
	s_wait_alu 0xfffd
	v_add_co_ci_u32_e32 v3, vcc_lo, v4, v9, vcc_lo
	s_wait_alu 0xfffd
	v_add_co_ci_u32_e32 v4, vcc_lo, 0, v11, vcc_lo
	s_delay_alu instid0(VALU_DEP_2) | instskip(SKIP_1) | instid1(VALU_DEP_2)
	v_add_co_u32 v8, vcc_lo, v3, v10
	s_wait_alu 0xfffd
	v_add_co_ci_u32_e64 v9, null, 0, v4, vcc_lo
	s_delay_alu instid0(VALU_DEP_2) | instskip(SKIP_1) | instid1(VALU_DEP_3)
	v_mul_lo_u32 v10, s53, v8
	v_mad_co_u64_u32 v[3:4], null, s52, v8, 0
	v_mul_lo_u32 v11, s52, v9
	s_delay_alu instid0(VALU_DEP_2) | instskip(NEXT) | instid1(VALU_DEP_2)
	v_sub_co_u32 v3, vcc_lo, v12, v3
	v_add3_u32 v4, v4, v11, v10
	v_add_co_u32 v11, s0, v8, 2
	s_wait_alu 0xf1ff
	v_add_co_ci_u32_e64 v12, null, 0, v9, s0
	s_delay_alu instid0(VALU_DEP_3) | instskip(SKIP_3) | instid1(VALU_DEP_3)
	v_sub_nc_u32_e32 v10, v13, v4
	v_sub_co_u32 v14, s0, v3, s52
	s_wait_alu 0xfffd
	v_sub_co_ci_u32_e64 v4, null, v13, v4, vcc_lo
	v_subrev_co_ci_u32_e64 v10, null, s53, v10, vcc_lo
	s_delay_alu instid0(VALU_DEP_3) | instskip(SKIP_1) | instid1(VALU_DEP_2)
	v_cmp_le_u32_e32 vcc_lo, s52, v14
	s_wait_alu 0xf1ff
	v_subrev_co_ci_u32_e64 v10, null, 0, v10, s0
	s_wait_alu 0xfffd
	v_cndmask_b32_e64 v13, 0, -1, vcc_lo
	s_delay_alu instid0(VALU_DEP_2)
	v_cmp_le_u32_e32 vcc_lo, s53, v10
	s_wait_alu 0xfffd
	v_cndmask_b32_e64 v14, 0, -1, vcc_lo
	v_cmp_le_u32_e32 vcc_lo, s52, v3
	s_wait_alu 0xfffd
	v_cndmask_b32_e64 v3, 0, -1, vcc_lo
	;; [unrolled: 3-line block ×3, first 2 shown]
	v_cmp_eq_u32_e32 vcc_lo, s53, v10
	s_wait_alu 0xfffd
	v_cndmask_b32_e32 v10, v14, v13, vcc_lo
	v_add_co_u32 v13, vcc_lo, v8, 1
	s_wait_alu 0xfffd
	v_add_co_ci_u32_e64 v14, null, 0, v9, vcc_lo
	v_cmp_eq_u32_e32 vcc_lo, s53, v4
	s_wait_alu 0xfffd
	v_cndmask_b32_e32 v3, v15, v3, vcc_lo
	v_cmp_ne_u32_e32 vcc_lo, 0, v10
	s_delay_alu instid0(VALU_DEP_2) | instskip(SKIP_3) | instid1(VALU_DEP_1)
	v_cmp_ne_u32_e64 s0, 0, v3
	s_wait_alu 0xfffd
	v_dual_cndmask_b32 v4, v14, v12 :: v_dual_cndmask_b32 v3, v13, v11
	s_wait_alu 0xf1ff
	v_cndmask_b32_e64 v4, v9, v4, s0
	s_delay_alu instid0(VALU_DEP_2) | instskip(NEXT) | instid1(VALU_DEP_2)
	v_cndmask_b32_e64 v3, v8, v3, s0
	v_xor_b32_e32 v4, v4, v5
	s_delay_alu instid0(VALU_DEP_2) | instskip(NEXT) | instid1(VALU_DEP_1)
	v_xor_b32_e32 v3, v3, v5
	v_sub_co_u32 v10, vcc_lo, v3, v5
	s_wait_alu 0xfffd
	s_delay_alu instid0(VALU_DEP_3)
	v_sub_co_ci_u32_e64 v11, null, v4, v5, vcc_lo
.LBB55_9:                               ;   in Loop: Header=BB55_3 Depth=1
	s_wait_alu 0xfffe
	s_and_not1_saveexec_b32 s0, s1
	s_cbranch_execz .LBB55_11
; %bb.10:                               ;   in Loop: Header=BB55_3 Depth=1
	s_sub_co_i32 s1, 0, s8
	v_mov_b32_e32 v11, v2
	s_wait_alu 0xfffe
	v_mul_lo_u32 v3, s1, v17
	s_delay_alu instid0(VALU_DEP_1) | instskip(NEXT) | instid1(VALU_DEP_1)
	v_mul_hi_u32 v3, v17, v3
	v_add_nc_u32_e32 v3, v17, v3
	s_delay_alu instid0(VALU_DEP_1) | instskip(NEXT) | instid1(VALU_DEP_1)
	v_mul_hi_u32 v3, v6, v3
	v_mul_lo_u32 v4, v3, s8
	v_add_nc_u32_e32 v5, 1, v3
	s_delay_alu instid0(VALU_DEP_2) | instskip(NEXT) | instid1(VALU_DEP_1)
	v_sub_nc_u32_e32 v4, v6, v4
	v_subrev_nc_u32_e32 v8, s8, v4
	v_cmp_le_u32_e32 vcc_lo, s8, v4
	s_wait_alu 0xfffd
	s_delay_alu instid0(VALU_DEP_2) | instskip(NEXT) | instid1(VALU_DEP_1)
	v_dual_cndmask_b32 v4, v4, v8 :: v_dual_cndmask_b32 v3, v3, v5
	v_cmp_le_u32_e32 vcc_lo, s8, v4
	s_delay_alu instid0(VALU_DEP_2) | instskip(SKIP_1) | instid1(VALU_DEP_1)
	v_add_nc_u32_e32 v5, 1, v3
	s_wait_alu 0xfffd
	v_cndmask_b32_e32 v10, v3, v5, vcc_lo
.LBB55_11:                              ;   in Loop: Header=BB55_3 Depth=1
	s_wait_alu 0xfffe
	s_or_b32 exec_lo, exec_lo, s0
	v_mul_lo_u32 v5, v7, s22
	v_mul_lo_u32 v12, v6, s23
	v_mad_co_u64_u32 v[3:4], null, v6, s22, 0
	v_mul_lo_u32 v13, v11, s8
	v_mul_lo_u32 v14, v10, s9
	v_mad_co_u64_u32 v[8:9], null, v10, s8, 0
	s_delay_alu instid0(VALU_DEP_4) | instskip(SKIP_1) | instid1(VALU_DEP_3)
	v_add3_u32 v5, v4, v12, v5
	v_sub_co_u32 v4, vcc_lo, v0, v3
	v_add3_u32 v3, v9, v14, v13
	s_wait_alu 0xfffd
	s_delay_alu instid0(VALU_DEP_3) | instskip(NEXT) | instid1(VALU_DEP_3)
	v_sub_co_ci_u32_e64 v5, null, v1, v5, vcc_lo
	v_mul_lo_u32 v9, s15, v4
	v_mad_co_u64_u32 v[12:13], null, s14, v4, 0
	s_wait_kmcnt 0x0
	v_mul_lo_u32 v20, s19, v4
	v_mul_lo_u32 v21, s14, v5
	;; [unrolled: 1-line block ×3, first 2 shown]
	v_mad_co_u64_u32 v[14:15], null, s18, v4, 0
	v_sub_co_u32 v18, vcc_lo, v6, v8
	s_wait_alu 0xfffd
	v_sub_co_ci_u32_e64 v19, null, v7, v3, vcc_lo
	v_add3_u32 v13, v13, v21, v9
	s_delay_alu instid0(VALU_DEP_3) | instskip(SKIP_1) | instid1(VALU_DEP_4)
	v_mul_lo_u32 v3, s13, v18
	v_add3_u32 v15, v15, v22, v20
	v_mul_lo_u32 v21, s12, v19
	s_and_not1_b32 vcc_lo, exec_lo, s70
	v_mad_co_u64_u32 v[8:9], null, s12, v18, v[12:13]
	v_mul_lo_u32 v12, s16, v19
	v_mul_lo_u32 v13, s17, v18
	v_mad_co_u64_u32 v[6:7], null, s16, v18, v[14:15]
	s_delay_alu instid0(VALU_DEP_4) | instskip(NEXT) | instid1(VALU_DEP_2)
	v_add3_u32 v9, v3, v9, v21
	v_add3_u32 v7, v13, v7, v12
	s_wait_alu 0xfffe
	s_cbranch_vccnz .LBB55_29
; %bb.12:                               ;   in Loop: Header=BB55_3 Depth=1
	s_and_not1_b32 vcc_lo, exec_lo, s68
	s_wait_alu 0xfffe
	s_cbranch_vccnz .LBB55_18
; %bb.13:                               ;   in Loop: Header=BB55_3 Depth=1
	s_load_b64 s[50:51], s[42:43], 0x8
                                        ; implicit-def: $vgpr12_vgpr13
	s_mov_b32 s0, exec_lo
	s_wait_kmcnt 0x0
	v_or_b32_e32 v3, s51, v11
	s_delay_alu instid0(VALU_DEP_1)
	v_cmpx_ne_u64_e32 0, v[2:3]
	s_wait_alu 0xfffe
	s_xor_b32 s1, exec_lo, s0
	s_cbranch_execz .LBB55_15
; %bb.14:                               ;   in Loop: Header=BB55_3 Depth=1
	s_ashr_i32 s52, s51, 31
	v_ashrrev_i32_e32 v3, 31, v11
	s_wait_alu 0xfffe
	s_mov_b32 s53, s52
	s_wait_alu 0xfffe
	s_add_nc_u64 s[54:55], s[50:51], s[52:53]
	v_add_co_u32 v12, vcc_lo, v10, v3
	s_wait_alu 0xfffe
	s_xor_b64 s[54:55], s[54:55], s[52:53]
	s_wait_alu 0xfffd
	v_add_co_ci_u32_e64 v13, null, v11, v3, vcc_lo
	s_wait_alu 0xfffe
	s_cvt_f32_u32 s0, s54
	s_cvt_f32_u32 s26, s55
	s_sub_nc_u64 s[58:59], 0, s[54:55]
	v_xor_b32_e32 v22, v12, v3
	v_xor_b32_e32 v23, v13, v3
	s_wait_alu 0xfffe
	s_fmamk_f32 s0, s26, 0x4f800000, s0
	v_xor_b32_e32 v3, s52, v3
	s_wait_alu 0xfffe
	s_delay_alu instid0(SALU_CYCLE_1) | instskip(NEXT) | instid1(TRANS32_DEP_1)
	v_s_rcp_f32 s0, s0
	s_mul_f32 s0, s0, 0x5f7ffffc
	s_wait_alu 0xfffe
	s_delay_alu instid0(SALU_CYCLE_2) | instskip(SKIP_1) | instid1(SALU_CYCLE_2)
	s_mul_f32 s26, s0, 0x2f800000
	s_wait_alu 0xfffe
	s_trunc_f32 s26, s26
	s_wait_alu 0xfffe
	s_delay_alu instid0(SALU_CYCLE_2) | instskip(SKIP_2) | instid1(SALU_CYCLE_1)
	s_fmamk_f32 s0, s26, 0xcf800000, s0
	s_cvt_u32_f32 s57, s26
	s_wait_alu 0xfffe
	s_cvt_u32_f32 s56, s0
	s_wait_alu 0xfffe
	s_delay_alu instid0(SALU_CYCLE_2)
	s_mul_u64 s[60:61], s[58:59], s[56:57]
	s_wait_alu 0xfffe
	s_mul_hi_u32 s63, s56, s61
	s_mul_i32 s62, s56, s61
	s_mul_hi_u32 s26, s56, s60
	s_mul_i32 s49, s57, s60
	s_wait_alu 0xfffe
	s_add_nc_u64 s[62:63], s[26:27], s[62:63]
	s_mul_hi_u32 s0, s57, s60
	s_mul_hi_u32 s53, s57, s61
	s_wait_alu 0xfffe
	s_add_co_u32 s26, s62, s49
	s_add_co_ci_u32 s26, s63, s0
	s_mul_i32 s60, s57, s61
	s_add_co_ci_u32 s61, s53, 0
	s_wait_alu 0xfffe
	s_add_nc_u64 s[60:61], s[26:27], s[60:61]
	s_wait_alu 0xfffe
	s_add_co_u32 s56, s56, s60
	s_cselect_b32 s0, -1, 0
	s_wait_alu 0xfffe
	s_cmp_lg_u32 s0, 0
	s_add_co_ci_u32 s57, s57, s61
	s_wait_alu 0xfffe
	s_mul_u64 s[58:59], s[58:59], s[56:57]
	s_wait_alu 0xfffe
	s_mul_hi_u32 s61, s56, s59
	s_mul_i32 s60, s56, s59
	s_mul_hi_u32 s26, s56, s58
	s_mul_i32 s49, s57, s58
	s_wait_alu 0xfffe
	s_add_nc_u64 s[60:61], s[26:27], s[60:61]
	s_mul_hi_u32 s0, s57, s58
	s_mul_hi_u32 s53, s57, s59
	s_wait_alu 0xfffe
	s_add_co_u32 s26, s60, s49
	s_add_co_ci_u32 s26, s61, s0
	s_mul_i32 s58, s57, s59
	s_add_co_ci_u32 s59, s53, 0
	s_wait_alu 0xfffe
	s_add_nc_u64 s[58:59], s[26:27], s[58:59]
	s_wait_alu 0xfffe
	s_add_co_u32 s0, s56, s58
	s_cselect_b32 s26, -1, 0
	s_wait_alu 0xfffe
	v_mul_hi_u32 v24, v22, s0
	s_cmp_lg_u32 s26, 0
	v_mad_co_u64_u32 v[14:15], null, v23, s0, 0
	s_add_co_ci_u32 s26, s57, s59
	s_wait_alu 0xfffe
	v_mad_co_u64_u32 v[12:13], null, v22, s26, 0
	v_mad_co_u64_u32 v[20:21], null, v23, s26, 0
	s_delay_alu instid0(VALU_DEP_2) | instskip(SKIP_1) | instid1(VALU_DEP_3)
	v_add_co_u32 v12, vcc_lo, v24, v12
	s_wait_alu 0xfffd
	v_add_co_ci_u32_e64 v13, null, 0, v13, vcc_lo
	s_delay_alu instid0(VALU_DEP_2) | instskip(SKIP_1) | instid1(VALU_DEP_2)
	v_add_co_u32 v12, vcc_lo, v12, v14
	s_wait_alu 0xfffd
	v_add_co_ci_u32_e32 v12, vcc_lo, v13, v15, vcc_lo
	s_wait_alu 0xfffd
	v_add_co_ci_u32_e32 v13, vcc_lo, 0, v21, vcc_lo
	s_delay_alu instid0(VALU_DEP_2) | instskip(SKIP_1) | instid1(VALU_DEP_2)
	v_add_co_u32 v14, vcc_lo, v12, v20
	s_wait_alu 0xfffd
	v_add_co_ci_u32_e64 v15, null, 0, v13, vcc_lo
	s_delay_alu instid0(VALU_DEP_2) | instskip(SKIP_1) | instid1(VALU_DEP_3)
	v_mul_lo_u32 v20, s55, v14
	v_mad_co_u64_u32 v[12:13], null, s54, v14, 0
	v_mul_lo_u32 v21, s54, v15
	s_delay_alu instid0(VALU_DEP_2) | instskip(NEXT) | instid1(VALU_DEP_2)
	v_sub_co_u32 v12, vcc_lo, v22, v12
	v_add3_u32 v13, v13, v21, v20
	v_add_co_u32 v21, s0, v14, 2
	s_wait_alu 0xf1ff
	v_add_co_ci_u32_e64 v22, null, 0, v15, s0
	s_delay_alu instid0(VALU_DEP_3) | instskip(SKIP_3) | instid1(VALU_DEP_3)
	v_sub_nc_u32_e32 v20, v23, v13
	v_sub_co_u32 v24, s0, v12, s54
	s_wait_alu 0xfffd
	v_sub_co_ci_u32_e64 v13, null, v23, v13, vcc_lo
	v_subrev_co_ci_u32_e64 v20, null, s55, v20, vcc_lo
	s_delay_alu instid0(VALU_DEP_3) | instskip(SKIP_1) | instid1(VALU_DEP_2)
	v_cmp_le_u32_e32 vcc_lo, s54, v24
	s_wait_alu 0xf1ff
	v_subrev_co_ci_u32_e64 v20, null, 0, v20, s0
	s_wait_alu 0xfffd
	v_cndmask_b32_e64 v23, 0, -1, vcc_lo
	s_delay_alu instid0(VALU_DEP_2)
	v_cmp_le_u32_e32 vcc_lo, s55, v20
	s_wait_alu 0xfffd
	v_cndmask_b32_e64 v24, 0, -1, vcc_lo
	v_cmp_le_u32_e32 vcc_lo, s54, v12
	s_wait_alu 0xfffd
	v_cndmask_b32_e64 v12, 0, -1, vcc_lo
	v_cmp_le_u32_e32 vcc_lo, s55, v13
	s_wait_alu 0xfffd
	v_cndmask_b32_e64 v25, 0, -1, vcc_lo
	v_cmp_eq_u32_e32 vcc_lo, s55, v20
	s_wait_alu 0xfffd
	v_cndmask_b32_e32 v20, v24, v23, vcc_lo
	v_add_co_u32 v23, vcc_lo, v14, 1
	s_wait_alu 0xfffd
	v_add_co_ci_u32_e64 v24, null, 0, v15, vcc_lo
	v_cmp_eq_u32_e32 vcc_lo, s55, v13
	s_wait_alu 0xfffd
	v_cndmask_b32_e32 v12, v25, v12, vcc_lo
	v_cmp_ne_u32_e32 vcc_lo, 0, v20
	s_wait_alu 0xfffd
	v_cndmask_b32_e32 v13, v24, v22, vcc_lo
	s_delay_alu instid0(VALU_DEP_3) | instskip(SKIP_2) | instid1(VALU_DEP_2)
	v_cmp_ne_u32_e64 s0, 0, v12
	v_cndmask_b32_e32 v12, v23, v21, vcc_lo
	s_wait_alu 0xf1ff
	v_cndmask_b32_e64 v13, v15, v13, s0
	s_delay_alu instid0(VALU_DEP_2) | instskip(NEXT) | instid1(VALU_DEP_2)
	v_cndmask_b32_e64 v12, v14, v12, s0
	v_xor_b32_e32 v13, v13, v3
	s_delay_alu instid0(VALU_DEP_2) | instskip(NEXT) | instid1(VALU_DEP_1)
	v_xor_b32_e32 v12, v12, v3
	v_sub_co_u32 v12, vcc_lo, v12, v3
	s_wait_alu 0xfffd
	s_delay_alu instid0(VALU_DEP_3)
	v_sub_co_ci_u32_e64 v13, null, v13, v3, vcc_lo
.LBB55_15:                              ;   in Loop: Header=BB55_3 Depth=1
	s_wait_alu 0xfffe
	s_and_not1_saveexec_b32 s0, s1
	s_cbranch_execz .LBB55_17
; %bb.16:                               ;   in Loop: Header=BB55_3 Depth=1
	v_cvt_f32_u32_e32 v3, s50
	s_sub_co_i32 s1, 0, s50
	s_delay_alu instid0(VALU_DEP_1) | instskip(NEXT) | instid1(TRANS32_DEP_1)
	v_rcp_iflag_f32_e32 v3, v3
	v_mul_f32_e32 v3, 0x4f7ffffe, v3
	s_delay_alu instid0(VALU_DEP_1) | instskip(SKIP_1) | instid1(VALU_DEP_1)
	v_cvt_u32_f32_e32 v3, v3
	s_wait_alu 0xfffe
	v_mul_lo_u32 v12, s1, v3
	s_delay_alu instid0(VALU_DEP_1) | instskip(NEXT) | instid1(VALU_DEP_1)
	v_mul_hi_u32 v12, v3, v12
	v_add_nc_u32_e32 v3, v3, v12
	s_delay_alu instid0(VALU_DEP_1) | instskip(NEXT) | instid1(VALU_DEP_1)
	v_mul_hi_u32 v3, v10, v3
	v_mul_lo_u32 v12, v3, s50
	v_add_nc_u32_e32 v13, 1, v3
	s_delay_alu instid0(VALU_DEP_2) | instskip(NEXT) | instid1(VALU_DEP_1)
	v_sub_nc_u32_e32 v12, v10, v12
	v_subrev_nc_u32_e32 v14, s50, v12
	v_cmp_le_u32_e32 vcc_lo, s50, v12
	s_wait_alu 0xfffd
	s_delay_alu instid0(VALU_DEP_2) | instskip(NEXT) | instid1(VALU_DEP_1)
	v_dual_cndmask_b32 v12, v12, v14 :: v_dual_cndmask_b32 v3, v3, v13
	v_cmp_le_u32_e32 vcc_lo, s50, v12
	s_delay_alu instid0(VALU_DEP_2) | instskip(SKIP_1) | instid1(VALU_DEP_1)
	v_add_nc_u32_e32 v13, 1, v3
	s_wait_alu 0xfffd
	v_dual_cndmask_b32 v12, v3, v13 :: v_dual_mov_b32 v13, v2
.LBB55_17:                              ;   in Loop: Header=BB55_3 Depth=1
	s_wait_alu 0xfffe
	s_or_b32 exec_lo, exec_lo, s0
	s_delay_alu instid0(VALU_DEP_1) | instskip(NEXT) | instid1(VALU_DEP_2)
	v_mul_lo_u32 v3, v13, s50
	v_mul_lo_u32 v20, v12, s51
	s_load_b64 s[0:1], s[42:43], 0xd0
	v_mad_co_u64_u32 v[14:15], null, v12, s50, 0
	s_load_b64 s[50:51], s[44:45], 0xd0
	v_add3_u32 v3, v15, v20, v3
	v_sub_co_u32 v10, vcc_lo, v10, v14
	s_wait_alu 0xfffd
	s_delay_alu instid0(VALU_DEP_2) | instskip(SKIP_1) | instid1(VALU_DEP_1)
	v_sub_co_ci_u32_e64 v3, null, v11, v3, vcc_lo
	s_wait_kmcnt 0x0
	v_mul_lo_u32 v11, s0, v3
	v_mul_lo_u32 v14, s1, v10
	v_mad_co_u64_u32 v[8:9], null, s0, v10, v[8:9]
	v_mul_lo_u32 v3, s50, v3
	v_mul_lo_u32 v15, s51, v10
	v_mad_co_u64_u32 v[6:7], null, s50, v10, v[6:7]
	s_mov_b64 s[0:1], s[40:41]
	v_add3_u32 v9, v14, v9, v11
	v_dual_mov_b32 v10, v12 :: v_dual_mov_b32 v11, v13
	v_add3_u32 v7, v15, v7, v3
	s_and_not1_b32 vcc_lo, exec_lo, s69
	s_wait_alu 0xfffe
	s_cbranch_vccz .LBB55_19
	s_branch .LBB55_29
.LBB55_18:                              ;   in Loop: Header=BB55_3 Depth=1
	s_mov_b64 s[0:1], s[38:39]
	s_and_not1_b32 vcc_lo, exec_lo, s69
	s_wait_alu 0xfffe
	s_cbranch_vccnz .LBB55_29
.LBB55_19:                              ;   in Loop: Header=BB55_3 Depth=1
	s_lshl_b64 s[52:53], s[0:1], 3
	s_add_nc_u64 s[54:55], s[0:1], 1
	s_wait_alu 0xfffe
	s_add_nc_u64 s[50:51], s[46:47], s[52:53]
	s_add_nc_u64 s[52:53], s[20:21], s[52:53]
	s_branch .LBB55_21
.LBB55_20:                              ;   in Loop: Header=BB55_21 Depth=2
	s_wait_alu 0xfffe
	s_or_b32 exec_lo, exec_lo, s0
	v_mul_lo_u32 v3, v13, s56
	v_mul_lo_u32 v24, v12, s57
	v_mad_co_u64_u32 v[20:21], null, v12, s56, 0
	s_load_b64 s[0:1], s[52:53], 0xc8
	s_load_b64 s[56:57], s[50:51], 0x0
	v_mul_lo_u32 v25, v15, s62
	v_mul_lo_u32 v26, v14, s63
	v_mad_co_u64_u32 v[22:23], null, v14, s62, 0
	v_add3_u32 v3, v21, v24, v3
	v_sub_co_u32 v10, vcc_lo, v10, v20
	s_add_nc_u64 s[54:55], s[54:55], -2
	s_add_nc_u64 s[50:51], s[50:51], -16
	s_wait_alu 0xfffd
	v_sub_co_ci_u32_e64 v3, null, v11, v3, vcc_lo
	v_mul_lo_u32 v11, s61, v10
	v_mad_co_u64_u32 v[8:9], null, s60, v10, v[8:9]
	s_delay_alu instid0(VALU_DEP_3)
	v_mul_lo_u32 v20, s60, v3
	v_mul_lo_u32 v21, s59, v10
	v_mad_co_u64_u32 v[6:7], null, s58, v10, v[6:7]
	v_mul_lo_u32 v3, s58, v3
	v_add3_u32 v10, v23, v26, v25
	s_wait_alu 0xfffe
	s_cmp_eq_u64 s[54:55], 0
	s_add_nc_u64 s[52:53], s[52:53], -16
	v_add3_u32 v9, v11, v9, v20
	v_sub_co_u32 v11, vcc_lo, v12, v22
	s_wait_alu 0xfffd
	v_sub_co_ci_u32_e64 v10, null, v13, v10, vcc_lo
	v_add3_u32 v7, v21, v7, v3
	s_wait_kmcnt 0x0
	v_mad_co_u64_u32 v[8:9], null, s0, v11, v[8:9]
	s_delay_alu instid0(VALU_DEP_3) | instskip(SKIP_4) | instid1(VALU_DEP_4)
	v_mul_lo_u32 v3, s0, v10
	v_mul_lo_u32 v12, s1, v11
	;; [unrolled: 1-line block ×4, first 2 shown]
	v_mad_co_u64_u32 v[6:7], null, s56, v11, v[6:7]
	v_add3_u32 v9, v12, v9, v3
	s_delay_alu instid0(VALU_DEP_2)
	v_add3_u32 v7, v13, v7, v10
	v_dual_mov_b32 v10, v14 :: v_dual_mov_b32 v11, v15
	s_cbranch_scc1 .LBB55_29
.LBB55_21:                              ;   Parent Loop BB55_3 Depth=1
                                        ; =>  This Inner Loop Header: Depth=2
	s_load_b64 s[56:57], s[52:53], 0x8
                                        ; implicit-def: $vgpr12_vgpr13
	s_mov_b32 s0, exec_lo
	s_wait_kmcnt 0x0
	v_or_b32_e32 v3, s57, v11
	s_delay_alu instid0(VALU_DEP_1)
	v_cmpx_ne_u64_e32 0, v[2:3]
	s_wait_alu 0xfffe
	s_xor_b32 s1, exec_lo, s0
	s_cbranch_execz .LBB55_23
; %bb.22:                               ;   in Loop: Header=BB55_21 Depth=2
	s_ashr_i32 s58, s57, 31
	v_ashrrev_i32_e32 v3, 31, v11
	s_wait_alu 0xfffe
	s_mov_b32 s59, s58
	s_wait_alu 0xfffe
	s_add_nc_u64 s[60:61], s[56:57], s[58:59]
	v_add_co_u32 v12, vcc_lo, v10, v3
	s_wait_alu 0xfffe
	s_xor_b64 s[60:61], s[60:61], s[58:59]
	s_wait_alu 0xfffd
	v_add_co_ci_u32_e64 v13, null, v11, v3, vcc_lo
	s_wait_alu 0xfffe
	s_cvt_f32_u32 s0, s60
	s_cvt_f32_u32 s26, s61
	s_sub_nc_u64 s[64:65], 0, s[60:61]
	v_xor_b32_e32 v22, v12, v3
	v_xor_b32_e32 v23, v13, v3
	s_wait_alu 0xfffe
	s_fmamk_f32 s0, s26, 0x4f800000, s0
	v_xor_b32_e32 v3, s58, v3
	s_wait_alu 0xfffe
	s_delay_alu instid0(SALU_CYCLE_1) | instskip(NEXT) | instid1(TRANS32_DEP_1)
	v_s_rcp_f32 s0, s0
	s_mul_f32 s0, s0, 0x5f7ffffc
	s_wait_alu 0xfffe
	s_delay_alu instid0(SALU_CYCLE_2) | instskip(SKIP_1) | instid1(SALU_CYCLE_2)
	s_mul_f32 s26, s0, 0x2f800000
	s_wait_alu 0xfffe
	s_trunc_f32 s26, s26
	s_wait_alu 0xfffe
	s_delay_alu instid0(SALU_CYCLE_2) | instskip(SKIP_2) | instid1(SALU_CYCLE_1)
	s_fmamk_f32 s0, s26, 0xcf800000, s0
	s_cvt_u32_f32 s63, s26
	s_wait_alu 0xfffe
	s_cvt_u32_f32 s62, s0
	s_wait_alu 0xfffe
	s_delay_alu instid0(SALU_CYCLE_2)
	s_mul_u64 s[66:67], s[64:65], s[62:63]
	s_wait_alu 0xfffe
	s_mul_hi_u32 s73, s62, s67
	s_mul_i32 s72, s62, s67
	s_mul_hi_u32 s26, s62, s66
	s_mul_i32 s49, s63, s66
	s_wait_alu 0xfffe
	s_add_nc_u64 s[72:73], s[26:27], s[72:73]
	s_mul_hi_u32 s0, s63, s66
	s_mul_hi_u32 s59, s63, s67
	s_add_co_u32 s26, s72, s49
	s_wait_alu 0xfffe
	s_add_co_ci_u32 s26, s73, s0
	s_mul_i32 s66, s63, s67
	s_add_co_ci_u32 s67, s59, 0
	s_wait_alu 0xfffe
	s_add_nc_u64 s[66:67], s[26:27], s[66:67]
	s_wait_alu 0xfffe
	s_add_co_u32 s62, s62, s66
	s_cselect_b32 s0, -1, 0
	s_wait_alu 0xfffe
	s_cmp_lg_u32 s0, 0
	s_add_co_ci_u32 s63, s63, s67
	s_wait_alu 0xfffe
	s_mul_u64 s[64:65], s[64:65], s[62:63]
	s_wait_alu 0xfffe
	s_mul_hi_u32 s67, s62, s65
	s_mul_i32 s66, s62, s65
	s_mul_hi_u32 s26, s62, s64
	s_mul_i32 s49, s63, s64
	s_wait_alu 0xfffe
	s_add_nc_u64 s[66:67], s[26:27], s[66:67]
	s_mul_hi_u32 s0, s63, s64
	s_mul_hi_u32 s59, s63, s65
	s_wait_alu 0xfffe
	s_add_co_u32 s26, s66, s49
	s_add_co_ci_u32 s26, s67, s0
	s_mul_i32 s64, s63, s65
	s_add_co_ci_u32 s65, s59, 0
	s_wait_alu 0xfffe
	s_add_nc_u64 s[64:65], s[26:27], s[64:65]
	s_wait_alu 0xfffe
	s_add_co_u32 s0, s62, s64
	s_cselect_b32 s26, -1, 0
	s_wait_alu 0xfffe
	v_mul_hi_u32 v24, v22, s0
	s_cmp_lg_u32 s26, 0
	v_mad_co_u64_u32 v[14:15], null, v23, s0, 0
	s_add_co_ci_u32 s26, s63, s65
	s_wait_alu 0xfffe
	v_mad_co_u64_u32 v[12:13], null, v22, s26, 0
	v_mad_co_u64_u32 v[20:21], null, v23, s26, 0
	s_delay_alu instid0(VALU_DEP_2) | instskip(SKIP_1) | instid1(VALU_DEP_3)
	v_add_co_u32 v12, vcc_lo, v24, v12
	s_wait_alu 0xfffd
	v_add_co_ci_u32_e64 v13, null, 0, v13, vcc_lo
	s_delay_alu instid0(VALU_DEP_2) | instskip(SKIP_1) | instid1(VALU_DEP_2)
	v_add_co_u32 v12, vcc_lo, v12, v14
	s_wait_alu 0xfffd
	v_add_co_ci_u32_e32 v12, vcc_lo, v13, v15, vcc_lo
	s_wait_alu 0xfffd
	v_add_co_ci_u32_e32 v13, vcc_lo, 0, v21, vcc_lo
	s_delay_alu instid0(VALU_DEP_2) | instskip(SKIP_1) | instid1(VALU_DEP_2)
	v_add_co_u32 v14, vcc_lo, v12, v20
	s_wait_alu 0xfffd
	v_add_co_ci_u32_e64 v15, null, 0, v13, vcc_lo
	s_delay_alu instid0(VALU_DEP_2) | instskip(SKIP_1) | instid1(VALU_DEP_3)
	v_mul_lo_u32 v20, s61, v14
	v_mad_co_u64_u32 v[12:13], null, s60, v14, 0
	v_mul_lo_u32 v21, s60, v15
	s_delay_alu instid0(VALU_DEP_2) | instskip(NEXT) | instid1(VALU_DEP_2)
	v_sub_co_u32 v12, vcc_lo, v22, v12
	v_add3_u32 v13, v13, v21, v20
	v_add_co_u32 v21, s0, v14, 2
	s_wait_alu 0xf1ff
	v_add_co_ci_u32_e64 v22, null, 0, v15, s0
	s_delay_alu instid0(VALU_DEP_3) | instskip(SKIP_3) | instid1(VALU_DEP_3)
	v_sub_nc_u32_e32 v20, v23, v13
	v_sub_co_u32 v24, s0, v12, s60
	s_wait_alu 0xfffd
	v_sub_co_ci_u32_e64 v13, null, v23, v13, vcc_lo
	v_subrev_co_ci_u32_e64 v20, null, s61, v20, vcc_lo
	s_delay_alu instid0(VALU_DEP_3) | instskip(SKIP_1) | instid1(VALU_DEP_2)
	v_cmp_le_u32_e32 vcc_lo, s60, v24
	s_wait_alu 0xf1ff
	v_subrev_co_ci_u32_e64 v20, null, 0, v20, s0
	s_wait_alu 0xfffd
	v_cndmask_b32_e64 v23, 0, -1, vcc_lo
	s_delay_alu instid0(VALU_DEP_2)
	v_cmp_le_u32_e32 vcc_lo, s61, v20
	s_wait_alu 0xfffd
	v_cndmask_b32_e64 v24, 0, -1, vcc_lo
	v_cmp_le_u32_e32 vcc_lo, s60, v12
	s_wait_alu 0xfffd
	v_cndmask_b32_e64 v12, 0, -1, vcc_lo
	;; [unrolled: 3-line block ×3, first 2 shown]
	v_cmp_eq_u32_e32 vcc_lo, s61, v20
	s_wait_alu 0xfffd
	v_cndmask_b32_e32 v20, v24, v23, vcc_lo
	v_add_co_u32 v23, vcc_lo, v14, 1
	s_wait_alu 0xfffd
	v_add_co_ci_u32_e64 v24, null, 0, v15, vcc_lo
	v_cmp_eq_u32_e32 vcc_lo, s61, v13
	s_wait_alu 0xfffd
	v_cndmask_b32_e32 v12, v25, v12, vcc_lo
	v_cmp_ne_u32_e32 vcc_lo, 0, v20
	s_wait_alu 0xfffd
	v_cndmask_b32_e32 v13, v24, v22, vcc_lo
	s_delay_alu instid0(VALU_DEP_3) | instskip(SKIP_2) | instid1(VALU_DEP_2)
	v_cmp_ne_u32_e64 s0, 0, v12
	v_cndmask_b32_e32 v12, v23, v21, vcc_lo
	s_wait_alu 0xf1ff
	v_cndmask_b32_e64 v13, v15, v13, s0
	s_delay_alu instid0(VALU_DEP_2) | instskip(NEXT) | instid1(VALU_DEP_2)
	v_cndmask_b32_e64 v12, v14, v12, s0
	v_xor_b32_e32 v13, v13, v3
	s_delay_alu instid0(VALU_DEP_2) | instskip(NEXT) | instid1(VALU_DEP_1)
	v_xor_b32_e32 v12, v12, v3
	v_sub_co_u32 v12, vcc_lo, v12, v3
	s_wait_alu 0xfffd
	s_delay_alu instid0(VALU_DEP_3)
	v_sub_co_ci_u32_e64 v13, null, v13, v3, vcc_lo
.LBB55_23:                              ;   in Loop: Header=BB55_21 Depth=2
	s_wait_alu 0xfffe
	s_and_not1_saveexec_b32 s0, s1
	s_cbranch_execz .LBB55_25
; %bb.24:                               ;   in Loop: Header=BB55_21 Depth=2
	v_cvt_f32_u32_e32 v3, s56
	s_sub_co_i32 s1, 0, s56
	s_delay_alu instid0(VALU_DEP_1) | instskip(NEXT) | instid1(TRANS32_DEP_1)
	v_rcp_iflag_f32_e32 v3, v3
	v_mul_f32_e32 v3, 0x4f7ffffe, v3
	s_delay_alu instid0(VALU_DEP_1) | instskip(SKIP_1) | instid1(VALU_DEP_1)
	v_cvt_u32_f32_e32 v3, v3
	s_wait_alu 0xfffe
	v_mul_lo_u32 v12, s1, v3
	s_delay_alu instid0(VALU_DEP_1) | instskip(NEXT) | instid1(VALU_DEP_1)
	v_mul_hi_u32 v12, v3, v12
	v_add_nc_u32_e32 v3, v3, v12
	s_delay_alu instid0(VALU_DEP_1) | instskip(NEXT) | instid1(VALU_DEP_1)
	v_mul_hi_u32 v3, v10, v3
	v_mul_lo_u32 v12, v3, s56
	v_add_nc_u32_e32 v13, 1, v3
	s_delay_alu instid0(VALU_DEP_2) | instskip(NEXT) | instid1(VALU_DEP_1)
	v_sub_nc_u32_e32 v12, v10, v12
	v_subrev_nc_u32_e32 v14, s56, v12
	v_cmp_le_u32_e32 vcc_lo, s56, v12
	s_wait_alu 0xfffd
	s_delay_alu instid0(VALU_DEP_2) | instskip(NEXT) | instid1(VALU_DEP_1)
	v_dual_cndmask_b32 v12, v12, v14 :: v_dual_cndmask_b32 v3, v3, v13
	v_cmp_le_u32_e32 vcc_lo, s56, v12
	s_delay_alu instid0(VALU_DEP_2) | instskip(SKIP_1) | instid1(VALU_DEP_1)
	v_add_nc_u32_e32 v13, 1, v3
	s_wait_alu 0xfffd
	v_dual_cndmask_b32 v12, v3, v13 :: v_dual_mov_b32 v13, v2
.LBB55_25:                              ;   in Loop: Header=BB55_21 Depth=2
	s_wait_alu 0xfffe
	s_or_b32 exec_lo, exec_lo, s0
	s_clause 0x1
	s_load_b64 s[62:63], s[52:53], 0x0
	s_load_b64 s[60:61], s[52:53], 0xd0
	;; [unrolled: 1-line block ×3, first 2 shown]
                                        ; implicit-def: $vgpr14_vgpr15
	s_mov_b32 s0, exec_lo
	s_wait_kmcnt 0x0
	v_or_b32_e32 v3, s63, v13
	s_delay_alu instid0(VALU_DEP_1)
	v_cmpx_ne_u64_e32 0, v[2:3]
	s_wait_alu 0xfffe
	s_xor_b32 s1, exec_lo, s0
	s_cbranch_execz .LBB55_27
; %bb.26:                               ;   in Loop: Header=BB55_21 Depth=2
	s_ashr_i32 s64, s63, 31
	v_ashrrev_i32_e32 v3, 31, v13
	s_wait_alu 0xfffe
	s_mov_b32 s65, s64
	s_wait_alu 0xfffe
	s_add_nc_u64 s[66:67], s[62:63], s[64:65]
	v_add_co_u32 v14, vcc_lo, v12, v3
	s_wait_alu 0xfffe
	s_xor_b64 s[66:67], s[66:67], s[64:65]
	s_wait_alu 0xfffd
	v_add_co_ci_u32_e64 v15, null, v13, v3, vcc_lo
	s_wait_alu 0xfffe
	s_cvt_f32_u32 s0, s66
	s_cvt_f32_u32 s26, s67
	s_sub_nc_u64 s[74:75], 0, s[66:67]
	v_xor_b32_e32 v24, v14, v3
	v_xor_b32_e32 v25, v15, v3
	s_wait_alu 0xfffe
	s_fmamk_f32 s0, s26, 0x4f800000, s0
	v_xor_b32_e32 v3, s64, v3
	s_wait_alu 0xfffe
	s_delay_alu instid0(SALU_CYCLE_1) | instskip(NEXT) | instid1(TRANS32_DEP_1)
	v_s_rcp_f32 s0, s0
	s_mul_f32 s0, s0, 0x5f7ffffc
	s_wait_alu 0xfffe
	s_delay_alu instid0(SALU_CYCLE_2) | instskip(SKIP_1) | instid1(SALU_CYCLE_2)
	s_mul_f32 s26, s0, 0x2f800000
	s_wait_alu 0xfffe
	s_trunc_f32 s26, s26
	s_wait_alu 0xfffe
	s_delay_alu instid0(SALU_CYCLE_2) | instskip(SKIP_2) | instid1(SALU_CYCLE_1)
	s_fmamk_f32 s0, s26, 0xcf800000, s0
	s_cvt_u32_f32 s73, s26
	s_wait_alu 0xfffe
	s_cvt_u32_f32 s72, s0
	s_delay_alu instid0(SALU_CYCLE_3) | instskip(NEXT) | instid1(SALU_CYCLE_1)
	s_mul_u64 s[76:77], s[74:75], s[72:73]
	s_mul_hi_u32 s79, s72, s77
	s_mul_i32 s78, s72, s77
	s_mul_hi_u32 s26, s72, s76
	s_mul_i32 s49, s73, s76
	s_wait_alu 0xfffe
	s_add_nc_u64 s[78:79], s[26:27], s[78:79]
	s_mul_hi_u32 s0, s73, s76
	s_mul_hi_u32 s65, s73, s77
	s_add_co_u32 s26, s78, s49
	s_wait_alu 0xfffe
	s_add_co_ci_u32 s26, s79, s0
	s_mul_i32 s76, s73, s77
	s_add_co_ci_u32 s77, s65, 0
	s_wait_alu 0xfffe
	s_add_nc_u64 s[76:77], s[26:27], s[76:77]
	s_delay_alu instid0(SALU_CYCLE_1) | instskip(SKIP_4) | instid1(SALU_CYCLE_1)
	s_add_co_u32 s72, s72, s76
	s_cselect_b32 s0, -1, 0
	s_wait_alu 0xfffe
	s_cmp_lg_u32 s0, 0
	s_add_co_ci_u32 s73, s73, s77
	s_mul_u64 s[74:75], s[74:75], s[72:73]
	s_delay_alu instid0(SALU_CYCLE_1)
	s_mul_hi_u32 s77, s72, s75
	s_mul_i32 s76, s72, s75
	s_mul_hi_u32 s26, s72, s74
	s_mul_i32 s49, s73, s74
	s_wait_alu 0xfffe
	s_add_nc_u64 s[76:77], s[26:27], s[76:77]
	s_mul_hi_u32 s0, s73, s74
	s_mul_hi_u32 s65, s73, s75
	s_add_co_u32 s26, s76, s49
	s_wait_alu 0xfffe
	s_add_co_ci_u32 s26, s77, s0
	s_mul_i32 s74, s73, s75
	s_add_co_ci_u32 s75, s65, 0
	s_wait_alu 0xfffe
	s_add_nc_u64 s[74:75], s[26:27], s[74:75]
	s_delay_alu instid0(SALU_CYCLE_1)
	s_add_co_u32 s0, s72, s74
	s_cselect_b32 s26, -1, 0
	s_wait_alu 0xfffe
	v_mul_hi_u32 v26, v24, s0
	s_cmp_lg_u32 s26, 0
	v_mad_co_u64_u32 v[20:21], null, v25, s0, 0
	s_add_co_ci_u32 s26, s73, s75
	s_wait_alu 0xfffe
	v_mad_co_u64_u32 v[14:15], null, v24, s26, 0
	v_mad_co_u64_u32 v[22:23], null, v25, s26, 0
	s_delay_alu instid0(VALU_DEP_2) | instskip(SKIP_1) | instid1(VALU_DEP_3)
	v_add_co_u32 v14, vcc_lo, v26, v14
	s_wait_alu 0xfffd
	v_add_co_ci_u32_e64 v15, null, 0, v15, vcc_lo
	s_delay_alu instid0(VALU_DEP_2) | instskip(SKIP_1) | instid1(VALU_DEP_2)
	v_add_co_u32 v14, vcc_lo, v14, v20
	s_wait_alu 0xfffd
	v_add_co_ci_u32_e32 v14, vcc_lo, v15, v21, vcc_lo
	s_wait_alu 0xfffd
	v_add_co_ci_u32_e32 v15, vcc_lo, 0, v23, vcc_lo
	s_delay_alu instid0(VALU_DEP_2) | instskip(SKIP_1) | instid1(VALU_DEP_2)
	v_add_co_u32 v20, vcc_lo, v14, v22
	s_wait_alu 0xfffd
	v_add_co_ci_u32_e64 v21, null, 0, v15, vcc_lo
	s_delay_alu instid0(VALU_DEP_2) | instskip(SKIP_1) | instid1(VALU_DEP_3)
	v_mul_lo_u32 v22, s67, v20
	v_mad_co_u64_u32 v[14:15], null, s66, v20, 0
	v_mul_lo_u32 v23, s66, v21
	s_delay_alu instid0(VALU_DEP_2) | instskip(NEXT) | instid1(VALU_DEP_2)
	v_sub_co_u32 v14, vcc_lo, v24, v14
	v_add3_u32 v15, v15, v23, v22
	v_add_co_u32 v23, s0, v20, 2
	s_wait_alu 0xf1ff
	v_add_co_ci_u32_e64 v24, null, 0, v21, s0
	s_delay_alu instid0(VALU_DEP_3) | instskip(SKIP_3) | instid1(VALU_DEP_3)
	v_sub_nc_u32_e32 v22, v25, v15
	v_sub_co_u32 v26, s0, v14, s66
	s_wait_alu 0xfffd
	v_sub_co_ci_u32_e64 v15, null, v25, v15, vcc_lo
	v_subrev_co_ci_u32_e64 v22, null, s67, v22, vcc_lo
	s_delay_alu instid0(VALU_DEP_3) | instskip(SKIP_1) | instid1(VALU_DEP_2)
	v_cmp_le_u32_e32 vcc_lo, s66, v26
	s_wait_alu 0xf1ff
	v_subrev_co_ci_u32_e64 v22, null, 0, v22, s0
	s_wait_alu 0xfffd
	v_cndmask_b32_e64 v25, 0, -1, vcc_lo
	s_delay_alu instid0(VALU_DEP_2)
	v_cmp_le_u32_e32 vcc_lo, s67, v22
	s_wait_alu 0xfffd
	v_cndmask_b32_e64 v26, 0, -1, vcc_lo
	v_cmp_le_u32_e32 vcc_lo, s66, v14
	s_wait_alu 0xfffd
	v_cndmask_b32_e64 v14, 0, -1, vcc_lo
	;; [unrolled: 3-line block ×3, first 2 shown]
	v_cmp_eq_u32_e32 vcc_lo, s67, v22
	s_wait_alu 0xfffd
	v_cndmask_b32_e32 v22, v26, v25, vcc_lo
	v_add_co_u32 v25, vcc_lo, v20, 1
	s_wait_alu 0xfffd
	v_add_co_ci_u32_e64 v26, null, 0, v21, vcc_lo
	v_cmp_eq_u32_e32 vcc_lo, s67, v15
	s_wait_alu 0xfffd
	v_cndmask_b32_e32 v14, v27, v14, vcc_lo
	v_cmp_ne_u32_e32 vcc_lo, 0, v22
	s_wait_alu 0xfffd
	v_cndmask_b32_e32 v15, v26, v24, vcc_lo
	s_delay_alu instid0(VALU_DEP_3) | instskip(SKIP_2) | instid1(VALU_DEP_2)
	v_cmp_ne_u32_e64 s0, 0, v14
	v_cndmask_b32_e32 v14, v25, v23, vcc_lo
	s_wait_alu 0xf1ff
	v_cndmask_b32_e64 v15, v21, v15, s0
	s_delay_alu instid0(VALU_DEP_2) | instskip(NEXT) | instid1(VALU_DEP_2)
	v_cndmask_b32_e64 v14, v20, v14, s0
	v_xor_b32_e32 v15, v15, v3
	s_delay_alu instid0(VALU_DEP_2) | instskip(NEXT) | instid1(VALU_DEP_1)
	v_xor_b32_e32 v14, v14, v3
	v_sub_co_u32 v14, vcc_lo, v14, v3
	s_wait_alu 0xfffd
	s_delay_alu instid0(VALU_DEP_3)
	v_sub_co_ci_u32_e64 v15, null, v15, v3, vcc_lo
.LBB55_27:                              ;   in Loop: Header=BB55_21 Depth=2
	s_wait_alu 0xfffe
	s_and_not1_saveexec_b32 s0, s1
	s_cbranch_execz .LBB55_20
; %bb.28:                               ;   in Loop: Header=BB55_21 Depth=2
	v_cvt_f32_u32_e32 v3, s62
	s_sub_co_i32 s1, 0, s62
	s_delay_alu instid0(VALU_DEP_1) | instskip(NEXT) | instid1(TRANS32_DEP_1)
	v_rcp_iflag_f32_e32 v3, v3
	v_mul_f32_e32 v3, 0x4f7ffffe, v3
	s_delay_alu instid0(VALU_DEP_1) | instskip(SKIP_1) | instid1(VALU_DEP_1)
	v_cvt_u32_f32_e32 v3, v3
	s_wait_alu 0xfffe
	v_mul_lo_u32 v14, s1, v3
	s_delay_alu instid0(VALU_DEP_1) | instskip(NEXT) | instid1(VALU_DEP_1)
	v_mul_hi_u32 v14, v3, v14
	v_add_nc_u32_e32 v3, v3, v14
	s_delay_alu instid0(VALU_DEP_1) | instskip(NEXT) | instid1(VALU_DEP_1)
	v_mul_hi_u32 v3, v12, v3
	v_mul_lo_u32 v14, v3, s62
	v_add_nc_u32_e32 v15, 1, v3
	s_delay_alu instid0(VALU_DEP_2) | instskip(NEXT) | instid1(VALU_DEP_1)
	v_sub_nc_u32_e32 v14, v12, v14
	v_subrev_nc_u32_e32 v20, s62, v14
	v_cmp_le_u32_e32 vcc_lo, s62, v14
	s_wait_alu 0xfffd
	s_delay_alu instid0(VALU_DEP_2) | instskip(NEXT) | instid1(VALU_DEP_1)
	v_dual_cndmask_b32 v14, v14, v20 :: v_dual_cndmask_b32 v3, v3, v15
	v_cmp_le_u32_e32 vcc_lo, s62, v14
	s_delay_alu instid0(VALU_DEP_2) | instskip(SKIP_1) | instid1(VALU_DEP_1)
	v_add_nc_u32_e32 v15, 1, v3
	s_wait_alu 0xfffd
	v_dual_cndmask_b32 v14, v3, v15 :: v_dual_mov_b32 v15, v2
	s_branch .LBB55_20
.LBB55_29:                              ;   in Loop: Header=BB55_3 Depth=1
	v_sub_co_u32 v10, vcc_lo, v4, v18
	s_wait_alu 0xfffd
	v_sub_co_ci_u32_e64 v11, null, v5, v19, vcc_lo
	s_delay_alu instid0(VALU_DEP_2) | instskip(SKIP_1) | instid1(VALU_DEP_2)
	v_add_co_u32 v12, vcc_lo, v10, 4
	s_wait_alu 0xfffd
	v_add_co_ci_u32_e64 v13, null, 0, v11, vcc_lo
	s_delay_alu instid0(VALU_DEP_1)
	v_cmp_le_i64_e32 vcc_lo, s[4:5], v[12:13]
	v_mov_b32_e32 v12, 0
	s_and_saveexec_b32 s0, vcc_lo
	s_cbranch_execz .LBB55_39
; %bb.30:                               ;   in Loop: Header=BB55_3 Depth=1
	v_dual_mov_b32 v3, 0 :: v_dual_mov_b32 v12, 0
	v_dual_mov_b32 v13, 0 :: v_dual_mov_b32 v14, 0
	s_mov_b32 s1, exec_lo
	v_cmpx_gt_i64_e64 s[10:11], v[4:5]
	s_cbranch_execz .LBB55_38
; %bb.31:                               ;   in Loop: Header=BB55_3 Depth=1
	v_add_co_u32 v8, vcc_lo, s2, v8
	s_wait_alu 0xfffd
	v_add_co_ci_u32_e64 v9, null, s3, v9, vcc_lo
	v_add_co_u32 v13, vcc_lo, v4, 1
	s_wait_alu 0xfffd
	v_add_co_ci_u32_e64 v14, null, 0, v5, vcc_lo
	global_load_u8 v3, v[8:9], off
	v_mov_b32_e32 v12, 0
	v_cmp_gt_i64_e32 vcc_lo, s[10:11], v[13:14]
	v_dual_mov_b32 v13, 0 :: v_dual_mov_b32 v14, 0
	s_and_saveexec_b32 s26, vcc_lo
	s_wait_alu 0xfffe
	s_xor_b32 s26, exec_lo, s26
	s_cbranch_execz .LBB55_37
; %bb.32:                               ;   in Loop: Header=BB55_3 Depth=1
	v_add_co_u32 v8, vcc_lo, v8, s14
	s_wait_alu 0xfffd
	v_add_co_ci_u32_e64 v9, null, s15, v9, vcc_lo
	v_add_co_u32 v14, vcc_lo, v4, 2
	s_wait_alu 0xfffd
	v_add_co_ci_u32_e64 v15, null, 0, v5, vcc_lo
	global_load_u8 v12, v[8:9], off
	v_mov_b32_e32 v13, 0
	v_cmp_gt_i64_e32 vcc_lo, s[10:11], v[14:15]
	v_mov_b32_e32 v14, 0
	s_and_saveexec_b32 s49, vcc_lo
	s_wait_alu 0xfffe
	s_xor_b32 s49, exec_lo, s49
	s_cbranch_execz .LBB55_36
; %bb.33:                               ;   in Loop: Header=BB55_3 Depth=1
	v_add_co_u32 v8, vcc_lo, v8, s14
	s_wait_alu 0xfffd
	v_add_co_ci_u32_e64 v9, null, s15, v9, vcc_lo
	v_add_co_u32 v14, vcc_lo, v4, 3
	s_wait_alu 0xfffd
	v_add_co_ci_u32_e64 v15, null, 0, v5, vcc_lo
	global_load_u8 v13, v[8:9], off
	v_cmp_gt_i64_e32 vcc_lo, s[10:11], v[14:15]
	v_mov_b32_e32 v14, 0
	s_and_saveexec_b32 s50, vcc_lo
	s_wait_alu 0xfffe
	s_xor_b32 s50, exec_lo, s50
	s_cbranch_execz .LBB55_35
; %bb.34:                               ;   in Loop: Header=BB55_3 Depth=1
	v_add_co_u32 v8, vcc_lo, v8, s14
	s_wait_alu 0xfffd
	v_add_co_ci_u32_e64 v9, null, s15, v9, vcc_lo
	global_load_u8 v14, v[8:9], off
.LBB55_35:                              ;   in Loop: Header=BB55_3 Depth=1
	s_wait_alu 0xfffe
	s_or_b32 exec_lo, exec_lo, s50
.LBB55_36:                              ;   in Loop: Header=BB55_3 Depth=1
	s_wait_alu 0xfffe
	s_or_b32 exec_lo, exec_lo, s49
.LBB55_37:                              ;   in Loop: Header=BB55_3 Depth=1
	s_wait_alu 0xfffe
	s_or_b32 exec_lo, exec_lo, s26
.LBB55_38:                              ;   in Loop: Header=BB55_3 Depth=1
	s_wait_alu 0xfffe
	s_or_b32 exec_lo, exec_lo, s1
	v_add_co_u32 v8, vcc_lo, v10, 1
	s_wait_alu 0xfffd
	v_add_co_ci_u32_e64 v9, null, 0, v11, vcc_lo
	v_add_co_u32 v18, vcc_lo, v10, 2
	s_wait_alu 0xfffd
	v_add_co_ci_u32_e64 v19, null, 0, v11, vcc_lo
	;; [unrolled: 3-line block ×3, first 2 shown]
	v_cmp_le_i64_e32 vcc_lo, s[30:31], v[8:9]
	s_wait_loadcnt 0x0
	s_wait_alu 0xfffd
	v_cndmask_b32_e32 v8, 0, v12, vcc_lo
	v_cmp_le_i64_e32 vcc_lo, s[28:29], v[10:11]
	s_wait_alu 0xfffd
	v_cndmask_b32_e32 v3, 0, v3, vcc_lo
	v_cmp_le_i64_e32 vcc_lo, s[36:37], v[20:21]
	v_lshlrev_b16 v8, 8, v8
	s_delay_alu instid0(VALU_DEP_3) | instskip(SKIP_3) | instid1(VALU_DEP_3)
	v_and_b32_e32 v3, 0xff, v3
	s_wait_alu 0xfffd
	v_cndmask_b32_e32 v9, 0, v14, vcc_lo
	v_cmp_le_i64_e32 vcc_lo, s[34:35], v[18:19]
	v_or_b32_e32 v3, v3, v8
	s_wait_alu 0xfffd
	v_cndmask_b32_e32 v10, 0, v13, vcc_lo
	v_lshlrev_b16 v9, 8, v9
	s_delay_alu instid0(VALU_DEP_3) | instskip(NEXT) | instid1(VALU_DEP_3)
	v_and_b32_e32 v3, 0xffff, v3
	v_and_b32_e32 v10, 0xff, v10
	s_delay_alu instid0(VALU_DEP_1) | instskip(NEXT) | instid1(VALU_DEP_1)
	v_or_b32_e32 v8, v10, v9
	v_lshlrev_b32_e32 v8, 16, v8
	s_delay_alu instid0(VALU_DEP_1)
	v_or_b32_e32 v12, v3, v8
.LBB55_39:                              ;   in Loop: Header=BB55_3 Depth=1
	s_wait_alu 0xfffe
	s_or_b32 exec_lo, exec_lo, s0
	s_delay_alu instid0(SALU_CYCLE_1)
	s_mov_b32 s0, exec_lo
	v_cmpx_gt_i64_e64 s[10:11], v[4:5]
	s_cbranch_execz .LBB55_2
; %bb.40:                               ;   in Loop: Header=BB55_3 Depth=1
	v_add_co_u32 v8, vcc_lo, v4, 1
	s_wait_alu 0xfffd
	v_add_co_ci_u32_e64 v9, null, 0, v5, vcc_lo
	v_add_co_u32 v6, vcc_lo, s24, v6
	s_wait_alu 0xfffd
	v_add_co_ci_u32_e64 v7, null, s25, v7, vcc_lo
	s_mov_b32 s1, exec_lo
	global_store_b8 v[6:7], v12, off
	v_cmpx_gt_i64_e64 s[10:11], v[8:9]
	s_wait_alu 0xfffe
	s_xor_b32 s1, exec_lo, s1
	s_cbranch_execz .LBB55_2
; %bb.41:                               ;   in Loop: Header=BB55_3 Depth=1
	v_add_co_u32 v8, vcc_lo, v4, 2
	s_wait_alu 0xfffd
	v_add_co_ci_u32_e64 v9, null, 0, v5, vcc_lo
	v_add_co_u32 v6, vcc_lo, v6, s18
	v_lshrrev_b32_e32 v3, 8, v12
	s_wait_alu 0xfffd
	v_add_co_ci_u32_e64 v7, null, s19, v7, vcc_lo
	s_mov_b32 s1, exec_lo
	global_store_b8 v[6:7], v3, off
	v_cmpx_gt_i64_e64 s[10:11], v[8:9]
	s_wait_alu 0xfffe
	s_xor_b32 s1, exec_lo, s1
	s_cbranch_execz .LBB55_2
; %bb.42:                               ;   in Loop: Header=BB55_3 Depth=1
	v_add_co_u32 v8, vcc_lo, v4, 3
	s_wait_alu 0xfffd
	v_add_co_ci_u32_e64 v9, null, 0, v5, vcc_lo
	v_add_co_u32 v3, vcc_lo, v6, s18
	s_wait_alu 0xfffd
	v_add_co_ci_u32_e64 v4, null, s19, v7, vcc_lo
	s_mov_b32 s1, exec_lo
	global_store_d16_hi_b8 v[3:4], v12, off
	v_cmpx_gt_i64_e64 s[10:11], v[8:9]
	s_wait_alu 0xfffe
	s_xor_b32 s1, exec_lo, s1
	s_cbranch_execz .LBB55_2
; %bb.43:                               ;   in Loop: Header=BB55_3 Depth=1
	v_add_co_u32 v3, vcc_lo, v3, s18
	v_lshrrev_b32_e32 v5, 24, v12
	s_wait_alu 0xfffd
	v_add_co_ci_u32_e64 v4, null, s19, v4, vcc_lo
	global_store_b8 v[3:4], v5, off
	s_branch .LBB55_2
.LBB55_44:
	s_endpgm
	.section	.rodata,"a",@progbits
	.p2align	6, 0x0
	.amdhsa_kernel _ZN2at6native16triu_tril_kernelIhlLb1ELi4ELb0EEEvNS_4cuda6detail10TensorInfoIT_T0_EENS4_IKS5_S6_EEllS6_
		.amdhsa_group_segment_fixed_size 0
		.amdhsa_private_segment_fixed_size 0
		.amdhsa_kernarg_size 1112
		.amdhsa_user_sgpr_count 2
		.amdhsa_user_sgpr_dispatch_ptr 0
		.amdhsa_user_sgpr_queue_ptr 0
		.amdhsa_user_sgpr_kernarg_segment_ptr 1
		.amdhsa_user_sgpr_dispatch_id 0
		.amdhsa_user_sgpr_private_segment_size 0
		.amdhsa_wavefront_size32 1
		.amdhsa_uses_dynamic_stack 0
		.amdhsa_enable_private_segment 0
		.amdhsa_system_sgpr_workgroup_id_x 1
		.amdhsa_system_sgpr_workgroup_id_y 0
		.amdhsa_system_sgpr_workgroup_id_z 0
		.amdhsa_system_sgpr_workgroup_info 0
		.amdhsa_system_vgpr_workitem_id 0
		.amdhsa_next_free_vgpr 28
		.amdhsa_next_free_sgpr 80
		.amdhsa_reserve_vcc 1
		.amdhsa_float_round_mode_32 0
		.amdhsa_float_round_mode_16_64 0
		.amdhsa_float_denorm_mode_32 3
		.amdhsa_float_denorm_mode_16_64 3
		.amdhsa_fp16_overflow 0
		.amdhsa_workgroup_processor_mode 1
		.amdhsa_memory_ordered 1
		.amdhsa_forward_progress 1
		.amdhsa_inst_pref_size 55
		.amdhsa_round_robin_scheduling 0
		.amdhsa_exception_fp_ieee_invalid_op 0
		.amdhsa_exception_fp_denorm_src 0
		.amdhsa_exception_fp_ieee_div_zero 0
		.amdhsa_exception_fp_ieee_overflow 0
		.amdhsa_exception_fp_ieee_underflow 0
		.amdhsa_exception_fp_ieee_inexact 0
		.amdhsa_exception_int_div_zero 0
	.end_amdhsa_kernel
	.section	.text._ZN2at6native16triu_tril_kernelIhlLb1ELi4ELb0EEEvNS_4cuda6detail10TensorInfoIT_T0_EENS4_IKS5_S6_EEllS6_,"axG",@progbits,_ZN2at6native16triu_tril_kernelIhlLb1ELi4ELb0EEEvNS_4cuda6detail10TensorInfoIT_T0_EENS4_IKS5_S6_EEllS6_,comdat
.Lfunc_end55:
	.size	_ZN2at6native16triu_tril_kernelIhlLb1ELi4ELb0EEEvNS_4cuda6detail10TensorInfoIT_T0_EENS4_IKS5_S6_EEllS6_, .Lfunc_end55-_ZN2at6native16triu_tril_kernelIhlLb1ELi4ELb0EEEvNS_4cuda6detail10TensorInfoIT_T0_EENS4_IKS5_S6_EEllS6_
                                        ; -- End function
	.set _ZN2at6native16triu_tril_kernelIhlLb1ELi4ELb0EEEvNS_4cuda6detail10TensorInfoIT_T0_EENS4_IKS5_S6_EEllS6_.num_vgpr, 28
	.set _ZN2at6native16triu_tril_kernelIhlLb1ELi4ELb0EEEvNS_4cuda6detail10TensorInfoIT_T0_EENS4_IKS5_S6_EEllS6_.num_agpr, 0
	.set _ZN2at6native16triu_tril_kernelIhlLb1ELi4ELb0EEEvNS_4cuda6detail10TensorInfoIT_T0_EENS4_IKS5_S6_EEllS6_.numbered_sgpr, 80
	.set _ZN2at6native16triu_tril_kernelIhlLb1ELi4ELb0EEEvNS_4cuda6detail10TensorInfoIT_T0_EENS4_IKS5_S6_EEllS6_.num_named_barrier, 0
	.set _ZN2at6native16triu_tril_kernelIhlLb1ELi4ELb0EEEvNS_4cuda6detail10TensorInfoIT_T0_EENS4_IKS5_S6_EEllS6_.private_seg_size, 0
	.set _ZN2at6native16triu_tril_kernelIhlLb1ELi4ELb0EEEvNS_4cuda6detail10TensorInfoIT_T0_EENS4_IKS5_S6_EEllS6_.uses_vcc, 1
	.set _ZN2at6native16triu_tril_kernelIhlLb1ELi4ELb0EEEvNS_4cuda6detail10TensorInfoIT_T0_EENS4_IKS5_S6_EEllS6_.uses_flat_scratch, 0
	.set _ZN2at6native16triu_tril_kernelIhlLb1ELi4ELb0EEEvNS_4cuda6detail10TensorInfoIT_T0_EENS4_IKS5_S6_EEllS6_.has_dyn_sized_stack, 0
	.set _ZN2at6native16triu_tril_kernelIhlLb1ELi4ELb0EEEvNS_4cuda6detail10TensorInfoIT_T0_EENS4_IKS5_S6_EEllS6_.has_recursion, 0
	.set _ZN2at6native16triu_tril_kernelIhlLb1ELi4ELb0EEEvNS_4cuda6detail10TensorInfoIT_T0_EENS4_IKS5_S6_EEllS6_.has_indirect_call, 0
	.section	.AMDGPU.csdata,"",@progbits
; Kernel info:
; codeLenInByte = 6980
; TotalNumSgprs: 82
; NumVgprs: 28
; ScratchSize: 0
; MemoryBound: 0
; FloatMode: 240
; IeeeMode: 1
; LDSByteSize: 0 bytes/workgroup (compile time only)
; SGPRBlocks: 0
; VGPRBlocks: 3
; NumSGPRsForWavesPerEU: 82
; NumVGPRsForWavesPerEU: 28
; Occupancy: 16
; WaveLimiterHint : 0
; COMPUTE_PGM_RSRC2:SCRATCH_EN: 0
; COMPUTE_PGM_RSRC2:USER_SGPR: 2
; COMPUTE_PGM_RSRC2:TRAP_HANDLER: 0
; COMPUTE_PGM_RSRC2:TGID_X_EN: 1
; COMPUTE_PGM_RSRC2:TGID_Y_EN: 0
; COMPUTE_PGM_RSRC2:TGID_Z_EN: 0
; COMPUTE_PGM_RSRC2:TIDIG_COMP_CNT: 0
	.section	.text._ZN2at6native16triu_tril_kernelIaiLb1ELi4ELb1EEEvNS_4cuda6detail10TensorInfoIT_T0_EENS4_IKS5_S6_EEllS6_,"axG",@progbits,_ZN2at6native16triu_tril_kernelIaiLb1ELi4ELb1EEEvNS_4cuda6detail10TensorInfoIT_T0_EENS4_IKS5_S6_EEllS6_,comdat
	.protected	_ZN2at6native16triu_tril_kernelIaiLb1ELi4ELb1EEEvNS_4cuda6detail10TensorInfoIT_T0_EENS4_IKS5_S6_EEllS6_ ; -- Begin function _ZN2at6native16triu_tril_kernelIaiLb1ELi4ELb1EEEvNS_4cuda6detail10TensorInfoIT_T0_EENS4_IKS5_S6_EEllS6_
	.globl	_ZN2at6native16triu_tril_kernelIaiLb1ELi4ELb1EEEvNS_4cuda6detail10TensorInfoIT_T0_EENS4_IKS5_S6_EEllS6_
	.p2align	8
	.type	_ZN2at6native16triu_tril_kernelIaiLb1ELi4ELb1EEEvNS_4cuda6detail10TensorInfoIT_T0_EENS4_IKS5_S6_EEllS6_,@function
_ZN2at6native16triu_tril_kernelIaiLb1ELi4ELb1EEEvNS_4cuda6detail10TensorInfoIT_T0_EENS4_IKS5_S6_EEllS6_: ; @_ZN2at6native16triu_tril_kernelIaiLb1ELi4ELb1EEEvNS_4cuda6detail10TensorInfoIT_T0_EENS4_IKS5_S6_EEllS6_
; %bb.0:
	s_clause 0x1
	s_load_b32 s2, s[0:1], 0x1d4
	s_load_b128 s[4:7], s[0:1], 0x1b0
	v_mov_b32_e32 v2, 0
	s_mov_b32 s3, exec_lo
	s_delay_alu instid0(VALU_DEP_1)
	v_mov_b32_e32 v1, v2
	s_wait_kmcnt 0x0
	s_and_b32 s2, s2, 0xffff
	s_delay_alu instid0(VALU_DEP_1) | instid1(SALU_CYCLE_1)
	v_mad_co_u64_u32 v[0:1], null, s2, ttmp9, v[0:1]
	s_delay_alu instid0(VALU_DEP_1) | instskip(NEXT) | instid1(VALU_DEP_1)
	v_lshlrev_b64_e32 v[0:1], 2, v[0:1]
	v_cmpx_gt_i64_e64 s[6:7], v[0:1]
	s_cbranch_execz .LBB56_66
; %bb.1:
	s_clause 0x1
	s_load_b32 s20, s[0:1], 0x1a8
	s_load_b32 s8, s[0:1], 0x1c0
	s_add_nc_u64 s[12:13], s[0:1], 0x1c8
	s_add_nc_u64 s[10:11], s[0:1], 0xd8
	s_load_b32 s3, s[12:13], 0x0
	s_mov_b32 s19, 0
	s_mov_b32 s57, 0
	s_wait_kmcnt 0x0
	s_ashr_i32 s21, s20, 31
	v_cvt_f32_u32_e32 v3, s8
	s_lshl_b64 s[22:23], s[20:21], 2
	s_add_co_i32 s9, s20, 6
	s_add_nc_u64 s[12:13], s[10:11], s[22:23]
	s_mul_i32 s3, s3, s2
	s_clause 0x1
	s_load_b32 s14, s[12:13], 0x0
	s_load_b64 s[16:17], s[0:1], 0x0
	v_rcp_iflag_f32_e32 v3, v3
	s_and_b32 s18, s20, 7
	s_add_co_i32 s33, s20, -3
	s_and_b32 s52, s9, 7
	s_lshl_b32 s53, s3, 2
	s_ashr_i32 s9, s8, 31
	v_cmp_gt_i64_e64 s56, s[20:21], 2
	s_add_nc_u64 s[20:21], s[0:1], s[22:23]
	s_wait_kmcnt 0x0
	v_cvt_f32_u32_e32 v4, s14
	s_ashr_i32 s15, s14, 31
	s_cmp_lg_u32 s18, 2
	s_cselect_b32 s54, -1, 0
	s_delay_alu instid0(VALU_DEP_1)
	v_rcp_iflag_f32_e32 v4, v4
	v_mul_f32_e32 v3, 0x4f7ffffe, v3
	s_cmp_gt_u32 s33, 6
	s_cselect_b32 s55, -1, 0
	s_sub_co_i32 s2, 0, s8
	s_wait_alu 0xfffe
	s_ashr_i32 s22, s9, 31
	s_ashr_i32 s24, s15, 31
	s_delay_alu instid0(TRANS32_DEP_1) | instskip(SKIP_1) | instid1(VALU_DEP_2)
	v_mul_f32_e32 v4, 0x4f7ffffe, v4
	v_cvt_u32_f32_e32 v3, v3
	v_cvt_u32_f32_e32 v24, v4
	s_delay_alu instid0(VALU_DEP_2) | instskip(NEXT) | instid1(VALU_DEP_1)
	v_mul_lo_u32 v5, s2, v3
	v_mul_hi_u32 v5, v3, v5
	s_delay_alu instid0(VALU_DEP_1)
	v_add_nc_u32_e32 v25, v3, v5
	s_branch .LBB56_3
.LBB56_2:                               ;   in Loop: Header=BB56_3 Depth=1
	s_wait_alu 0xfffe
	s_or_b32 exec_lo, exec_lo, s23
	v_add_co_u32 v0, vcc_lo, v0, s53
	s_wait_alu 0xfffd
	v_add_co_ci_u32_e64 v1, null, 0, v1, vcc_lo
	s_delay_alu instid0(VALU_DEP_1) | instskip(SKIP_1) | instid1(SALU_CYCLE_1)
	v_cmp_le_i64_e32 vcc_lo, s[6:7], v[0:1]
	s_or_b32 s57, vcc_lo, s57
	s_and_not1_b32 exec_lo, exec_lo, s57
	s_cbranch_execz .LBB56_66
.LBB56_3:                               ; =>This Loop Header: Depth=1
                                        ;     Child Loop BB56_16 Depth 2
                                        ;     Child Loop BB56_22 Depth 2
	v_or_b32_e32 v3, s9, v1
                                        ; implicit-def: $vgpr4_vgpr5
	s_mov_b32 s2, exec_lo
	s_delay_alu instid0(VALU_DEP_1)
	v_cmpx_ne_u64_e32 0, v[2:3]
	s_wait_alu 0xfffe
	s_xor_b32 s3, exec_lo, s2
	s_cbranch_execz .LBB56_5
; %bb.4:                                ;   in Loop: Header=BB56_3 Depth=1
	s_mov_b32 s23, s22
	v_ashrrev_i32_e32 v9, 31, v1
	s_wait_alu 0xfffe
	s_add_nc_u64 s[26:27], s[8:9], s[22:23]
	s_wait_alu 0xfffe
	s_xor_b64 s[26:27], s[26:27], s[22:23]
	v_add_co_u32 v3, vcc_lo, v0, v9
	s_wait_alu 0xfffe
	s_cvt_f32_u32 s2, s26
	s_cvt_f32_u32 s18, s27
	s_sub_nc_u64 s[30:31], 0, s[26:27]
	s_wait_alu 0xfffd
	v_add_co_ci_u32_e64 v4, null, v1, v9, vcc_lo
	s_wait_alu 0xfffe
	s_fmamk_f32 s2, s18, 0x4f800000, s2
	v_xor_b32_e32 v10, v3, v9
	s_delay_alu instid0(VALU_DEP_2) | instskip(SKIP_2) | instid1(TRANS32_DEP_1)
	v_xor_b32_e32 v11, v4, v9
	s_wait_alu 0xfffe
	v_s_rcp_f32 s2, s2
	s_mul_f32 s2, s2, 0x5f7ffffc
	s_wait_alu 0xfffe
	s_delay_alu instid0(SALU_CYCLE_2) | instskip(SKIP_1) | instid1(SALU_CYCLE_2)
	s_mul_f32 s18, s2, 0x2f800000
	s_wait_alu 0xfffe
	s_trunc_f32 s18, s18
	s_wait_alu 0xfffe
	s_delay_alu instid0(SALU_CYCLE_2) | instskip(SKIP_2) | instid1(SALU_CYCLE_1)
	s_fmamk_f32 s2, s18, 0xcf800000, s2
	s_cvt_u32_f32 s29, s18
	s_wait_alu 0xfffe
	s_cvt_u32_f32 s28, s2
	s_wait_alu 0xfffe
	s_delay_alu instid0(SALU_CYCLE_2)
	s_mul_u64 s[34:35], s[30:31], s[28:29]
	s_wait_alu 0xfffe
	s_mul_hi_u32 s37, s28, s35
	s_mul_i32 s36, s28, s35
	s_mul_hi_u32 s18, s28, s34
	s_mul_i32 s23, s29, s34
	s_wait_alu 0xfffe
	s_add_nc_u64 s[36:37], s[18:19], s[36:37]
	s_mul_hi_u32 s2, s29, s34
	s_mul_hi_u32 s25, s29, s35
	s_wait_alu 0xfffe
	s_add_co_u32 s18, s36, s23
	s_add_co_ci_u32 s18, s37, s2
	s_mul_i32 s34, s29, s35
	s_add_co_ci_u32 s35, s25, 0
	s_wait_alu 0xfffe
	s_add_nc_u64 s[34:35], s[18:19], s[34:35]
	s_wait_alu 0xfffe
	s_add_co_u32 s28, s28, s34
	s_cselect_b32 s2, -1, 0
	s_wait_alu 0xfffe
	s_cmp_lg_u32 s2, 0
	s_add_co_ci_u32 s29, s29, s35
	s_wait_alu 0xfffe
	s_mul_u64 s[30:31], s[30:31], s[28:29]
	s_wait_alu 0xfffe
	s_mul_hi_u32 s35, s28, s31
	s_mul_i32 s34, s28, s31
	s_mul_hi_u32 s18, s28, s30
	s_mul_i32 s23, s29, s30
	s_wait_alu 0xfffe
	s_add_nc_u64 s[34:35], s[18:19], s[34:35]
	s_mul_hi_u32 s2, s29, s30
	s_mul_hi_u32 s25, s29, s31
	s_wait_alu 0xfffe
	s_add_co_u32 s18, s34, s23
	s_add_co_ci_u32 s18, s35, s2
	s_mul_i32 s30, s29, s31
	s_add_co_ci_u32 s31, s25, 0
	s_wait_alu 0xfffe
	s_add_nc_u64 s[30:31], s[18:19], s[30:31]
	s_wait_alu 0xfffe
	s_add_co_u32 s2, s28, s30
	s_cselect_b32 s18, -1, 0
	s_wait_alu 0xfffe
	v_mul_hi_u32 v12, v10, s2
	s_cmp_lg_u32 s18, 0
	v_mad_co_u64_u32 v[5:6], null, v11, s2, 0
	s_add_co_ci_u32 s18, s29, s31
	s_wait_alu 0xfffe
	v_mad_co_u64_u32 v[3:4], null, v10, s18, 0
	v_mad_co_u64_u32 v[7:8], null, v11, s18, 0
	s_delay_alu instid0(VALU_DEP_2) | instskip(SKIP_1) | instid1(VALU_DEP_3)
	v_add_co_u32 v3, vcc_lo, v12, v3
	s_wait_alu 0xfffd
	v_add_co_ci_u32_e64 v4, null, 0, v4, vcc_lo
	s_delay_alu instid0(VALU_DEP_2) | instskip(SKIP_1) | instid1(VALU_DEP_2)
	v_add_co_u32 v3, vcc_lo, v3, v5
	s_wait_alu 0xfffd
	v_add_co_ci_u32_e32 v3, vcc_lo, v4, v6, vcc_lo
	s_wait_alu 0xfffd
	v_add_co_ci_u32_e32 v4, vcc_lo, 0, v8, vcc_lo
	s_delay_alu instid0(VALU_DEP_2) | instskip(SKIP_1) | instid1(VALU_DEP_2)
	v_add_co_u32 v5, vcc_lo, v3, v7
	s_wait_alu 0xfffd
	v_add_co_ci_u32_e64 v6, null, 0, v4, vcc_lo
	s_delay_alu instid0(VALU_DEP_2) | instskip(SKIP_1) | instid1(VALU_DEP_3)
	v_mul_lo_u32 v7, s27, v5
	v_mad_co_u64_u32 v[3:4], null, s26, v5, 0
	v_mul_lo_u32 v8, s26, v6
	s_delay_alu instid0(VALU_DEP_2) | instskip(NEXT) | instid1(VALU_DEP_2)
	v_sub_co_u32 v3, vcc_lo, v10, v3
	v_add3_u32 v4, v4, v8, v7
	v_add_co_u32 v8, s2, v5, 2
	s_wait_alu 0xf1ff
	v_add_co_ci_u32_e64 v10, null, 0, v6, s2
	s_delay_alu instid0(VALU_DEP_3) | instskip(SKIP_3) | instid1(VALU_DEP_3)
	v_sub_nc_u32_e32 v7, v11, v4
	v_sub_co_u32 v12, s2, v3, s26
	s_wait_alu 0xfffd
	v_sub_co_ci_u32_e64 v4, null, v11, v4, vcc_lo
	v_subrev_co_ci_u32_e64 v7, null, s27, v7, vcc_lo
	s_delay_alu instid0(VALU_DEP_3) | instskip(SKIP_1) | instid1(VALU_DEP_2)
	v_cmp_le_u32_e32 vcc_lo, s26, v12
	s_wait_alu 0xf1ff
	v_subrev_co_ci_u32_e64 v7, null, 0, v7, s2
	s_wait_alu 0xfffd
	v_cndmask_b32_e64 v11, 0, -1, vcc_lo
	s_delay_alu instid0(VALU_DEP_2)
	v_cmp_le_u32_e32 vcc_lo, s27, v7
	s_wait_alu 0xfffd
	v_cndmask_b32_e64 v12, 0, -1, vcc_lo
	v_cmp_le_u32_e32 vcc_lo, s26, v3
	s_wait_alu 0xfffd
	v_cndmask_b32_e64 v3, 0, -1, vcc_lo
	;; [unrolled: 3-line block ×3, first 2 shown]
	v_cmp_eq_u32_e32 vcc_lo, s27, v7
	s_wait_alu 0xfffd
	v_cndmask_b32_e32 v7, v12, v11, vcc_lo
	v_add_co_u32 v11, vcc_lo, v5, 1
	s_wait_alu 0xfffd
	v_add_co_ci_u32_e64 v12, null, 0, v6, vcc_lo
	v_cmp_eq_u32_e32 vcc_lo, s27, v4
	s_wait_alu 0xfffd
	v_cndmask_b32_e32 v3, v13, v3, vcc_lo
	v_cmp_ne_u32_e32 vcc_lo, 0, v7
	v_xor_b32_e32 v7, s22, v9
	s_wait_alu 0xfffd
	v_cndmask_b32_e32 v4, v12, v10, vcc_lo
	v_cmp_ne_u32_e64 s2, 0, v3
	v_cndmask_b32_e32 v3, v11, v8, vcc_lo
	s_wait_alu 0xf1ff
	s_delay_alu instid0(VALU_DEP_2) | instskip(NEXT) | instid1(VALU_DEP_2)
	v_cndmask_b32_e64 v4, v6, v4, s2
	v_cndmask_b32_e64 v3, v5, v3, s2
	s_delay_alu instid0(VALU_DEP_2) | instskip(NEXT) | instid1(VALU_DEP_2)
	v_xor_b32_e32 v5, v4, v7
	v_xor_b32_e32 v3, v3, v7
	s_delay_alu instid0(VALU_DEP_1) | instskip(SKIP_1) | instid1(VALU_DEP_3)
	v_sub_co_u32 v4, vcc_lo, v3, v7
	s_wait_alu 0xfffd
	v_sub_co_ci_u32_e64 v5, null, v5, v7, vcc_lo
.LBB56_5:                               ;   in Loop: Header=BB56_3 Depth=1
	s_wait_alu 0xfffe
	s_and_not1_saveexec_b32 s2, s3
	s_cbranch_execz .LBB56_7
; %bb.6:                                ;   in Loop: Header=BB56_3 Depth=1
	v_mul_hi_u32 v3, v0, v25
	s_delay_alu instid0(VALU_DEP_1) | instskip(NEXT) | instid1(VALU_DEP_1)
	v_mul_lo_u32 v4, v3, s8
	v_sub_nc_u32_e32 v4, v0, v4
	s_delay_alu instid0(VALU_DEP_1) | instskip(SKIP_2) | instid1(VALU_DEP_2)
	v_subrev_nc_u32_e32 v6, s8, v4
	v_cmp_le_u32_e32 vcc_lo, s8, v4
	s_wait_alu 0xfffd
	v_dual_cndmask_b32 v4, v4, v6 :: v_dual_add_nc_u32 v5, 1, v3
	s_delay_alu instid0(VALU_DEP_1) | instskip(NEXT) | instid1(VALU_DEP_2)
	v_cndmask_b32_e32 v3, v3, v5, vcc_lo
	v_cmp_le_u32_e32 vcc_lo, s8, v4
	s_delay_alu instid0(VALU_DEP_2) | instskip(SKIP_1) | instid1(VALU_DEP_1)
	v_add_nc_u32_e32 v5, 1, v3
	s_wait_alu 0xfffd
	v_dual_cndmask_b32 v4, v3, v5 :: v_dual_mov_b32 v5, v2
.LBB56_7:                               ;   in Loop: Header=BB56_3 Depth=1
	s_wait_alu 0xfffe
	s_or_b32 exec_lo, exec_lo, s2
	s_delay_alu instid0(VALU_DEP_1) | instskip(SKIP_1) | instid1(VALU_DEP_1)
	v_or_b32_e32 v3, s15, v5
                                        ; implicit-def: $vgpr6_vgpr7
	s_mov_b32 s2, exec_lo
	v_cmpx_ne_u64_e32 0, v[2:3]
	s_wait_alu 0xfffe
	s_xor_b32 s3, exec_lo, s2
	s_cbranch_execz .LBB56_9
; %bb.8:                                ;   in Loop: Header=BB56_3 Depth=1
	s_mov_b32 s25, s24
	v_ashrrev_i32_e32 v3, 31, v5
	s_wait_alu 0xfffe
	s_add_nc_u64 s[26:27], s[14:15], s[24:25]
	s_wait_alu 0xfffe
	s_xor_b64 s[26:27], s[26:27], s[24:25]
	v_add_co_u32 v6, vcc_lo, v4, v3
	s_wait_alu 0xfffe
	s_cvt_f32_u32 s2, s26
	s_cvt_f32_u32 s18, s27
	s_sub_nc_u64 s[30:31], 0, s[26:27]
	s_wait_alu 0xfffd
	v_add_co_ci_u32_e64 v5, null, v5, v3, vcc_lo
	s_wait_alu 0xfffe
	s_fmamk_f32 s2, s18, 0x4f800000, s2
	v_xor_b32_e32 v11, v6, v3
	s_delay_alu instid0(VALU_DEP_2) | instskip(SKIP_3) | instid1(TRANS32_DEP_1)
	v_xor_b32_e32 v12, v5, v3
	s_wait_alu 0xfffe
	v_s_rcp_f32 s2, s2
	v_xor_b32_e32 v3, s24, v3
	s_mul_f32 s2, s2, 0x5f7ffffc
	s_wait_alu 0xfffe
	s_delay_alu instid0(SALU_CYCLE_2) | instskip(SKIP_1) | instid1(SALU_CYCLE_2)
	s_mul_f32 s18, s2, 0x2f800000
	s_wait_alu 0xfffe
	s_trunc_f32 s18, s18
	s_wait_alu 0xfffe
	s_delay_alu instid0(SALU_CYCLE_2) | instskip(SKIP_2) | instid1(SALU_CYCLE_1)
	s_fmamk_f32 s2, s18, 0xcf800000, s2
	s_cvt_u32_f32 s29, s18
	s_wait_alu 0xfffe
	s_cvt_u32_f32 s28, s2
	s_wait_alu 0xfffe
	s_delay_alu instid0(SALU_CYCLE_2)
	s_mul_u64 s[34:35], s[30:31], s[28:29]
	s_wait_alu 0xfffe
	s_mul_hi_u32 s37, s28, s35
	s_mul_i32 s36, s28, s35
	s_mul_hi_u32 s18, s28, s34
	s_mul_i32 s23, s29, s34
	s_wait_alu 0xfffe
	s_add_nc_u64 s[36:37], s[18:19], s[36:37]
	s_mul_hi_u32 s2, s29, s34
	s_mul_hi_u32 s25, s29, s35
	s_wait_alu 0xfffe
	s_add_co_u32 s18, s36, s23
	s_add_co_ci_u32 s18, s37, s2
	s_mul_i32 s34, s29, s35
	s_add_co_ci_u32 s35, s25, 0
	s_wait_alu 0xfffe
	s_add_nc_u64 s[34:35], s[18:19], s[34:35]
	s_wait_alu 0xfffe
	s_add_co_u32 s28, s28, s34
	s_cselect_b32 s2, -1, 0
	s_wait_alu 0xfffe
	s_cmp_lg_u32 s2, 0
	s_add_co_ci_u32 s29, s29, s35
	s_wait_alu 0xfffe
	s_mul_u64 s[30:31], s[30:31], s[28:29]
	s_wait_alu 0xfffe
	s_mul_hi_u32 s35, s28, s31
	s_mul_i32 s34, s28, s31
	s_mul_hi_u32 s18, s28, s30
	s_mul_i32 s23, s29, s30
	s_wait_alu 0xfffe
	s_add_nc_u64 s[34:35], s[18:19], s[34:35]
	s_mul_hi_u32 s2, s29, s30
	s_mul_hi_u32 s25, s29, s31
	s_wait_alu 0xfffe
	s_add_co_u32 s18, s34, s23
	s_add_co_ci_u32 s18, s35, s2
	s_mul_i32 s30, s29, s31
	s_add_co_ci_u32 s31, s25, 0
	s_wait_alu 0xfffe
	s_add_nc_u64 s[30:31], s[18:19], s[30:31]
	s_wait_alu 0xfffe
	s_add_co_u32 s2, s28, s30
	s_cselect_b32 s18, -1, 0
	s_wait_alu 0xfffe
	v_mul_hi_u32 v13, v11, s2
	s_cmp_lg_u32 s18, 0
	v_mad_co_u64_u32 v[7:8], null, v12, s2, 0
	s_add_co_ci_u32 s18, s29, s31
	s_wait_alu 0xfffe
	v_mad_co_u64_u32 v[5:6], null, v11, s18, 0
	v_mad_co_u64_u32 v[9:10], null, v12, s18, 0
	s_delay_alu instid0(VALU_DEP_2) | instskip(SKIP_1) | instid1(VALU_DEP_3)
	v_add_co_u32 v5, vcc_lo, v13, v5
	s_wait_alu 0xfffd
	v_add_co_ci_u32_e64 v6, null, 0, v6, vcc_lo
	s_delay_alu instid0(VALU_DEP_2) | instskip(SKIP_1) | instid1(VALU_DEP_2)
	v_add_co_u32 v5, vcc_lo, v5, v7
	s_wait_alu 0xfffd
	v_add_co_ci_u32_e32 v5, vcc_lo, v6, v8, vcc_lo
	s_wait_alu 0xfffd
	v_add_co_ci_u32_e32 v6, vcc_lo, 0, v10, vcc_lo
	s_delay_alu instid0(VALU_DEP_2) | instskip(SKIP_1) | instid1(VALU_DEP_2)
	v_add_co_u32 v7, vcc_lo, v5, v9
	s_wait_alu 0xfffd
	v_add_co_ci_u32_e64 v8, null, 0, v6, vcc_lo
	s_delay_alu instid0(VALU_DEP_2) | instskip(SKIP_1) | instid1(VALU_DEP_3)
	v_mul_lo_u32 v9, s27, v7
	v_mad_co_u64_u32 v[5:6], null, s26, v7, 0
	v_mul_lo_u32 v10, s26, v8
	s_delay_alu instid0(VALU_DEP_2) | instskip(NEXT) | instid1(VALU_DEP_2)
	v_sub_co_u32 v5, vcc_lo, v11, v5
	v_add3_u32 v6, v6, v10, v9
	v_add_co_u32 v10, s2, v7, 2
	s_wait_alu 0xf1ff
	v_add_co_ci_u32_e64 v11, null, 0, v8, s2
	s_delay_alu instid0(VALU_DEP_3) | instskip(SKIP_3) | instid1(VALU_DEP_3)
	v_sub_nc_u32_e32 v9, v12, v6
	v_sub_co_u32 v13, s2, v5, s26
	s_wait_alu 0xfffd
	v_sub_co_ci_u32_e64 v6, null, v12, v6, vcc_lo
	v_subrev_co_ci_u32_e64 v9, null, s27, v9, vcc_lo
	s_delay_alu instid0(VALU_DEP_3) | instskip(SKIP_1) | instid1(VALU_DEP_2)
	v_cmp_le_u32_e32 vcc_lo, s26, v13
	s_wait_alu 0xf1ff
	v_subrev_co_ci_u32_e64 v9, null, 0, v9, s2
	s_wait_alu 0xfffd
	v_cndmask_b32_e64 v12, 0, -1, vcc_lo
	s_delay_alu instid0(VALU_DEP_2)
	v_cmp_le_u32_e32 vcc_lo, s27, v9
	s_wait_alu 0xfffd
	v_cndmask_b32_e64 v13, 0, -1, vcc_lo
	v_cmp_le_u32_e32 vcc_lo, s26, v5
	s_wait_alu 0xfffd
	v_cndmask_b32_e64 v5, 0, -1, vcc_lo
	v_cmp_le_u32_e32 vcc_lo, s27, v6
	s_wait_alu 0xfffd
	v_cndmask_b32_e64 v14, 0, -1, vcc_lo
	v_cmp_eq_u32_e32 vcc_lo, s27, v9
	s_wait_alu 0xfffd
	v_cndmask_b32_e32 v9, v13, v12, vcc_lo
	v_add_co_u32 v12, vcc_lo, v7, 1
	s_wait_alu 0xfffd
	v_add_co_ci_u32_e64 v13, null, 0, v8, vcc_lo
	v_cmp_eq_u32_e32 vcc_lo, s27, v6
	s_wait_alu 0xfffd
	v_cndmask_b32_e32 v5, v14, v5, vcc_lo
	v_cmp_ne_u32_e32 vcc_lo, 0, v9
	s_wait_alu 0xfffd
	v_cndmask_b32_e32 v6, v13, v11, vcc_lo
	s_delay_alu instid0(VALU_DEP_3) | instskip(SKIP_2) | instid1(VALU_DEP_2)
	v_cmp_ne_u32_e64 s2, 0, v5
	v_cndmask_b32_e32 v5, v12, v10, vcc_lo
	s_wait_alu 0xf1ff
	v_cndmask_b32_e64 v6, v8, v6, s2
	s_delay_alu instid0(VALU_DEP_2) | instskip(NEXT) | instid1(VALU_DEP_2)
	v_cndmask_b32_e64 v5, v7, v5, s2
	v_xor_b32_e32 v7, v6, v3
	s_delay_alu instid0(VALU_DEP_2) | instskip(NEXT) | instid1(VALU_DEP_1)
	v_xor_b32_e32 v5, v5, v3
	v_sub_co_u32 v6, vcc_lo, v5, v3
	s_wait_alu 0xfffd
	s_delay_alu instid0(VALU_DEP_3)
	v_sub_co_ci_u32_e64 v7, null, v7, v3, vcc_lo
.LBB56_9:                               ;   in Loop: Header=BB56_3 Depth=1
	s_wait_alu 0xfffe
	s_and_not1_saveexec_b32 s2, s3
	s_cbranch_execz .LBB56_11
; %bb.10:                               ;   in Loop: Header=BB56_3 Depth=1
	s_sub_co_i32 s3, 0, s14
	s_wait_alu 0xfffe
	v_mul_lo_u32 v3, s3, v24
	s_delay_alu instid0(VALU_DEP_1) | instskip(NEXT) | instid1(VALU_DEP_1)
	v_mul_hi_u32 v3, v24, v3
	v_add_nc_u32_e32 v3, v24, v3
	s_delay_alu instid0(VALU_DEP_1) | instskip(NEXT) | instid1(VALU_DEP_1)
	v_mul_hi_u32 v3, v4, v3
	v_mul_lo_u32 v5, v3, s14
	v_add_nc_u32_e32 v6, 1, v3
	s_delay_alu instid0(VALU_DEP_2) | instskip(NEXT) | instid1(VALU_DEP_1)
	v_sub_nc_u32_e32 v5, v4, v5
	v_subrev_nc_u32_e32 v7, s14, v5
	v_cmp_le_u32_e32 vcc_lo, s14, v5
	s_wait_alu 0xfffd
	s_delay_alu instid0(VALU_DEP_2) | instskip(SKIP_2) | instid1(VALU_DEP_3)
	v_cndmask_b32_e32 v5, v5, v7, vcc_lo
	v_mov_b32_e32 v7, v2
	v_cndmask_b32_e32 v3, v3, v6, vcc_lo
	v_cmp_le_u32_e32 vcc_lo, s14, v5
	s_delay_alu instid0(VALU_DEP_2) | instskip(SKIP_1) | instid1(VALU_DEP_1)
	v_add_nc_u32_e32 v6, 1, v3
	s_wait_alu 0xfffd
	v_cndmask_b32_e32 v6, v3, v6, vcc_lo
.LBB56_11:                              ;   in Loop: Header=BB56_3 Depth=1
	s_wait_alu 0xfffe
	s_or_b32 exec_lo, exec_lo, s2
	v_mad_co_u64_u32 v[8:9], null, v4, s8, 0
	s_delay_alu instid0(VALU_DEP_2) | instskip(SKIP_3) | instid1(VALU_DEP_1)
	v_mad_co_u64_u32 v[9:10], null, v6, s14, 0
	s_mov_b32 s23, exec_lo
	v_sub_co_u32 v27, null, v0, v8
	v_sub_co_u32 v26, null, v4, v9
	v_sub_nc_u32_e32 v3, v27, v26
	s_delay_alu instid0(VALU_DEP_1) | instskip(NEXT) | instid1(VALU_DEP_1)
	v_ashrrev_i32_e32 v4, 31, v3
	v_cmpx_gt_i64_e64 s[4:5], v[3:4]
	s_cbranch_execz .LBB56_2
; %bb.12:                               ;   in Loop: Header=BB56_3 Depth=1
	s_load_b64 s[2:3], s[20:21], 0x64
	s_and_not1_b32 vcc_lo, exec_lo, s56
	s_wait_kmcnt 0x0
	v_mul_lo_u32 v3, s3, v27
	s_delay_alu instid0(VALU_DEP_1)
	v_mad_co_u64_u32 v[4:5], null, s2, v26, v[3:4]
	s_wait_alu 0xfffe
	s_cbranch_vccnz .LBB56_56
; %bb.13:                               ;   in Loop: Header=BB56_3 Depth=1
	s_mov_b32 s25, s52
	s_and_not1_b32 vcc_lo, exec_lo, s54
	s_mov_b32 s18, s33
	s_mov_b32 s2, s33
	s_wait_alu 0xfffe
	s_cbranch_vccz .LBB56_16
; %bb.14:                               ;   in Loop: Header=BB56_3 Depth=1
	s_and_not1_b32 vcc_lo, exec_lo, s55
	s_wait_alu 0xfffe
	s_cbranch_vccz .LBB56_21
	s_branch .LBB56_56
.LBB56_15:                              ;   in Loop: Header=BB56_16 Depth=2
	s_wait_alu 0xfffe
	s_or_b32 exec_lo, exec_lo, s2
	s_add_nc_u64 s[26:27], s[0:1], s[26:27]
	v_mul_lo_u32 v3, v8, s28
	s_load_b32 s2, s[26:27], 0x6c
	s_add_co_i32 s25, s25, -1
	s_add_co_i32 s18, s18, -1
	s_wait_alu 0xfffe
	s_cmp_lg_u32 s25, 0
	s_delay_alu instid0(VALU_DEP_1) | instskip(SKIP_2) | instid1(VALU_DEP_2)
	v_sub_nc_u32_e32 v3, v6, v3
	v_dual_mov_b32 v6, v8 :: v_dual_mov_b32 v7, v9
	s_wait_kmcnt 0x0
	v_mad_co_u64_u32 v[4:5], null, s2, v3, v[4:5]
	s_cbranch_scc0 .LBB56_20
.LBB56_16:                              ;   Parent Loop BB56_3 Depth=1
                                        ; =>  This Inner Loop Header: Depth=2
	s_lshl_b64 s[26:27], s[18:19], 2
                                        ; implicit-def: $vgpr8_vgpr9
	s_mov_b32 s2, exec_lo
	s_wait_alu 0xfffe
	s_add_nc_u64 s[28:29], s[10:11], s[26:27]
	s_load_b32 s28, s[28:29], 0x8
	s_wait_kmcnt 0x0
	s_ashr_i32 s29, s28, 31
	s_wait_alu 0xfffe
	v_or_b32_e32 v3, s29, v7
	s_delay_alu instid0(VALU_DEP_1)
	v_cmpx_ne_u64_e32 0, v[2:3]
	s_xor_b32 s36, exec_lo, s2
	s_cbranch_execz .LBB56_18
; %bb.17:                               ;   in Loop: Header=BB56_16 Depth=2
	s_ashr_i32 s30, s29, 31
	s_mov_b32 s43, s19
	s_wait_alu 0xfffe
	s_mov_b32 s31, s30
	s_mov_b32 s47, s19
	s_wait_alu 0xfffe
	s_add_nc_u64 s[34:35], s[28:29], s[30:31]
	v_ashrrev_i32_e32 v3, 31, v7
	s_wait_alu 0xfffe
	s_xor_b64 s[34:35], s[34:35], s[30:31]
	s_wait_alu 0xfffe
	s_cvt_f32_u32 s2, s34
	s_cvt_f32_u32 s29, s35
	s_sub_nc_u64 s[40:41], 0, s[34:35]
	v_add_co_u32 v5, vcc_lo, v6, v3
	s_wait_alu 0xfffe
	s_fmamk_f32 s2, s29, 0x4f800000, s2
	s_wait_alu 0xfffd
	v_add_co_ci_u32_e64 v7, null, v7, v3, vcc_lo
	v_xor_b32_e32 v5, v5, v3
	s_wait_alu 0xfffe
	v_s_rcp_f32 s2, s2
	s_delay_alu instid0(VALU_DEP_2) | instskip(SKIP_1) | instid1(TRANS32_DEP_1)
	v_xor_b32_e32 v13, v7, v3
	v_xor_b32_e32 v3, s30, v3
	s_mul_f32 s2, s2, 0x5f7ffffc
	s_wait_alu 0xfffe
	s_delay_alu instid0(SALU_CYCLE_2) | instskip(SKIP_1) | instid1(SALU_CYCLE_2)
	s_mul_f32 s29, s2, 0x2f800000
	s_wait_alu 0xfffe
	s_trunc_f32 s29, s29
	s_wait_alu 0xfffe
	s_delay_alu instid0(SALU_CYCLE_2) | instskip(SKIP_2) | instid1(SALU_CYCLE_1)
	s_fmamk_f32 s2, s29, 0xcf800000, s2
	s_cvt_u32_f32 s39, s29
	s_wait_alu 0xfffe
	s_cvt_u32_f32 s38, s2
	s_wait_alu 0xfffe
	s_delay_alu instid0(SALU_CYCLE_2)
	s_mul_u64 s[44:45], s[40:41], s[38:39]
	s_wait_alu 0xfffe
	s_mul_hi_u32 s49, s38, s45
	s_mul_i32 s48, s38, s45
	s_mul_hi_u32 s42, s38, s44
	s_mul_i32 s29, s39, s44
	s_wait_alu 0xfffe
	s_add_nc_u64 s[42:43], s[42:43], s[48:49]
	s_mul_hi_u32 s2, s39, s44
	s_mul_hi_u32 s31, s39, s45
	s_wait_alu 0xfffe
	s_add_co_u32 s29, s42, s29
	s_add_co_ci_u32 s46, s43, s2
	s_mul_i32 s44, s39, s45
	s_add_co_ci_u32 s45, s31, 0
	s_wait_alu 0xfffe
	s_add_nc_u64 s[42:43], s[46:47], s[44:45]
	s_mov_b32 s45, s19
	s_wait_alu 0xfffe
	s_add_co_u32 s38, s38, s42
	s_cselect_b32 s2, -1, 0
	s_wait_alu 0xfffe
	s_cmp_lg_u32 s2, 0
	s_add_co_ci_u32 s39, s39, s43
	s_mov_b32 s43, s19
	s_wait_alu 0xfffe
	s_mul_u64 s[40:41], s[40:41], s[38:39]
	s_wait_alu 0xfffe
	s_mul_hi_u32 s47, s38, s41
	s_mul_i32 s46, s38, s41
	s_mul_hi_u32 s44, s38, s40
	s_mul_i32 s29, s39, s40
	s_wait_alu 0xfffe
	s_add_nc_u64 s[44:45], s[44:45], s[46:47]
	s_mul_hi_u32 s2, s39, s40
	s_mul_hi_u32 s31, s39, s41
	s_wait_alu 0xfffe
	s_add_co_u32 s29, s44, s29
	s_add_co_ci_u32 s42, s45, s2
	s_mul_i32 s40, s39, s41
	s_add_co_ci_u32 s41, s31, 0
	s_wait_alu 0xfffe
	s_add_nc_u64 s[40:41], s[42:43], s[40:41]
	s_wait_alu 0xfffe
	s_add_co_u32 s2, s38, s40
	s_cselect_b32 s29, -1, 0
	s_wait_alu 0xfffe
	v_mul_hi_u32 v14, v5, s2
	s_cmp_lg_u32 s29, 0
	v_mad_co_u64_u32 v[9:10], null, v13, s2, 0
	s_add_co_ci_u32 s29, s39, s41
	s_wait_alu 0xfffe
	v_mad_co_u64_u32 v[7:8], null, v5, s29, 0
	v_mad_co_u64_u32 v[11:12], null, v13, s29, 0
	s_delay_alu instid0(VALU_DEP_2) | instskip(SKIP_1) | instid1(VALU_DEP_3)
	v_add_co_u32 v7, vcc_lo, v14, v7
	s_wait_alu 0xfffd
	v_add_co_ci_u32_e64 v8, null, 0, v8, vcc_lo
	s_delay_alu instid0(VALU_DEP_2) | instskip(SKIP_1) | instid1(VALU_DEP_2)
	v_add_co_u32 v7, vcc_lo, v7, v9
	s_wait_alu 0xfffd
	v_add_co_ci_u32_e32 v7, vcc_lo, v8, v10, vcc_lo
	s_wait_alu 0xfffd
	v_add_co_ci_u32_e32 v8, vcc_lo, 0, v12, vcc_lo
	s_delay_alu instid0(VALU_DEP_2) | instskip(SKIP_1) | instid1(VALU_DEP_2)
	v_add_co_u32 v9, vcc_lo, v7, v11
	s_wait_alu 0xfffd
	v_add_co_ci_u32_e64 v10, null, 0, v8, vcc_lo
	s_delay_alu instid0(VALU_DEP_2) | instskip(SKIP_1) | instid1(VALU_DEP_3)
	v_mul_lo_u32 v11, s35, v9
	v_mad_co_u64_u32 v[7:8], null, s34, v9, 0
	v_mul_lo_u32 v12, s34, v10
	s_delay_alu instid0(VALU_DEP_2) | instskip(NEXT) | instid1(VALU_DEP_2)
	v_sub_co_u32 v5, vcc_lo, v5, v7
	v_add3_u32 v8, v8, v12, v11
	s_delay_alu instid0(VALU_DEP_1) | instskip(SKIP_2) | instid1(VALU_DEP_2)
	v_sub_nc_u32_e32 v11, v13, v8
	s_wait_alu 0xfffd
	v_sub_co_ci_u32_e64 v8, null, v13, v8, vcc_lo
	v_subrev_co_ci_u32_e64 v7, null, s35, v11, vcc_lo
	v_add_co_u32 v11, s2, v9, 2
	s_wait_alu 0xf1ff
	v_add_co_ci_u32_e64 v12, null, 0, v10, s2
	v_sub_co_u32 v14, s2, v5, s34
	s_wait_alu 0xf1ff
	v_subrev_co_ci_u32_e64 v7, null, 0, v7, s2
	s_delay_alu instid0(VALU_DEP_2) | instskip(SKIP_2) | instid1(VALU_DEP_3)
	v_cmp_le_u32_e32 vcc_lo, s34, v14
	s_wait_alu 0xfffd
	v_cndmask_b32_e64 v13, 0, -1, vcc_lo
	v_cmp_le_u32_e32 vcc_lo, s35, v7
	s_wait_alu 0xfffd
	v_cndmask_b32_e64 v14, 0, -1, vcc_lo
	;; [unrolled: 3-line block ×4, first 2 shown]
	v_cmp_eq_u32_e32 vcc_lo, s35, v7
	s_wait_alu 0xfffd
	v_cndmask_b32_e32 v7, v14, v13, vcc_lo
	v_add_co_u32 v13, vcc_lo, v9, 1
	s_wait_alu 0xfffd
	v_add_co_ci_u32_e64 v14, null, 0, v10, vcc_lo
	v_cmp_eq_u32_e32 vcc_lo, s35, v8
	s_wait_alu 0xfffd
	v_cndmask_b32_e32 v5, v15, v5, vcc_lo
	v_cmp_ne_u32_e32 vcc_lo, 0, v7
	s_delay_alu instid0(VALU_DEP_2) | instskip(SKIP_4) | instid1(VALU_DEP_2)
	v_cmp_ne_u32_e64 s2, 0, v5
	s_wait_alu 0xfffd
	v_cndmask_b32_e32 v5, v13, v11, vcc_lo
	v_cndmask_b32_e32 v7, v14, v12, vcc_lo
	s_wait_alu 0xf1ff
	v_cndmask_b32_e64 v5, v9, v5, s2
	s_delay_alu instid0(VALU_DEP_2) | instskip(NEXT) | instid1(VALU_DEP_2)
	v_cndmask_b32_e64 v7, v10, v7, s2
	v_xor_b32_e32 v5, v5, v3
	s_delay_alu instid0(VALU_DEP_2) | instskip(NEXT) | instid1(VALU_DEP_2)
	v_xor_b32_e32 v7, v7, v3
	v_sub_co_u32 v8, vcc_lo, v5, v3
	s_wait_alu 0xfffd
	s_delay_alu instid0(VALU_DEP_2)
	v_sub_co_ci_u32_e64 v9, null, v7, v3, vcc_lo
.LBB56_18:                              ;   in Loop: Header=BB56_16 Depth=2
	s_wait_alu 0xfffe
	s_and_not1_saveexec_b32 s2, s36
	s_cbranch_execz .LBB56_15
; %bb.19:                               ;   in Loop: Header=BB56_16 Depth=2
	v_cvt_f32_u32_e32 v3, s28
	s_sub_co_i32 s29, 0, s28
	v_mov_b32_e32 v9, v2
	s_delay_alu instid0(VALU_DEP_2) | instskip(NEXT) | instid1(TRANS32_DEP_1)
	v_rcp_iflag_f32_e32 v3, v3
	v_mul_f32_e32 v3, 0x4f7ffffe, v3
	s_delay_alu instid0(VALU_DEP_1) | instskip(SKIP_1) | instid1(VALU_DEP_1)
	v_cvt_u32_f32_e32 v3, v3
	s_wait_alu 0xfffe
	v_mul_lo_u32 v5, s29, v3
	s_delay_alu instid0(VALU_DEP_1) | instskip(NEXT) | instid1(VALU_DEP_1)
	v_mul_hi_u32 v5, v3, v5
	v_add_nc_u32_e32 v3, v3, v5
	s_delay_alu instid0(VALU_DEP_1) | instskip(NEXT) | instid1(VALU_DEP_1)
	v_mul_hi_u32 v3, v6, v3
	v_mul_lo_u32 v5, v3, s28
	v_add_nc_u32_e32 v7, 1, v3
	s_delay_alu instid0(VALU_DEP_2) | instskip(NEXT) | instid1(VALU_DEP_1)
	v_sub_nc_u32_e32 v5, v6, v5
	v_cmp_le_u32_e32 vcc_lo, s28, v5
	v_subrev_nc_u32_e32 v8, s28, v5
	s_wait_alu 0xfffd
	v_cndmask_b32_e32 v3, v3, v7, vcc_lo
	s_delay_alu instid0(VALU_DEP_1) | instskip(NEXT) | instid1(VALU_DEP_3)
	v_add_nc_u32_e32 v7, 1, v3
	v_cndmask_b32_e32 v5, v5, v8, vcc_lo
	s_delay_alu instid0(VALU_DEP_1) | instskip(SKIP_1) | instid1(VALU_DEP_3)
	v_cmp_le_u32_e32 vcc_lo, s28, v5
	s_wait_alu 0xfffd
	v_cndmask_b32_e32 v8, v3, v7, vcc_lo
	s_branch .LBB56_15
.LBB56_20:                              ;   in Loop: Header=BB56_3 Depth=1
	s_mov_b32 s2, s18
	s_and_not1_b32 vcc_lo, exec_lo, s55
	s_wait_alu 0xfffe
	s_cbranch_vccnz .LBB56_56
.LBB56_21:                              ;   in Loop: Header=BB56_3 Depth=1
	s_add_co_i32 s26, s2, -7
.LBB56_22:                              ;   Parent Loop BB56_3 Depth=1
                                        ; =>  This Inner Loop Header: Depth=2
	s_wait_alu 0xfffe
	s_add_co_i32 s18, s26, 7
                                        ; implicit-def: $vgpr8_vgpr9
	s_mov_b32 s2, exec_lo
	s_wait_alu 0xfffe
	s_lshl_b64 s[34:35], s[18:19], 2
	s_wait_alu 0xfffe
	s_add_nc_u64 s[28:29], s[10:11], s[34:35]
	s_load_b32 s28, s[28:29], 0x8
	s_wait_kmcnt 0x0
	s_ashr_i32 s29, s28, 31
	s_wait_alu 0xfffe
	v_or_b32_e32 v3, s29, v7
	s_delay_alu instid0(VALU_DEP_1)
	v_cmpx_ne_u64_e32 0, v[2:3]
	s_xor_b32 s25, exec_lo, s2
	s_cbranch_execz .LBB56_24
; %bb.23:                               ;   in Loop: Header=BB56_22 Depth=2
	s_ashr_i32 s30, s29, 31
	v_ashrrev_i32_e32 v3, 31, v7
	s_wait_alu 0xfffe
	s_mov_b32 s31, s30
	s_wait_alu 0xfffe
	s_add_nc_u64 s[36:37], s[28:29], s[30:31]
	v_add_co_u32 v5, vcc_lo, v6, v3
	s_wait_alu 0xfffe
	s_xor_b64 s[36:37], s[36:37], s[30:31]
	s_wait_alu 0xfffd
	v_add_co_ci_u32_e64 v7, null, v7, v3, vcc_lo
	s_wait_alu 0xfffe
	s_cvt_f32_u32 s2, s36
	s_cvt_f32_u32 s18, s37
	s_sub_nc_u64 s[40:41], 0, s[36:37]
	v_xor_b32_e32 v5, v5, v3
	v_xor_b32_e32 v13, v7, v3
	s_wait_alu 0xfffe
	s_fmamk_f32 s2, s18, 0x4f800000, s2
	v_xor_b32_e32 v3, s30, v3
	s_wait_alu 0xfffe
	s_delay_alu instid0(SALU_CYCLE_1) | instskip(NEXT) | instid1(TRANS32_DEP_1)
	v_s_rcp_f32 s2, s2
	s_mul_f32 s2, s2, 0x5f7ffffc
	s_wait_alu 0xfffe
	s_delay_alu instid0(SALU_CYCLE_2) | instskip(SKIP_1) | instid1(SALU_CYCLE_2)
	s_mul_f32 s18, s2, 0x2f800000
	s_wait_alu 0xfffe
	s_trunc_f32 s18, s18
	s_wait_alu 0xfffe
	s_delay_alu instid0(SALU_CYCLE_2) | instskip(SKIP_2) | instid1(SALU_CYCLE_1)
	s_fmamk_f32 s2, s18, 0xcf800000, s2
	s_cvt_u32_f32 s39, s18
	s_wait_alu 0xfffe
	s_cvt_u32_f32 s38, s2
	s_wait_alu 0xfffe
	s_delay_alu instid0(SALU_CYCLE_2)
	s_mul_u64 s[42:43], s[40:41], s[38:39]
	s_wait_alu 0xfffe
	s_mul_hi_u32 s45, s38, s43
	s_mul_i32 s44, s38, s43
	s_mul_hi_u32 s18, s38, s42
	s_mul_i32 s27, s39, s42
	s_wait_alu 0xfffe
	s_add_nc_u64 s[44:45], s[18:19], s[44:45]
	s_mul_hi_u32 s2, s39, s42
	s_mul_hi_u32 s29, s39, s43
	s_wait_alu 0xfffe
	s_add_co_u32 s18, s44, s27
	s_add_co_ci_u32 s18, s45, s2
	s_mul_i32 s42, s39, s43
	s_add_co_ci_u32 s43, s29, 0
	s_wait_alu 0xfffe
	s_add_nc_u64 s[42:43], s[18:19], s[42:43]
	s_wait_alu 0xfffe
	s_add_co_u32 s38, s38, s42
	s_cselect_b32 s2, -1, 0
	s_wait_alu 0xfffe
	s_cmp_lg_u32 s2, 0
	s_add_co_ci_u32 s39, s39, s43
	s_wait_alu 0xfffe
	s_mul_u64 s[40:41], s[40:41], s[38:39]
	s_wait_alu 0xfffe
	s_mul_hi_u32 s43, s38, s41
	s_mul_i32 s42, s38, s41
	s_mul_hi_u32 s18, s38, s40
	s_mul_i32 s27, s39, s40
	s_wait_alu 0xfffe
	s_add_nc_u64 s[42:43], s[18:19], s[42:43]
	s_mul_hi_u32 s2, s39, s40
	s_mul_hi_u32 s29, s39, s41
	s_wait_alu 0xfffe
	s_add_co_u32 s18, s42, s27
	s_add_co_ci_u32 s18, s43, s2
	s_mul_i32 s40, s39, s41
	s_add_co_ci_u32 s41, s29, 0
	s_wait_alu 0xfffe
	s_add_nc_u64 s[40:41], s[18:19], s[40:41]
	s_wait_alu 0xfffe
	s_add_co_u32 s2, s38, s40
	s_cselect_b32 s18, -1, 0
	s_wait_alu 0xfffe
	v_mul_hi_u32 v14, v5, s2
	s_cmp_lg_u32 s18, 0
	v_mad_co_u64_u32 v[9:10], null, v13, s2, 0
	s_add_co_ci_u32 s18, s39, s41
	s_wait_alu 0xfffe
	v_mad_co_u64_u32 v[7:8], null, v5, s18, 0
	v_mad_co_u64_u32 v[11:12], null, v13, s18, 0
	s_delay_alu instid0(VALU_DEP_2) | instskip(SKIP_1) | instid1(VALU_DEP_3)
	v_add_co_u32 v7, vcc_lo, v14, v7
	s_wait_alu 0xfffd
	v_add_co_ci_u32_e64 v8, null, 0, v8, vcc_lo
	s_delay_alu instid0(VALU_DEP_2) | instskip(SKIP_1) | instid1(VALU_DEP_2)
	v_add_co_u32 v7, vcc_lo, v7, v9
	s_wait_alu 0xfffd
	v_add_co_ci_u32_e32 v7, vcc_lo, v8, v10, vcc_lo
	s_wait_alu 0xfffd
	v_add_co_ci_u32_e32 v8, vcc_lo, 0, v12, vcc_lo
	s_delay_alu instid0(VALU_DEP_2) | instskip(SKIP_1) | instid1(VALU_DEP_2)
	v_add_co_u32 v9, vcc_lo, v7, v11
	s_wait_alu 0xfffd
	v_add_co_ci_u32_e64 v10, null, 0, v8, vcc_lo
	s_delay_alu instid0(VALU_DEP_2) | instskip(SKIP_1) | instid1(VALU_DEP_3)
	v_mul_lo_u32 v11, s37, v9
	v_mad_co_u64_u32 v[7:8], null, s36, v9, 0
	v_mul_lo_u32 v12, s36, v10
	s_delay_alu instid0(VALU_DEP_2) | instskip(NEXT) | instid1(VALU_DEP_2)
	v_sub_co_u32 v5, vcc_lo, v5, v7
	v_add3_u32 v8, v8, v12, v11
	s_delay_alu instid0(VALU_DEP_1) | instskip(SKIP_2) | instid1(VALU_DEP_2)
	v_sub_nc_u32_e32 v11, v13, v8
	s_wait_alu 0xfffd
	v_sub_co_ci_u32_e64 v8, null, v13, v8, vcc_lo
	v_subrev_co_ci_u32_e64 v7, null, s37, v11, vcc_lo
	v_add_co_u32 v11, s2, v9, 2
	s_wait_alu 0xf1ff
	v_add_co_ci_u32_e64 v12, null, 0, v10, s2
	v_sub_co_u32 v14, s2, v5, s36
	s_wait_alu 0xf1ff
	v_subrev_co_ci_u32_e64 v7, null, 0, v7, s2
	s_delay_alu instid0(VALU_DEP_2) | instskip(SKIP_2) | instid1(VALU_DEP_3)
	v_cmp_le_u32_e32 vcc_lo, s36, v14
	s_wait_alu 0xfffd
	v_cndmask_b32_e64 v13, 0, -1, vcc_lo
	v_cmp_le_u32_e32 vcc_lo, s37, v7
	s_wait_alu 0xfffd
	v_cndmask_b32_e64 v14, 0, -1, vcc_lo
	;; [unrolled: 3-line block ×4, first 2 shown]
	v_cmp_eq_u32_e32 vcc_lo, s37, v7
	s_wait_alu 0xfffd
	v_cndmask_b32_e32 v7, v14, v13, vcc_lo
	v_add_co_u32 v13, vcc_lo, v9, 1
	s_wait_alu 0xfffd
	v_add_co_ci_u32_e64 v14, null, 0, v10, vcc_lo
	v_cmp_eq_u32_e32 vcc_lo, s37, v8
	s_wait_alu 0xfffd
	v_cndmask_b32_e32 v5, v15, v5, vcc_lo
	v_cmp_ne_u32_e32 vcc_lo, 0, v7
	s_delay_alu instid0(VALU_DEP_2) | instskip(SKIP_4) | instid1(VALU_DEP_2)
	v_cmp_ne_u32_e64 s2, 0, v5
	s_wait_alu 0xfffd
	v_cndmask_b32_e32 v5, v13, v11, vcc_lo
	v_cndmask_b32_e32 v7, v14, v12, vcc_lo
	s_wait_alu 0xf1ff
	v_cndmask_b32_e64 v5, v9, v5, s2
	s_delay_alu instid0(VALU_DEP_2) | instskip(NEXT) | instid1(VALU_DEP_2)
	v_cndmask_b32_e64 v7, v10, v7, s2
	v_xor_b32_e32 v5, v5, v3
	s_delay_alu instid0(VALU_DEP_2) | instskip(NEXT) | instid1(VALU_DEP_2)
	v_xor_b32_e32 v7, v7, v3
	v_sub_co_u32 v8, vcc_lo, v5, v3
	s_wait_alu 0xfffd
	s_delay_alu instid0(VALU_DEP_2)
	v_sub_co_ci_u32_e64 v9, null, v7, v3, vcc_lo
.LBB56_24:                              ;   in Loop: Header=BB56_22 Depth=2
	s_wait_alu 0xfffe
	s_and_not1_saveexec_b32 s2, s25
	s_cbranch_execz .LBB56_26
; %bb.25:                               ;   in Loop: Header=BB56_22 Depth=2
	v_cvt_f32_u32_e32 v3, s28
	s_sub_co_i32 s18, 0, s28
	v_mov_b32_e32 v9, v2
	s_delay_alu instid0(VALU_DEP_2) | instskip(NEXT) | instid1(TRANS32_DEP_1)
	v_rcp_iflag_f32_e32 v3, v3
	v_mul_f32_e32 v3, 0x4f7ffffe, v3
	s_delay_alu instid0(VALU_DEP_1) | instskip(SKIP_1) | instid1(VALU_DEP_1)
	v_cvt_u32_f32_e32 v3, v3
	s_wait_alu 0xfffe
	v_mul_lo_u32 v5, s18, v3
	s_delay_alu instid0(VALU_DEP_1) | instskip(NEXT) | instid1(VALU_DEP_1)
	v_mul_hi_u32 v5, v3, v5
	v_add_nc_u32_e32 v3, v3, v5
	s_delay_alu instid0(VALU_DEP_1) | instskip(NEXT) | instid1(VALU_DEP_1)
	v_mul_hi_u32 v3, v6, v3
	v_mul_lo_u32 v5, v3, s28
	v_add_nc_u32_e32 v7, 1, v3
	s_delay_alu instid0(VALU_DEP_2) | instskip(NEXT) | instid1(VALU_DEP_1)
	v_sub_nc_u32_e32 v5, v6, v5
	v_cmp_le_u32_e32 vcc_lo, s28, v5
	v_subrev_nc_u32_e32 v8, s28, v5
	s_wait_alu 0xfffd
	v_cndmask_b32_e32 v3, v3, v7, vcc_lo
	s_delay_alu instid0(VALU_DEP_1) | instskip(NEXT) | instid1(VALU_DEP_3)
	v_add_nc_u32_e32 v7, 1, v3
	v_cndmask_b32_e32 v5, v5, v8, vcc_lo
	s_delay_alu instid0(VALU_DEP_1) | instskip(SKIP_1) | instid1(VALU_DEP_3)
	v_cmp_le_u32_e32 vcc_lo, s28, v5
	s_wait_alu 0xfffd
	v_cndmask_b32_e32 v8, v3, v7, vcc_lo
.LBB56_26:                              ;   in Loop: Header=BB56_22 Depth=2
	s_wait_alu 0xfffe
	s_or_b32 exec_lo, exec_lo, s2
	s_add_co_i32 s18, s26, 6
	s_add_nc_u64 s[34:35], s[0:1], s[34:35]
	s_wait_alu 0xfffe
	s_lshl_b64 s[36:37], s[18:19], 2
                                        ; implicit-def: $vgpr10_vgpr11
	s_mov_b32 s2, exec_lo
	s_wait_alu 0xfffe
	s_add_nc_u64 s[30:31], s[10:11], s[36:37]
	s_clause 0x1
	s_load_b32 s25, s[34:35], 0x6c
	s_load_b32 s30, s[30:31], 0x8
	s_wait_kmcnt 0x0
	s_ashr_i32 s31, s30, 31
	s_wait_alu 0xfffe
	v_or_b32_e32 v3, s31, v9
	s_delay_alu instid0(VALU_DEP_1)
	v_cmpx_ne_u64_e32 0, v[2:3]
	s_xor_b32 s27, exec_lo, s2
	s_cbranch_execz .LBB56_28
; %bb.27:                               ;   in Loop: Header=BB56_22 Depth=2
	s_ashr_i32 s34, s31, 31
	v_ashrrev_i32_e32 v3, 31, v9
	s_wait_alu 0xfffe
	s_mov_b32 s35, s34
	s_wait_alu 0xfffe
	s_add_nc_u64 s[38:39], s[30:31], s[34:35]
	v_add_co_u32 v5, vcc_lo, v8, v3
	s_wait_alu 0xfffe
	s_xor_b64 s[38:39], s[38:39], s[34:35]
	s_wait_alu 0xfffd
	v_add_co_ci_u32_e64 v7, null, v9, v3, vcc_lo
	s_wait_alu 0xfffe
	s_cvt_f32_u32 s2, s38
	s_cvt_f32_u32 s18, s39
	s_sub_nc_u64 s[42:43], 0, s[38:39]
	v_xor_b32_e32 v5, v5, v3
	v_xor_b32_e32 v7, v7, v3
	s_wait_alu 0xfffe
	s_fmamk_f32 s2, s18, 0x4f800000, s2
	v_xor_b32_e32 v3, s34, v3
	s_wait_alu 0xfffe
	s_delay_alu instid0(SALU_CYCLE_1) | instskip(NEXT) | instid1(TRANS32_DEP_1)
	v_s_rcp_f32 s2, s2
	s_mul_f32 s2, s2, 0x5f7ffffc
	s_wait_alu 0xfffe
	s_delay_alu instid0(SALU_CYCLE_2) | instskip(SKIP_1) | instid1(SALU_CYCLE_2)
	s_mul_f32 s18, s2, 0x2f800000
	s_wait_alu 0xfffe
	s_trunc_f32 s18, s18
	s_wait_alu 0xfffe
	s_delay_alu instid0(SALU_CYCLE_2) | instskip(SKIP_2) | instid1(SALU_CYCLE_1)
	s_fmamk_f32 s2, s18, 0xcf800000, s2
	s_cvt_u32_f32 s41, s18
	s_wait_alu 0xfffe
	s_cvt_u32_f32 s40, s2
	s_wait_alu 0xfffe
	s_delay_alu instid0(SALU_CYCLE_2)
	s_mul_u64 s[44:45], s[42:43], s[40:41]
	s_wait_alu 0xfffe
	s_mul_hi_u32 s47, s40, s45
	s_mul_i32 s46, s40, s45
	s_mul_hi_u32 s18, s40, s44
	s_mul_i32 s29, s41, s44
	s_wait_alu 0xfffe
	s_add_nc_u64 s[46:47], s[18:19], s[46:47]
	s_mul_hi_u32 s2, s41, s44
	s_mul_hi_u32 s31, s41, s45
	s_wait_alu 0xfffe
	s_add_co_u32 s18, s46, s29
	s_add_co_ci_u32 s18, s47, s2
	s_mul_i32 s44, s41, s45
	s_add_co_ci_u32 s45, s31, 0
	s_wait_alu 0xfffe
	s_add_nc_u64 s[44:45], s[18:19], s[44:45]
	s_wait_alu 0xfffe
	s_add_co_u32 s40, s40, s44
	s_cselect_b32 s2, -1, 0
	s_wait_alu 0xfffe
	s_cmp_lg_u32 s2, 0
	s_add_co_ci_u32 s41, s41, s45
	s_wait_alu 0xfffe
	s_mul_u64 s[42:43], s[42:43], s[40:41]
	s_wait_alu 0xfffe
	s_mul_hi_u32 s45, s40, s43
	s_mul_i32 s44, s40, s43
	s_mul_hi_u32 s18, s40, s42
	s_mul_i32 s29, s41, s42
	s_wait_alu 0xfffe
	s_add_nc_u64 s[44:45], s[18:19], s[44:45]
	s_mul_hi_u32 s2, s41, s42
	s_mul_hi_u32 s31, s41, s43
	s_wait_alu 0xfffe
	s_add_co_u32 s18, s44, s29
	s_add_co_ci_u32 s18, s45, s2
	s_mul_i32 s42, s41, s43
	s_add_co_ci_u32 s43, s31, 0
	s_wait_alu 0xfffe
	s_add_nc_u64 s[42:43], s[18:19], s[42:43]
	s_wait_alu 0xfffe
	s_add_co_u32 s2, s40, s42
	s_cselect_b32 s18, -1, 0
	s_wait_alu 0xfffe
	v_mul_hi_u32 v15, v5, s2
	s_cmp_lg_u32 s18, 0
	v_mad_co_u64_u32 v[11:12], null, v7, s2, 0
	s_add_co_ci_u32 s18, s41, s43
	s_wait_alu 0xfffe
	v_mad_co_u64_u32 v[9:10], null, v5, s18, 0
	v_mad_co_u64_u32 v[13:14], null, v7, s18, 0
	s_delay_alu instid0(VALU_DEP_2) | instskip(SKIP_1) | instid1(VALU_DEP_3)
	v_add_co_u32 v9, vcc_lo, v15, v9
	s_wait_alu 0xfffd
	v_add_co_ci_u32_e64 v10, null, 0, v10, vcc_lo
	s_delay_alu instid0(VALU_DEP_2) | instskip(SKIP_1) | instid1(VALU_DEP_2)
	v_add_co_u32 v9, vcc_lo, v9, v11
	s_wait_alu 0xfffd
	v_add_co_ci_u32_e32 v9, vcc_lo, v10, v12, vcc_lo
	s_wait_alu 0xfffd
	v_add_co_ci_u32_e32 v10, vcc_lo, 0, v14, vcc_lo
	s_delay_alu instid0(VALU_DEP_2) | instskip(SKIP_1) | instid1(VALU_DEP_2)
	v_add_co_u32 v11, vcc_lo, v9, v13
	s_wait_alu 0xfffd
	v_add_co_ci_u32_e64 v12, null, 0, v10, vcc_lo
	s_delay_alu instid0(VALU_DEP_2) | instskip(SKIP_1) | instid1(VALU_DEP_3)
	v_mul_lo_u32 v13, s39, v11
	v_mad_co_u64_u32 v[9:10], null, s38, v11, 0
	v_mul_lo_u32 v14, s38, v12
	s_delay_alu instid0(VALU_DEP_2) | instskip(NEXT) | instid1(VALU_DEP_2)
	v_sub_co_u32 v5, vcc_lo, v5, v9
	v_add3_u32 v10, v10, v14, v13
	s_delay_alu instid0(VALU_DEP_1) | instskip(SKIP_2) | instid1(VALU_DEP_2)
	v_sub_nc_u32_e32 v13, v7, v10
	s_wait_alu 0xfffd
	v_sub_co_ci_u32_e64 v7, null, v7, v10, vcc_lo
	v_subrev_co_ci_u32_e64 v9, null, s39, v13, vcc_lo
	v_add_co_u32 v13, s2, v11, 2
	s_wait_alu 0xf1ff
	v_add_co_ci_u32_e64 v14, null, 0, v12, s2
	v_sub_co_u32 v15, s2, v5, s38
	s_wait_alu 0xf1ff
	v_subrev_co_ci_u32_e64 v9, null, 0, v9, s2
	s_delay_alu instid0(VALU_DEP_2) | instskip(SKIP_2) | instid1(VALU_DEP_3)
	v_cmp_le_u32_e32 vcc_lo, s38, v15
	s_wait_alu 0xfffd
	v_cndmask_b32_e64 v10, 0, -1, vcc_lo
	v_cmp_le_u32_e32 vcc_lo, s39, v9
	s_wait_alu 0xfffd
	v_cndmask_b32_e64 v15, 0, -1, vcc_lo
	v_cmp_le_u32_e32 vcc_lo, s38, v5
	s_wait_alu 0xfffd
	v_cndmask_b32_e64 v5, 0, -1, vcc_lo
	v_cmp_le_u32_e32 vcc_lo, s39, v7
	s_wait_alu 0xfffd
	v_cndmask_b32_e64 v16, 0, -1, vcc_lo
	v_cmp_eq_u32_e32 vcc_lo, s39, v9
	s_wait_alu 0xfffd
	v_cndmask_b32_e32 v9, v15, v10, vcc_lo
	v_add_co_u32 v10, vcc_lo, v11, 1
	s_wait_alu 0xfffd
	v_add_co_ci_u32_e64 v15, null, 0, v12, vcc_lo
	v_cmp_eq_u32_e32 vcc_lo, s39, v7
	s_wait_alu 0xfffd
	v_cndmask_b32_e32 v5, v16, v5, vcc_lo
	v_cmp_ne_u32_e32 vcc_lo, 0, v9
	s_delay_alu instid0(VALU_DEP_2) | instskip(SKIP_4) | instid1(VALU_DEP_2)
	v_cmp_ne_u32_e64 s2, 0, v5
	s_wait_alu 0xfffd
	v_cndmask_b32_e32 v5, v10, v13, vcc_lo
	v_cndmask_b32_e32 v7, v15, v14, vcc_lo
	s_wait_alu 0xf1ff
	v_cndmask_b32_e64 v5, v11, v5, s2
	s_delay_alu instid0(VALU_DEP_2) | instskip(NEXT) | instid1(VALU_DEP_2)
	v_cndmask_b32_e64 v7, v12, v7, s2
	v_xor_b32_e32 v5, v5, v3
	s_delay_alu instid0(VALU_DEP_2) | instskip(NEXT) | instid1(VALU_DEP_2)
	v_xor_b32_e32 v7, v7, v3
	v_sub_co_u32 v10, vcc_lo, v5, v3
	s_wait_alu 0xfffd
	s_delay_alu instid0(VALU_DEP_2)
	v_sub_co_ci_u32_e64 v11, null, v7, v3, vcc_lo
.LBB56_28:                              ;   in Loop: Header=BB56_22 Depth=2
	s_wait_alu 0xfffe
	s_and_not1_saveexec_b32 s2, s27
	s_cbranch_execz .LBB56_30
; %bb.29:                               ;   in Loop: Header=BB56_22 Depth=2
	v_cvt_f32_u32_e32 v3, s30
	s_sub_co_i32 s18, 0, s30
	v_mov_b32_e32 v11, v2
	s_delay_alu instid0(VALU_DEP_2) | instskip(NEXT) | instid1(TRANS32_DEP_1)
	v_rcp_iflag_f32_e32 v3, v3
	v_mul_f32_e32 v3, 0x4f7ffffe, v3
	s_delay_alu instid0(VALU_DEP_1) | instskip(SKIP_1) | instid1(VALU_DEP_1)
	v_cvt_u32_f32_e32 v3, v3
	s_wait_alu 0xfffe
	v_mul_lo_u32 v5, s18, v3
	s_delay_alu instid0(VALU_DEP_1) | instskip(NEXT) | instid1(VALU_DEP_1)
	v_mul_hi_u32 v5, v3, v5
	v_add_nc_u32_e32 v3, v3, v5
	s_delay_alu instid0(VALU_DEP_1) | instskip(NEXT) | instid1(VALU_DEP_1)
	v_mul_hi_u32 v3, v8, v3
	v_mul_lo_u32 v5, v3, s30
	v_add_nc_u32_e32 v7, 1, v3
	s_delay_alu instid0(VALU_DEP_2) | instskip(NEXT) | instid1(VALU_DEP_1)
	v_sub_nc_u32_e32 v5, v8, v5
	v_cmp_le_u32_e32 vcc_lo, s30, v5
	v_subrev_nc_u32_e32 v9, s30, v5
	s_wait_alu 0xfffd
	v_cndmask_b32_e32 v3, v3, v7, vcc_lo
	s_delay_alu instid0(VALU_DEP_1) | instskip(NEXT) | instid1(VALU_DEP_3)
	v_add_nc_u32_e32 v7, 1, v3
	v_cndmask_b32_e32 v5, v5, v9, vcc_lo
	s_delay_alu instid0(VALU_DEP_1) | instskip(SKIP_1) | instid1(VALU_DEP_3)
	v_cmp_le_u32_e32 vcc_lo, s30, v5
	s_wait_alu 0xfffd
	v_cndmask_b32_e32 v10, v3, v7, vcc_lo
.LBB56_30:                              ;   in Loop: Header=BB56_22 Depth=2
	s_wait_alu 0xfffe
	s_or_b32 exec_lo, exec_lo, s2
	s_add_co_i32 s18, s26, 5
	s_add_nc_u64 s[36:37], s[0:1], s[36:37]
	s_wait_alu 0xfffe
	s_lshl_b64 s[38:39], s[18:19], 2
                                        ; implicit-def: $vgpr12_vgpr13
	s_mov_b32 s2, exec_lo
	s_wait_alu 0xfffe
	s_add_nc_u64 s[34:35], s[10:11], s[38:39]
	s_clause 0x1
	s_load_b32 s29, s[36:37], 0x6c
	s_load_b32 s34, s[34:35], 0x8
	s_wait_kmcnt 0x0
	s_ashr_i32 s35, s34, 31
	s_wait_alu 0xfffe
	v_or_b32_e32 v3, s35, v11
	s_delay_alu instid0(VALU_DEP_1)
	v_cmpx_ne_u64_e32 0, v[2:3]
	s_xor_b32 s27, exec_lo, s2
	s_cbranch_execz .LBB56_32
; %bb.31:                               ;   in Loop: Header=BB56_22 Depth=2
	s_ashr_i32 s36, s35, 31
	v_ashrrev_i32_e32 v3, 31, v11
	s_wait_alu 0xfffe
	s_mov_b32 s37, s36
	s_wait_alu 0xfffe
	s_add_nc_u64 s[40:41], s[34:35], s[36:37]
	v_add_co_u32 v5, vcc_lo, v10, v3
	s_wait_alu 0xfffe
	s_xor_b64 s[40:41], s[40:41], s[36:37]
	s_wait_alu 0xfffd
	v_add_co_ci_u32_e64 v7, null, v11, v3, vcc_lo
	s_wait_alu 0xfffe
	s_cvt_f32_u32 s2, s40
	s_cvt_f32_u32 s18, s41
	s_sub_nc_u64 s[44:45], 0, s[40:41]
	v_xor_b32_e32 v5, v5, v3
	v_xor_b32_e32 v7, v7, v3
	s_wait_alu 0xfffe
	s_fmamk_f32 s2, s18, 0x4f800000, s2
	v_xor_b32_e32 v3, s36, v3
	s_wait_alu 0xfffe
	s_delay_alu instid0(SALU_CYCLE_1) | instskip(NEXT) | instid1(TRANS32_DEP_1)
	v_s_rcp_f32 s2, s2
	s_mul_f32 s2, s2, 0x5f7ffffc
	s_wait_alu 0xfffe
	s_delay_alu instid0(SALU_CYCLE_2) | instskip(SKIP_1) | instid1(SALU_CYCLE_2)
	s_mul_f32 s18, s2, 0x2f800000
	s_wait_alu 0xfffe
	s_trunc_f32 s18, s18
	s_wait_alu 0xfffe
	s_delay_alu instid0(SALU_CYCLE_2) | instskip(SKIP_2) | instid1(SALU_CYCLE_1)
	s_fmamk_f32 s2, s18, 0xcf800000, s2
	s_cvt_u32_f32 s43, s18
	s_wait_alu 0xfffe
	s_cvt_u32_f32 s42, s2
	s_wait_alu 0xfffe
	s_delay_alu instid0(SALU_CYCLE_2)
	s_mul_u64 s[46:47], s[44:45], s[42:43]
	s_wait_alu 0xfffe
	s_mul_hi_u32 s49, s42, s47
	s_mul_i32 s48, s42, s47
	s_mul_hi_u32 s18, s42, s46
	s_mul_i32 s31, s43, s46
	s_wait_alu 0xfffe
	s_add_nc_u64 s[48:49], s[18:19], s[48:49]
	s_mul_hi_u32 s2, s43, s46
	s_mul_hi_u32 s35, s43, s47
	s_wait_alu 0xfffe
	s_add_co_u32 s18, s48, s31
	s_add_co_ci_u32 s18, s49, s2
	s_mul_i32 s46, s43, s47
	s_add_co_ci_u32 s47, s35, 0
	s_wait_alu 0xfffe
	s_add_nc_u64 s[46:47], s[18:19], s[46:47]
	s_wait_alu 0xfffe
	s_add_co_u32 s42, s42, s46
	s_cselect_b32 s2, -1, 0
	s_wait_alu 0xfffe
	s_cmp_lg_u32 s2, 0
	s_add_co_ci_u32 s43, s43, s47
	s_wait_alu 0xfffe
	s_mul_u64 s[44:45], s[44:45], s[42:43]
	s_wait_alu 0xfffe
	s_mul_hi_u32 s47, s42, s45
	s_mul_i32 s46, s42, s45
	s_mul_hi_u32 s18, s42, s44
	s_mul_i32 s31, s43, s44
	s_wait_alu 0xfffe
	s_add_nc_u64 s[46:47], s[18:19], s[46:47]
	s_mul_hi_u32 s2, s43, s44
	s_mul_hi_u32 s35, s43, s45
	s_wait_alu 0xfffe
	s_add_co_u32 s18, s46, s31
	s_add_co_ci_u32 s18, s47, s2
	s_mul_i32 s44, s43, s45
	s_add_co_ci_u32 s45, s35, 0
	s_wait_alu 0xfffe
	s_add_nc_u64 s[44:45], s[18:19], s[44:45]
	s_wait_alu 0xfffe
	s_add_co_u32 s2, s42, s44
	s_cselect_b32 s18, -1, 0
	s_wait_alu 0xfffe
	v_mul_hi_u32 v9, v5, s2
	s_cmp_lg_u32 s18, 0
	v_mad_co_u64_u32 v[13:14], null, v7, s2, 0
	s_add_co_ci_u32 s18, s43, s45
	s_wait_alu 0xfffe
	v_mad_co_u64_u32 v[11:12], null, v5, s18, 0
	v_mad_co_u64_u32 v[15:16], null, v7, s18, 0
	s_delay_alu instid0(VALU_DEP_2) | instskip(SKIP_1) | instid1(VALU_DEP_3)
	v_add_co_u32 v9, vcc_lo, v9, v11
	s_wait_alu 0xfffd
	v_add_co_ci_u32_e64 v11, null, 0, v12, vcc_lo
	s_delay_alu instid0(VALU_DEP_2) | instskip(SKIP_1) | instid1(VALU_DEP_2)
	v_add_co_u32 v9, vcc_lo, v9, v13
	s_wait_alu 0xfffd
	v_add_co_ci_u32_e32 v9, vcc_lo, v11, v14, vcc_lo
	s_wait_alu 0xfffd
	v_add_co_ci_u32_e32 v11, vcc_lo, 0, v16, vcc_lo
	s_delay_alu instid0(VALU_DEP_2) | instskip(SKIP_1) | instid1(VALU_DEP_2)
	v_add_co_u32 v9, vcc_lo, v9, v15
	s_wait_alu 0xfffd
	v_add_co_ci_u32_e64 v13, null, 0, v11, vcc_lo
	s_delay_alu instid0(VALU_DEP_2) | instskip(SKIP_1) | instid1(VALU_DEP_3)
	v_mul_lo_u32 v14, s41, v9
	v_mad_co_u64_u32 v[11:12], null, s40, v9, 0
	v_mul_lo_u32 v15, s40, v13
	s_delay_alu instid0(VALU_DEP_2) | instskip(NEXT) | instid1(VALU_DEP_2)
	v_sub_co_u32 v5, vcc_lo, v5, v11
	v_add3_u32 v12, v12, v15, v14
	s_delay_alu instid0(VALU_DEP_1) | instskip(SKIP_2) | instid1(VALU_DEP_2)
	v_sub_nc_u32_e32 v14, v7, v12
	s_wait_alu 0xfffd
	v_sub_co_ci_u32_e64 v7, null, v7, v12, vcc_lo
	v_subrev_co_ci_u32_e64 v11, null, s41, v14, vcc_lo
	v_add_co_u32 v14, s2, v9, 2
	s_wait_alu 0xf1ff
	v_add_co_ci_u32_e64 v15, null, 0, v13, s2
	v_sub_co_u32 v16, s2, v5, s40
	s_wait_alu 0xf1ff
	v_subrev_co_ci_u32_e64 v11, null, 0, v11, s2
	s_delay_alu instid0(VALU_DEP_2) | instskip(SKIP_2) | instid1(VALU_DEP_3)
	v_cmp_le_u32_e32 vcc_lo, s40, v16
	s_wait_alu 0xfffd
	v_cndmask_b32_e64 v12, 0, -1, vcc_lo
	v_cmp_le_u32_e32 vcc_lo, s41, v11
	s_wait_alu 0xfffd
	v_cndmask_b32_e64 v16, 0, -1, vcc_lo
	;; [unrolled: 3-line block ×4, first 2 shown]
	v_cmp_eq_u32_e32 vcc_lo, s41, v11
	s_wait_alu 0xfffd
	v_cndmask_b32_e32 v11, v16, v12, vcc_lo
	v_add_co_u32 v12, vcc_lo, v9, 1
	s_wait_alu 0xfffd
	v_add_co_ci_u32_e64 v16, null, 0, v13, vcc_lo
	v_cmp_eq_u32_e32 vcc_lo, s41, v7
	s_wait_alu 0xfffd
	v_cndmask_b32_e32 v5, v17, v5, vcc_lo
	v_cmp_ne_u32_e32 vcc_lo, 0, v11
	s_delay_alu instid0(VALU_DEP_2) | instskip(SKIP_4) | instid1(VALU_DEP_2)
	v_cmp_ne_u32_e64 s2, 0, v5
	s_wait_alu 0xfffd
	v_cndmask_b32_e32 v5, v12, v14, vcc_lo
	v_cndmask_b32_e32 v7, v16, v15, vcc_lo
	s_wait_alu 0xf1ff
	v_cndmask_b32_e64 v5, v9, v5, s2
	s_delay_alu instid0(VALU_DEP_2) | instskip(NEXT) | instid1(VALU_DEP_2)
	v_cndmask_b32_e64 v7, v13, v7, s2
	v_xor_b32_e32 v5, v5, v3
	s_delay_alu instid0(VALU_DEP_2) | instskip(NEXT) | instid1(VALU_DEP_2)
	v_xor_b32_e32 v7, v7, v3
	v_sub_co_u32 v12, vcc_lo, v5, v3
	s_wait_alu 0xfffd
	s_delay_alu instid0(VALU_DEP_2)
	v_sub_co_ci_u32_e64 v13, null, v7, v3, vcc_lo
.LBB56_32:                              ;   in Loop: Header=BB56_22 Depth=2
	s_wait_alu 0xfffe
	s_and_not1_saveexec_b32 s2, s27
	s_cbranch_execz .LBB56_34
; %bb.33:                               ;   in Loop: Header=BB56_22 Depth=2
	v_cvt_f32_u32_e32 v3, s34
	s_sub_co_i32 s18, 0, s34
	v_mov_b32_e32 v13, v2
	s_delay_alu instid0(VALU_DEP_2) | instskip(NEXT) | instid1(TRANS32_DEP_1)
	v_rcp_iflag_f32_e32 v3, v3
	v_mul_f32_e32 v3, 0x4f7ffffe, v3
	s_delay_alu instid0(VALU_DEP_1) | instskip(SKIP_1) | instid1(VALU_DEP_1)
	v_cvt_u32_f32_e32 v3, v3
	s_wait_alu 0xfffe
	v_mul_lo_u32 v5, s18, v3
	s_delay_alu instid0(VALU_DEP_1) | instskip(NEXT) | instid1(VALU_DEP_1)
	v_mul_hi_u32 v5, v3, v5
	v_add_nc_u32_e32 v3, v3, v5
	s_delay_alu instid0(VALU_DEP_1) | instskip(NEXT) | instid1(VALU_DEP_1)
	v_mul_hi_u32 v3, v10, v3
	v_mul_lo_u32 v5, v3, s34
	v_add_nc_u32_e32 v7, 1, v3
	s_delay_alu instid0(VALU_DEP_2) | instskip(NEXT) | instid1(VALU_DEP_1)
	v_sub_nc_u32_e32 v5, v10, v5
	v_cmp_le_u32_e32 vcc_lo, s34, v5
	v_subrev_nc_u32_e32 v9, s34, v5
	s_wait_alu 0xfffd
	v_cndmask_b32_e32 v3, v3, v7, vcc_lo
	s_delay_alu instid0(VALU_DEP_1) | instskip(NEXT) | instid1(VALU_DEP_3)
	v_add_nc_u32_e32 v7, 1, v3
	v_cndmask_b32_e32 v5, v5, v9, vcc_lo
	s_delay_alu instid0(VALU_DEP_1) | instskip(SKIP_1) | instid1(VALU_DEP_3)
	v_cmp_le_u32_e32 vcc_lo, s34, v5
	s_wait_alu 0xfffd
	v_cndmask_b32_e32 v12, v3, v7, vcc_lo
.LBB56_34:                              ;   in Loop: Header=BB56_22 Depth=2
	s_wait_alu 0xfffe
	s_or_b32 exec_lo, exec_lo, s2
	s_add_co_i32 s18, s26, 4
	s_add_nc_u64 s[38:39], s[0:1], s[38:39]
	s_wait_alu 0xfffe
	s_lshl_b64 s[40:41], s[18:19], 2
                                        ; implicit-def: $vgpr14_vgpr15
	s_mov_b32 s2, exec_lo
	s_wait_alu 0xfffe
	s_add_nc_u64 s[36:37], s[10:11], s[40:41]
	s_clause 0x1
	s_load_b32 s31, s[38:39], 0x6c
	s_load_b32 s36, s[36:37], 0x8
	s_wait_kmcnt 0x0
	s_ashr_i32 s37, s36, 31
	s_wait_alu 0xfffe
	v_or_b32_e32 v3, s37, v13
	s_delay_alu instid0(VALU_DEP_1)
	v_cmpx_ne_u64_e32 0, v[2:3]
	s_xor_b32 s27, exec_lo, s2
	s_cbranch_execz .LBB56_36
; %bb.35:                               ;   in Loop: Header=BB56_22 Depth=2
	s_ashr_i32 s38, s37, 31
	v_ashrrev_i32_e32 v3, 31, v13
	s_wait_alu 0xfffe
	s_mov_b32 s39, s38
	s_wait_alu 0xfffe
	s_add_nc_u64 s[42:43], s[36:37], s[38:39]
	v_add_co_u32 v5, vcc_lo, v12, v3
	s_wait_alu 0xfffe
	s_xor_b64 s[42:43], s[42:43], s[38:39]
	s_wait_alu 0xfffd
	v_add_co_ci_u32_e64 v7, null, v13, v3, vcc_lo
	s_wait_alu 0xfffe
	s_cvt_f32_u32 s2, s42
	s_cvt_f32_u32 s18, s43
	s_sub_nc_u64 s[46:47], 0, s[42:43]
	v_xor_b32_e32 v5, v5, v3
	v_xor_b32_e32 v7, v7, v3
	s_wait_alu 0xfffe
	s_fmamk_f32 s2, s18, 0x4f800000, s2
	v_xor_b32_e32 v3, s38, v3
	s_wait_alu 0xfffe
	s_delay_alu instid0(SALU_CYCLE_1) | instskip(NEXT) | instid1(TRANS32_DEP_1)
	v_s_rcp_f32 s2, s2
	s_mul_f32 s2, s2, 0x5f7ffffc
	s_wait_alu 0xfffe
	s_delay_alu instid0(SALU_CYCLE_2) | instskip(SKIP_1) | instid1(SALU_CYCLE_2)
	s_mul_f32 s18, s2, 0x2f800000
	s_wait_alu 0xfffe
	s_trunc_f32 s18, s18
	s_wait_alu 0xfffe
	s_delay_alu instid0(SALU_CYCLE_2) | instskip(SKIP_2) | instid1(SALU_CYCLE_1)
	s_fmamk_f32 s2, s18, 0xcf800000, s2
	s_cvt_u32_f32 s45, s18
	s_wait_alu 0xfffe
	s_cvt_u32_f32 s44, s2
	s_wait_alu 0xfffe
	s_delay_alu instid0(SALU_CYCLE_2)
	s_mul_u64 s[48:49], s[46:47], s[44:45]
	s_wait_alu 0xfffe
	s_mul_hi_u32 s51, s44, s49
	s_mul_i32 s50, s44, s49
	s_mul_hi_u32 s18, s44, s48
	s_mul_i32 s35, s45, s48
	s_wait_alu 0xfffe
	s_add_nc_u64 s[50:51], s[18:19], s[50:51]
	s_mul_hi_u32 s2, s45, s48
	s_mul_hi_u32 s37, s45, s49
	s_wait_alu 0xfffe
	s_add_co_u32 s18, s50, s35
	s_add_co_ci_u32 s18, s51, s2
	s_mul_i32 s48, s45, s49
	s_add_co_ci_u32 s49, s37, 0
	s_wait_alu 0xfffe
	s_add_nc_u64 s[48:49], s[18:19], s[48:49]
	s_wait_alu 0xfffe
	s_add_co_u32 s44, s44, s48
	s_cselect_b32 s2, -1, 0
	s_wait_alu 0xfffe
	s_cmp_lg_u32 s2, 0
	s_add_co_ci_u32 s45, s45, s49
	s_wait_alu 0xfffe
	s_mul_u64 s[46:47], s[46:47], s[44:45]
	s_wait_alu 0xfffe
	s_mul_hi_u32 s49, s44, s47
	s_mul_i32 s48, s44, s47
	s_mul_hi_u32 s18, s44, s46
	s_mul_i32 s35, s45, s46
	s_wait_alu 0xfffe
	s_add_nc_u64 s[48:49], s[18:19], s[48:49]
	s_mul_hi_u32 s2, s45, s46
	s_mul_hi_u32 s37, s45, s47
	s_wait_alu 0xfffe
	s_add_co_u32 s18, s48, s35
	s_add_co_ci_u32 s18, s49, s2
	s_mul_i32 s46, s45, s47
	s_add_co_ci_u32 s47, s37, 0
	s_wait_alu 0xfffe
	s_add_nc_u64 s[46:47], s[18:19], s[46:47]
	s_wait_alu 0xfffe
	s_add_co_u32 s2, s44, s46
	s_cselect_b32 s18, -1, 0
	s_wait_alu 0xfffe
	v_mul_hi_u32 v9, v5, s2
	s_cmp_lg_u32 s18, 0
	v_mad_co_u64_u32 v[15:16], null, v7, s2, 0
	s_add_co_ci_u32 s18, s45, s47
	s_wait_alu 0xfffe
	v_mad_co_u64_u32 v[13:14], null, v5, s18, 0
	v_mad_co_u64_u32 v[17:18], null, v7, s18, 0
	s_delay_alu instid0(VALU_DEP_2) | instskip(SKIP_1) | instid1(VALU_DEP_3)
	v_add_co_u32 v9, vcc_lo, v9, v13
	s_wait_alu 0xfffd
	v_add_co_ci_u32_e64 v11, null, 0, v14, vcc_lo
	s_delay_alu instid0(VALU_DEP_2) | instskip(SKIP_1) | instid1(VALU_DEP_2)
	v_add_co_u32 v9, vcc_lo, v9, v15
	s_wait_alu 0xfffd
	v_add_co_ci_u32_e32 v9, vcc_lo, v11, v16, vcc_lo
	s_wait_alu 0xfffd
	v_add_co_ci_u32_e32 v11, vcc_lo, 0, v18, vcc_lo
	s_delay_alu instid0(VALU_DEP_2) | instskip(SKIP_1) | instid1(VALU_DEP_2)
	v_add_co_u32 v9, vcc_lo, v9, v17
	s_wait_alu 0xfffd
	v_add_co_ci_u32_e64 v11, null, 0, v11, vcc_lo
	s_delay_alu instid0(VALU_DEP_2) | instskip(SKIP_1) | instid1(VALU_DEP_3)
	v_mul_lo_u32 v15, s43, v9
	v_mad_co_u64_u32 v[13:14], null, s42, v9, 0
	v_mul_lo_u32 v16, s42, v11
	s_delay_alu instid0(VALU_DEP_2) | instskip(NEXT) | instid1(VALU_DEP_2)
	v_sub_co_u32 v5, vcc_lo, v5, v13
	v_add3_u32 v14, v14, v16, v15
	s_delay_alu instid0(VALU_DEP_1) | instskip(SKIP_2) | instid1(VALU_DEP_2)
	v_sub_nc_u32_e32 v15, v7, v14
	s_wait_alu 0xfffd
	v_sub_co_ci_u32_e64 v7, null, v7, v14, vcc_lo
	v_subrev_co_ci_u32_e64 v13, null, s43, v15, vcc_lo
	v_add_co_u32 v15, s2, v9, 2
	s_wait_alu 0xf1ff
	v_add_co_ci_u32_e64 v16, null, 0, v11, s2
	v_sub_co_u32 v17, s2, v5, s42
	s_wait_alu 0xf1ff
	v_subrev_co_ci_u32_e64 v13, null, 0, v13, s2
	s_delay_alu instid0(VALU_DEP_2) | instskip(SKIP_2) | instid1(VALU_DEP_3)
	v_cmp_le_u32_e32 vcc_lo, s42, v17
	s_wait_alu 0xfffd
	v_cndmask_b32_e64 v14, 0, -1, vcc_lo
	v_cmp_le_u32_e32 vcc_lo, s43, v13
	s_wait_alu 0xfffd
	v_cndmask_b32_e64 v17, 0, -1, vcc_lo
	;; [unrolled: 3-line block ×4, first 2 shown]
	v_cmp_eq_u32_e32 vcc_lo, s43, v13
	s_wait_alu 0xfffd
	v_cndmask_b32_e32 v13, v17, v14, vcc_lo
	v_add_co_u32 v14, vcc_lo, v9, 1
	s_wait_alu 0xfffd
	v_add_co_ci_u32_e64 v17, null, 0, v11, vcc_lo
	v_cmp_eq_u32_e32 vcc_lo, s43, v7
	s_wait_alu 0xfffd
	v_cndmask_b32_e32 v5, v18, v5, vcc_lo
	v_cmp_ne_u32_e32 vcc_lo, 0, v13
	s_delay_alu instid0(VALU_DEP_2) | instskip(SKIP_4) | instid1(VALU_DEP_2)
	v_cmp_ne_u32_e64 s2, 0, v5
	s_wait_alu 0xfffd
	v_cndmask_b32_e32 v5, v14, v15, vcc_lo
	v_cndmask_b32_e32 v7, v17, v16, vcc_lo
	s_wait_alu 0xf1ff
	v_cndmask_b32_e64 v5, v9, v5, s2
	s_delay_alu instid0(VALU_DEP_2) | instskip(NEXT) | instid1(VALU_DEP_2)
	v_cndmask_b32_e64 v7, v11, v7, s2
	v_xor_b32_e32 v5, v5, v3
	s_delay_alu instid0(VALU_DEP_2) | instskip(NEXT) | instid1(VALU_DEP_2)
	v_xor_b32_e32 v7, v7, v3
	v_sub_co_u32 v14, vcc_lo, v5, v3
	s_wait_alu 0xfffd
	s_delay_alu instid0(VALU_DEP_2)
	v_sub_co_ci_u32_e64 v15, null, v7, v3, vcc_lo
.LBB56_36:                              ;   in Loop: Header=BB56_22 Depth=2
	s_wait_alu 0xfffe
	s_and_not1_saveexec_b32 s2, s27
	s_cbranch_execz .LBB56_38
; %bb.37:                               ;   in Loop: Header=BB56_22 Depth=2
	v_cvt_f32_u32_e32 v3, s36
	s_sub_co_i32 s18, 0, s36
	v_mov_b32_e32 v15, v2
	s_delay_alu instid0(VALU_DEP_2) | instskip(NEXT) | instid1(TRANS32_DEP_1)
	v_rcp_iflag_f32_e32 v3, v3
	v_mul_f32_e32 v3, 0x4f7ffffe, v3
	s_delay_alu instid0(VALU_DEP_1) | instskip(SKIP_1) | instid1(VALU_DEP_1)
	v_cvt_u32_f32_e32 v3, v3
	s_wait_alu 0xfffe
	v_mul_lo_u32 v5, s18, v3
	s_delay_alu instid0(VALU_DEP_1) | instskip(NEXT) | instid1(VALU_DEP_1)
	v_mul_hi_u32 v5, v3, v5
	v_add_nc_u32_e32 v3, v3, v5
	s_delay_alu instid0(VALU_DEP_1) | instskip(NEXT) | instid1(VALU_DEP_1)
	v_mul_hi_u32 v3, v12, v3
	v_mul_lo_u32 v5, v3, s36
	v_add_nc_u32_e32 v7, 1, v3
	s_delay_alu instid0(VALU_DEP_2) | instskip(NEXT) | instid1(VALU_DEP_1)
	v_sub_nc_u32_e32 v5, v12, v5
	v_cmp_le_u32_e32 vcc_lo, s36, v5
	v_subrev_nc_u32_e32 v9, s36, v5
	s_wait_alu 0xfffd
	v_cndmask_b32_e32 v3, v3, v7, vcc_lo
	s_delay_alu instid0(VALU_DEP_1) | instskip(NEXT) | instid1(VALU_DEP_3)
	v_add_nc_u32_e32 v7, 1, v3
	v_cndmask_b32_e32 v5, v5, v9, vcc_lo
	s_delay_alu instid0(VALU_DEP_1) | instskip(SKIP_1) | instid1(VALU_DEP_3)
	v_cmp_le_u32_e32 vcc_lo, s36, v5
	s_wait_alu 0xfffd
	v_cndmask_b32_e32 v14, v3, v7, vcc_lo
.LBB56_38:                              ;   in Loop: Header=BB56_22 Depth=2
	s_wait_alu 0xfffe
	s_or_b32 exec_lo, exec_lo, s2
	s_add_co_i32 s18, s26, 3
	s_add_nc_u64 s[40:41], s[0:1], s[40:41]
	s_wait_alu 0xfffe
	s_lshl_b64 s[42:43], s[18:19], 2
                                        ; implicit-def: $vgpr16_vgpr17
	s_mov_b32 s2, exec_lo
	s_wait_alu 0xfffe
	s_add_nc_u64 s[38:39], s[10:11], s[42:43]
	s_clause 0x1
	s_load_b32 s35, s[40:41], 0x6c
	s_load_b32 s38, s[38:39], 0x8
	s_wait_kmcnt 0x0
	s_ashr_i32 s39, s38, 31
	s_wait_alu 0xfffe
	v_or_b32_e32 v3, s39, v15
	s_delay_alu instid0(VALU_DEP_1)
	v_cmpx_ne_u64_e32 0, v[2:3]
	s_xor_b32 s27, exec_lo, s2
	s_cbranch_execz .LBB56_40
; %bb.39:                               ;   in Loop: Header=BB56_22 Depth=2
	s_ashr_i32 s40, s39, 31
	v_ashrrev_i32_e32 v3, 31, v15
	s_wait_alu 0xfffe
	s_mov_b32 s41, s40
	s_wait_alu 0xfffe
	s_add_nc_u64 s[44:45], s[38:39], s[40:41]
	v_add_co_u32 v5, vcc_lo, v14, v3
	s_wait_alu 0xfffe
	s_xor_b64 s[44:45], s[44:45], s[40:41]
	s_wait_alu 0xfffd
	v_add_co_ci_u32_e64 v7, null, v15, v3, vcc_lo
	s_wait_alu 0xfffe
	s_cvt_f32_u32 s2, s44
	s_cvt_f32_u32 s18, s45
	s_sub_nc_u64 s[48:49], 0, s[44:45]
	v_xor_b32_e32 v5, v5, v3
	v_xor_b32_e32 v7, v7, v3
	s_wait_alu 0xfffe
	s_fmamk_f32 s2, s18, 0x4f800000, s2
	v_xor_b32_e32 v3, s40, v3
	s_wait_alu 0xfffe
	s_delay_alu instid0(SALU_CYCLE_1) | instskip(NEXT) | instid1(TRANS32_DEP_1)
	v_s_rcp_f32 s2, s2
	s_mul_f32 s2, s2, 0x5f7ffffc
	s_wait_alu 0xfffe
	s_delay_alu instid0(SALU_CYCLE_2) | instskip(SKIP_1) | instid1(SALU_CYCLE_2)
	s_mul_f32 s18, s2, 0x2f800000
	s_wait_alu 0xfffe
	s_trunc_f32 s18, s18
	s_wait_alu 0xfffe
	s_delay_alu instid0(SALU_CYCLE_2) | instskip(SKIP_2) | instid1(SALU_CYCLE_1)
	s_fmamk_f32 s2, s18, 0xcf800000, s2
	s_cvt_u32_f32 s47, s18
	s_wait_alu 0xfffe
	s_cvt_u32_f32 s46, s2
	s_wait_alu 0xfffe
	s_delay_alu instid0(SALU_CYCLE_2)
	s_mul_u64 s[50:51], s[48:49], s[46:47]
	s_wait_alu 0xfffe
	s_mul_hi_u32 s59, s46, s51
	s_mul_i32 s58, s46, s51
	s_mul_hi_u32 s18, s46, s50
	s_mul_i32 s37, s47, s50
	s_wait_alu 0xfffe
	s_add_nc_u64 s[58:59], s[18:19], s[58:59]
	s_mul_hi_u32 s2, s47, s50
	s_mul_hi_u32 s39, s47, s51
	s_add_co_u32 s18, s58, s37
	s_wait_alu 0xfffe
	s_add_co_ci_u32 s18, s59, s2
	s_mul_i32 s50, s47, s51
	s_add_co_ci_u32 s51, s39, 0
	s_wait_alu 0xfffe
	s_add_nc_u64 s[50:51], s[18:19], s[50:51]
	s_wait_alu 0xfffe
	s_add_co_u32 s46, s46, s50
	s_cselect_b32 s2, -1, 0
	s_wait_alu 0xfffe
	s_cmp_lg_u32 s2, 0
	s_add_co_ci_u32 s47, s47, s51
	s_wait_alu 0xfffe
	s_mul_u64 s[48:49], s[48:49], s[46:47]
	s_wait_alu 0xfffe
	s_mul_hi_u32 s51, s46, s49
	s_mul_i32 s50, s46, s49
	s_mul_hi_u32 s18, s46, s48
	s_mul_i32 s37, s47, s48
	s_wait_alu 0xfffe
	s_add_nc_u64 s[50:51], s[18:19], s[50:51]
	s_mul_hi_u32 s2, s47, s48
	s_mul_hi_u32 s39, s47, s49
	s_wait_alu 0xfffe
	s_add_co_u32 s18, s50, s37
	s_add_co_ci_u32 s18, s51, s2
	s_mul_i32 s48, s47, s49
	s_add_co_ci_u32 s49, s39, 0
	s_wait_alu 0xfffe
	s_add_nc_u64 s[48:49], s[18:19], s[48:49]
	s_wait_alu 0xfffe
	s_add_co_u32 s2, s46, s48
	s_cselect_b32 s18, -1, 0
	s_wait_alu 0xfffe
	v_mul_hi_u32 v9, v5, s2
	s_cmp_lg_u32 s18, 0
	v_mad_co_u64_u32 v[17:18], null, v7, s2, 0
	s_add_co_ci_u32 s18, s47, s49
	s_wait_alu 0xfffe
	v_mad_co_u64_u32 v[15:16], null, v5, s18, 0
	v_mad_co_u64_u32 v[19:20], null, v7, s18, 0
	s_delay_alu instid0(VALU_DEP_2) | instskip(SKIP_1) | instid1(VALU_DEP_3)
	v_add_co_u32 v9, vcc_lo, v9, v15
	s_wait_alu 0xfffd
	v_add_co_ci_u32_e64 v11, null, 0, v16, vcc_lo
	s_delay_alu instid0(VALU_DEP_2) | instskip(SKIP_1) | instid1(VALU_DEP_2)
	v_add_co_u32 v9, vcc_lo, v9, v17
	s_wait_alu 0xfffd
	v_add_co_ci_u32_e32 v9, vcc_lo, v11, v18, vcc_lo
	s_wait_alu 0xfffd
	v_add_co_ci_u32_e32 v11, vcc_lo, 0, v20, vcc_lo
	s_delay_alu instid0(VALU_DEP_2) | instskip(SKIP_1) | instid1(VALU_DEP_2)
	v_add_co_u32 v9, vcc_lo, v9, v19
	s_wait_alu 0xfffd
	v_add_co_ci_u32_e64 v11, null, 0, v11, vcc_lo
	s_delay_alu instid0(VALU_DEP_2) | instskip(SKIP_1) | instid1(VALU_DEP_3)
	v_mul_lo_u32 v13, s45, v9
	v_mad_co_u64_u32 v[15:16], null, s44, v9, 0
	v_mul_lo_u32 v17, s44, v11
	s_delay_alu instid0(VALU_DEP_2) | instskip(NEXT) | instid1(VALU_DEP_2)
	v_sub_co_u32 v5, vcc_lo, v5, v15
	v_add3_u32 v13, v16, v17, v13
	s_delay_alu instid0(VALU_DEP_1) | instskip(SKIP_2) | instid1(VALU_DEP_2)
	v_sub_nc_u32_e32 v16, v7, v13
	s_wait_alu 0xfffd
	v_sub_co_ci_u32_e64 v7, null, v7, v13, vcc_lo
	v_subrev_co_ci_u32_e64 v15, null, s45, v16, vcc_lo
	v_add_co_u32 v16, s2, v9, 2
	s_wait_alu 0xf1ff
	v_add_co_ci_u32_e64 v17, null, 0, v11, s2
	v_sub_co_u32 v18, s2, v5, s44
	s_wait_alu 0xf1ff
	v_subrev_co_ci_u32_e64 v15, null, 0, v15, s2
	s_delay_alu instid0(VALU_DEP_2) | instskip(SKIP_2) | instid1(VALU_DEP_3)
	v_cmp_le_u32_e32 vcc_lo, s44, v18
	s_wait_alu 0xfffd
	v_cndmask_b32_e64 v13, 0, -1, vcc_lo
	v_cmp_le_u32_e32 vcc_lo, s45, v15
	s_wait_alu 0xfffd
	v_cndmask_b32_e64 v18, 0, -1, vcc_lo
	;; [unrolled: 3-line block ×4, first 2 shown]
	v_cmp_eq_u32_e32 vcc_lo, s45, v15
	s_wait_alu 0xfffd
	v_cndmask_b32_e32 v13, v18, v13, vcc_lo
	v_add_co_u32 v15, vcc_lo, v9, 1
	s_wait_alu 0xfffd
	v_add_co_ci_u32_e64 v18, null, 0, v11, vcc_lo
	v_cmp_eq_u32_e32 vcc_lo, s45, v7
	s_wait_alu 0xfffd
	v_cndmask_b32_e32 v5, v19, v5, vcc_lo
	v_cmp_ne_u32_e32 vcc_lo, 0, v13
	s_delay_alu instid0(VALU_DEP_2) | instskip(SKIP_4) | instid1(VALU_DEP_2)
	v_cmp_ne_u32_e64 s2, 0, v5
	s_wait_alu 0xfffd
	v_cndmask_b32_e32 v5, v15, v16, vcc_lo
	v_cndmask_b32_e32 v7, v18, v17, vcc_lo
	s_wait_alu 0xf1ff
	v_cndmask_b32_e64 v5, v9, v5, s2
	s_delay_alu instid0(VALU_DEP_2) | instskip(NEXT) | instid1(VALU_DEP_2)
	v_cndmask_b32_e64 v7, v11, v7, s2
	v_xor_b32_e32 v5, v5, v3
	s_delay_alu instid0(VALU_DEP_2) | instskip(NEXT) | instid1(VALU_DEP_2)
	v_xor_b32_e32 v7, v7, v3
	v_sub_co_u32 v16, vcc_lo, v5, v3
	s_wait_alu 0xfffd
	s_delay_alu instid0(VALU_DEP_2)
	v_sub_co_ci_u32_e64 v17, null, v7, v3, vcc_lo
.LBB56_40:                              ;   in Loop: Header=BB56_22 Depth=2
	s_wait_alu 0xfffe
	s_and_not1_saveexec_b32 s2, s27
	s_cbranch_execz .LBB56_42
; %bb.41:                               ;   in Loop: Header=BB56_22 Depth=2
	v_cvt_f32_u32_e32 v3, s38
	s_sub_co_i32 s18, 0, s38
	v_mov_b32_e32 v17, v2
	s_delay_alu instid0(VALU_DEP_2) | instskip(NEXT) | instid1(TRANS32_DEP_1)
	v_rcp_iflag_f32_e32 v3, v3
	v_mul_f32_e32 v3, 0x4f7ffffe, v3
	s_delay_alu instid0(VALU_DEP_1) | instskip(SKIP_1) | instid1(VALU_DEP_1)
	v_cvt_u32_f32_e32 v3, v3
	s_wait_alu 0xfffe
	v_mul_lo_u32 v5, s18, v3
	s_delay_alu instid0(VALU_DEP_1) | instskip(NEXT) | instid1(VALU_DEP_1)
	v_mul_hi_u32 v5, v3, v5
	v_add_nc_u32_e32 v3, v3, v5
	s_delay_alu instid0(VALU_DEP_1) | instskip(NEXT) | instid1(VALU_DEP_1)
	v_mul_hi_u32 v3, v14, v3
	v_mul_lo_u32 v5, v3, s38
	v_add_nc_u32_e32 v7, 1, v3
	s_delay_alu instid0(VALU_DEP_2) | instskip(NEXT) | instid1(VALU_DEP_1)
	v_sub_nc_u32_e32 v5, v14, v5
	v_cmp_le_u32_e32 vcc_lo, s38, v5
	v_subrev_nc_u32_e32 v9, s38, v5
	s_wait_alu 0xfffd
	v_cndmask_b32_e32 v3, v3, v7, vcc_lo
	s_delay_alu instid0(VALU_DEP_1) | instskip(NEXT) | instid1(VALU_DEP_3)
	v_add_nc_u32_e32 v7, 1, v3
	v_cndmask_b32_e32 v5, v5, v9, vcc_lo
	s_delay_alu instid0(VALU_DEP_1) | instskip(SKIP_1) | instid1(VALU_DEP_3)
	v_cmp_le_u32_e32 vcc_lo, s38, v5
	s_wait_alu 0xfffd
	v_cndmask_b32_e32 v16, v3, v7, vcc_lo
.LBB56_42:                              ;   in Loop: Header=BB56_22 Depth=2
	s_wait_alu 0xfffe
	s_or_b32 exec_lo, exec_lo, s2
	s_add_co_i32 s18, s26, 2
	s_add_nc_u64 s[42:43], s[0:1], s[42:43]
	s_wait_alu 0xfffe
	s_lshl_b64 s[44:45], s[18:19], 2
                                        ; implicit-def: $vgpr18_vgpr19
	s_mov_b32 s2, exec_lo
	s_wait_alu 0xfffe
	s_add_nc_u64 s[40:41], s[10:11], s[44:45]
	s_clause 0x1
	s_load_b32 s37, s[42:43], 0x6c
	s_load_b32 s40, s[40:41], 0x8
	s_wait_kmcnt 0x0
	s_ashr_i32 s41, s40, 31
	s_wait_alu 0xfffe
	v_or_b32_e32 v3, s41, v17
	s_delay_alu instid0(VALU_DEP_1)
	v_cmpx_ne_u64_e32 0, v[2:3]
	s_xor_b32 s27, exec_lo, s2
	s_cbranch_execz .LBB56_44
; %bb.43:                               ;   in Loop: Header=BB56_22 Depth=2
	s_ashr_i32 s42, s41, 31
	v_ashrrev_i32_e32 v3, 31, v17
	s_wait_alu 0xfffe
	s_mov_b32 s43, s42
	s_wait_alu 0xfffe
	s_add_nc_u64 s[46:47], s[40:41], s[42:43]
	v_add_co_u32 v5, vcc_lo, v16, v3
	s_wait_alu 0xfffe
	s_xor_b64 s[46:47], s[46:47], s[42:43]
	s_wait_alu 0xfffd
	v_add_co_ci_u32_e64 v7, null, v17, v3, vcc_lo
	s_wait_alu 0xfffe
	s_cvt_f32_u32 s2, s46
	s_cvt_f32_u32 s18, s47
	s_sub_nc_u64 s[50:51], 0, s[46:47]
	v_xor_b32_e32 v5, v5, v3
	v_xor_b32_e32 v7, v7, v3
	s_wait_alu 0xfffe
	s_fmamk_f32 s2, s18, 0x4f800000, s2
	v_xor_b32_e32 v3, s42, v3
	s_wait_alu 0xfffe
	s_delay_alu instid0(SALU_CYCLE_1) | instskip(NEXT) | instid1(TRANS32_DEP_1)
	v_s_rcp_f32 s2, s2
	s_mul_f32 s2, s2, 0x5f7ffffc
	s_wait_alu 0xfffe
	s_delay_alu instid0(SALU_CYCLE_2) | instskip(SKIP_1) | instid1(SALU_CYCLE_2)
	s_mul_f32 s18, s2, 0x2f800000
	s_wait_alu 0xfffe
	s_trunc_f32 s18, s18
	s_wait_alu 0xfffe
	s_delay_alu instid0(SALU_CYCLE_2) | instskip(SKIP_2) | instid1(SALU_CYCLE_1)
	s_fmamk_f32 s2, s18, 0xcf800000, s2
	s_cvt_u32_f32 s49, s18
	s_wait_alu 0xfffe
	s_cvt_u32_f32 s48, s2
	s_wait_alu 0xfffe
	s_delay_alu instid0(SALU_CYCLE_2) | instskip(NEXT) | instid1(SALU_CYCLE_1)
	s_mul_u64 s[58:59], s[50:51], s[48:49]
	s_mul_hi_u32 s61, s48, s59
	s_mul_i32 s60, s48, s59
	s_mul_hi_u32 s18, s48, s58
	s_mul_i32 s39, s49, s58
	s_wait_alu 0xfffe
	s_add_nc_u64 s[60:61], s[18:19], s[60:61]
	s_mul_hi_u32 s2, s49, s58
	s_mul_hi_u32 s41, s49, s59
	s_add_co_u32 s18, s60, s39
	s_wait_alu 0xfffe
	s_add_co_ci_u32 s18, s61, s2
	s_mul_i32 s58, s49, s59
	s_add_co_ci_u32 s59, s41, 0
	s_wait_alu 0xfffe
	s_add_nc_u64 s[58:59], s[18:19], s[58:59]
	s_delay_alu instid0(SALU_CYCLE_1)
	s_add_co_u32 s48, s48, s58
	s_cselect_b32 s2, -1, 0
	s_wait_alu 0xfffe
	s_cmp_lg_u32 s2, 0
	s_add_co_ci_u32 s49, s49, s59
	s_wait_alu 0xfffe
	s_mul_u64 s[50:51], s[50:51], s[48:49]
	s_wait_alu 0xfffe
	s_mul_hi_u32 s59, s48, s51
	s_mul_i32 s58, s48, s51
	s_mul_hi_u32 s18, s48, s50
	s_mul_i32 s39, s49, s50
	s_wait_alu 0xfffe
	s_add_nc_u64 s[58:59], s[18:19], s[58:59]
	s_mul_hi_u32 s2, s49, s50
	s_mul_hi_u32 s41, s49, s51
	s_add_co_u32 s18, s58, s39
	s_wait_alu 0xfffe
	s_add_co_ci_u32 s18, s59, s2
	s_mul_i32 s50, s49, s51
	s_add_co_ci_u32 s51, s41, 0
	s_wait_alu 0xfffe
	s_add_nc_u64 s[50:51], s[18:19], s[50:51]
	s_wait_alu 0xfffe
	s_add_co_u32 s2, s48, s50
	s_cselect_b32 s18, -1, 0
	s_wait_alu 0xfffe
	v_mul_hi_u32 v9, v5, s2
	s_cmp_lg_u32 s18, 0
	v_mad_co_u64_u32 v[19:20], null, v7, s2, 0
	s_add_co_ci_u32 s18, s49, s51
	s_wait_alu 0xfffe
	v_mad_co_u64_u32 v[17:18], null, v5, s18, 0
	v_mad_co_u64_u32 v[21:22], null, v7, s18, 0
	s_delay_alu instid0(VALU_DEP_2) | instskip(SKIP_1) | instid1(VALU_DEP_3)
	v_add_co_u32 v9, vcc_lo, v9, v17
	s_wait_alu 0xfffd
	v_add_co_ci_u32_e64 v11, null, 0, v18, vcc_lo
	s_delay_alu instid0(VALU_DEP_2) | instskip(SKIP_1) | instid1(VALU_DEP_2)
	v_add_co_u32 v9, vcc_lo, v9, v19
	s_wait_alu 0xfffd
	v_add_co_ci_u32_e32 v9, vcc_lo, v11, v20, vcc_lo
	s_wait_alu 0xfffd
	v_add_co_ci_u32_e32 v11, vcc_lo, 0, v22, vcc_lo
	s_delay_alu instid0(VALU_DEP_2) | instskip(SKIP_1) | instid1(VALU_DEP_2)
	v_add_co_u32 v9, vcc_lo, v9, v21
	s_wait_alu 0xfffd
	v_add_co_ci_u32_e64 v11, null, 0, v11, vcc_lo
	s_delay_alu instid0(VALU_DEP_2) | instskip(SKIP_1) | instid1(VALU_DEP_3)
	v_mul_lo_u32 v13, s47, v9
	v_mad_co_u64_u32 v[17:18], null, s46, v9, 0
	v_mul_lo_u32 v15, s46, v11
	s_delay_alu instid0(VALU_DEP_2) | instskip(NEXT) | instid1(VALU_DEP_2)
	v_sub_co_u32 v5, vcc_lo, v5, v17
	v_add3_u32 v13, v18, v15, v13
	v_add_co_u32 v17, s2, v9, 2
	s_wait_alu 0xf1ff
	v_add_co_ci_u32_e64 v18, null, 0, v11, s2
	s_delay_alu instid0(VALU_DEP_3) | instskip(SKIP_3) | instid1(VALU_DEP_3)
	v_sub_nc_u32_e32 v15, v7, v13
	v_sub_co_u32 v19, s2, v5, s46
	s_wait_alu 0xfffd
	v_sub_co_ci_u32_e64 v7, null, v7, v13, vcc_lo
	v_subrev_co_ci_u32_e64 v15, null, s47, v15, vcc_lo
	s_delay_alu instid0(VALU_DEP_3) | instskip(SKIP_1) | instid1(VALU_DEP_2)
	v_cmp_le_u32_e32 vcc_lo, s46, v19
	s_wait_alu 0xf1ff
	v_subrev_co_ci_u32_e64 v15, null, 0, v15, s2
	s_wait_alu 0xfffd
	v_cndmask_b32_e64 v13, 0, -1, vcc_lo
	s_delay_alu instid0(VALU_DEP_2)
	v_cmp_le_u32_e32 vcc_lo, s47, v15
	s_wait_alu 0xfffd
	v_cndmask_b32_e64 v19, 0, -1, vcc_lo
	v_cmp_le_u32_e32 vcc_lo, s46, v5
	s_wait_alu 0xfffd
	v_cndmask_b32_e64 v5, 0, -1, vcc_lo
	;; [unrolled: 3-line block ×3, first 2 shown]
	v_cmp_eq_u32_e32 vcc_lo, s47, v15
	s_wait_alu 0xfffd
	v_cndmask_b32_e32 v13, v19, v13, vcc_lo
	v_add_co_u32 v15, vcc_lo, v9, 1
	s_wait_alu 0xfffd
	v_add_co_ci_u32_e64 v19, null, 0, v11, vcc_lo
	v_cmp_eq_u32_e32 vcc_lo, s47, v7
	s_wait_alu 0xfffd
	v_cndmask_b32_e32 v5, v20, v5, vcc_lo
	v_cmp_ne_u32_e32 vcc_lo, 0, v13
	s_delay_alu instid0(VALU_DEP_2) | instskip(SKIP_4) | instid1(VALU_DEP_2)
	v_cmp_ne_u32_e64 s2, 0, v5
	s_wait_alu 0xfffd
	v_cndmask_b32_e32 v5, v15, v17, vcc_lo
	v_cndmask_b32_e32 v7, v19, v18, vcc_lo
	s_wait_alu 0xf1ff
	v_cndmask_b32_e64 v5, v9, v5, s2
	s_delay_alu instid0(VALU_DEP_2) | instskip(NEXT) | instid1(VALU_DEP_2)
	v_cndmask_b32_e64 v7, v11, v7, s2
	v_xor_b32_e32 v5, v5, v3
	s_delay_alu instid0(VALU_DEP_2) | instskip(NEXT) | instid1(VALU_DEP_2)
	v_xor_b32_e32 v7, v7, v3
	v_sub_co_u32 v18, vcc_lo, v5, v3
	s_wait_alu 0xfffd
	s_delay_alu instid0(VALU_DEP_2)
	v_sub_co_ci_u32_e64 v19, null, v7, v3, vcc_lo
.LBB56_44:                              ;   in Loop: Header=BB56_22 Depth=2
	s_wait_alu 0xfffe
	s_and_not1_saveexec_b32 s2, s27
	s_cbranch_execz .LBB56_46
; %bb.45:                               ;   in Loop: Header=BB56_22 Depth=2
	v_cvt_f32_u32_e32 v3, s40
	s_sub_co_i32 s18, 0, s40
	v_mov_b32_e32 v19, v2
	s_delay_alu instid0(VALU_DEP_2) | instskip(NEXT) | instid1(TRANS32_DEP_1)
	v_rcp_iflag_f32_e32 v3, v3
	v_mul_f32_e32 v3, 0x4f7ffffe, v3
	s_delay_alu instid0(VALU_DEP_1) | instskip(SKIP_1) | instid1(VALU_DEP_1)
	v_cvt_u32_f32_e32 v3, v3
	s_wait_alu 0xfffe
	v_mul_lo_u32 v5, s18, v3
	s_delay_alu instid0(VALU_DEP_1) | instskip(NEXT) | instid1(VALU_DEP_1)
	v_mul_hi_u32 v5, v3, v5
	v_add_nc_u32_e32 v3, v3, v5
	s_delay_alu instid0(VALU_DEP_1) | instskip(NEXT) | instid1(VALU_DEP_1)
	v_mul_hi_u32 v3, v16, v3
	v_mul_lo_u32 v5, v3, s40
	v_add_nc_u32_e32 v7, 1, v3
	s_delay_alu instid0(VALU_DEP_2) | instskip(NEXT) | instid1(VALU_DEP_1)
	v_sub_nc_u32_e32 v5, v16, v5
	v_cmp_le_u32_e32 vcc_lo, s40, v5
	v_subrev_nc_u32_e32 v9, s40, v5
	s_wait_alu 0xfffd
	v_cndmask_b32_e32 v3, v3, v7, vcc_lo
	s_delay_alu instid0(VALU_DEP_1) | instskip(NEXT) | instid1(VALU_DEP_3)
	v_add_nc_u32_e32 v7, 1, v3
	v_cndmask_b32_e32 v5, v5, v9, vcc_lo
	s_delay_alu instid0(VALU_DEP_1) | instskip(SKIP_1) | instid1(VALU_DEP_3)
	v_cmp_le_u32_e32 vcc_lo, s40, v5
	s_wait_alu 0xfffd
	v_cndmask_b32_e32 v18, v3, v7, vcc_lo
.LBB56_46:                              ;   in Loop: Header=BB56_22 Depth=2
	s_wait_alu 0xfffe
	s_or_b32 exec_lo, exec_lo, s2
	s_add_co_i32 s18, s26, 1
	s_add_nc_u64 s[44:45], s[0:1], s[44:45]
	s_wait_alu 0xfffe
	s_lshl_b64 s[48:49], s[18:19], 2
                                        ; implicit-def: $vgpr20_vgpr21
	s_mov_b32 s2, exec_lo
	s_wait_alu 0xfffe
	s_add_nc_u64 s[42:43], s[10:11], s[48:49]
	s_clause 0x1
	s_load_b32 s39, s[44:45], 0x6c
	s_load_b32 s42, s[42:43], 0x8
	s_wait_kmcnt 0x0
	s_ashr_i32 s43, s42, 31
	s_wait_alu 0xfffe
	v_or_b32_e32 v3, s43, v19
	s_delay_alu instid0(VALU_DEP_1)
	v_cmpx_ne_u64_e32 0, v[2:3]
	s_xor_b32 s27, exec_lo, s2
	s_cbranch_execz .LBB56_48
; %bb.47:                               ;   in Loop: Header=BB56_22 Depth=2
	s_ashr_i32 s44, s43, 31
	v_ashrrev_i32_e32 v3, 31, v19
	s_wait_alu 0xfffe
	s_mov_b32 s45, s44
	s_wait_alu 0xfffe
	s_add_nc_u64 s[46:47], s[42:43], s[44:45]
	v_add_co_u32 v5, vcc_lo, v18, v3
	s_wait_alu 0xfffe
	s_xor_b64 s[46:47], s[46:47], s[44:45]
	s_wait_alu 0xfffd
	v_add_co_ci_u32_e64 v7, null, v19, v3, vcc_lo
	s_wait_alu 0xfffe
	s_cvt_f32_u32 s2, s46
	s_cvt_f32_u32 s18, s47
	s_sub_nc_u64 s[58:59], 0, s[46:47]
	v_xor_b32_e32 v5, v5, v3
	v_xor_b32_e32 v7, v7, v3
	s_wait_alu 0xfffe
	s_fmamk_f32 s2, s18, 0x4f800000, s2
	v_xor_b32_e32 v3, s44, v3
	s_wait_alu 0xfffe
	s_delay_alu instid0(SALU_CYCLE_1) | instskip(NEXT) | instid1(TRANS32_DEP_1)
	v_s_rcp_f32 s2, s2
	s_mul_f32 s2, s2, 0x5f7ffffc
	s_wait_alu 0xfffe
	s_delay_alu instid0(SALU_CYCLE_2) | instskip(SKIP_1) | instid1(SALU_CYCLE_2)
	s_mul_f32 s18, s2, 0x2f800000
	s_wait_alu 0xfffe
	s_trunc_f32 s18, s18
	s_wait_alu 0xfffe
	s_delay_alu instid0(SALU_CYCLE_2) | instskip(SKIP_2) | instid1(SALU_CYCLE_1)
	s_fmamk_f32 s2, s18, 0xcf800000, s2
	s_cvt_u32_f32 s51, s18
	s_wait_alu 0xfffe
	s_cvt_u32_f32 s50, s2
	s_wait_alu 0xfffe
	s_delay_alu instid0(SALU_CYCLE_2) | instskip(NEXT) | instid1(SALU_CYCLE_1)
	s_mul_u64 s[60:61], s[58:59], s[50:51]
	s_mul_hi_u32 s63, s50, s61
	s_mul_i32 s62, s50, s61
	s_mul_hi_u32 s18, s50, s60
	s_mul_i32 s41, s51, s60
	s_wait_alu 0xfffe
	s_add_nc_u64 s[62:63], s[18:19], s[62:63]
	s_mul_hi_u32 s2, s51, s60
	s_mul_hi_u32 s43, s51, s61
	s_add_co_u32 s18, s62, s41
	s_wait_alu 0xfffe
	s_add_co_ci_u32 s18, s63, s2
	s_mul_i32 s60, s51, s61
	s_add_co_ci_u32 s61, s43, 0
	s_wait_alu 0xfffe
	s_add_nc_u64 s[60:61], s[18:19], s[60:61]
	s_delay_alu instid0(SALU_CYCLE_1)
	s_add_co_u32 s50, s50, s60
	s_cselect_b32 s2, -1, 0
	s_wait_alu 0xfffe
	s_cmp_lg_u32 s2, 0
	s_add_co_ci_u32 s51, s51, s61
	s_wait_alu 0xfffe
	s_mul_u64 s[58:59], s[58:59], s[50:51]
	s_delay_alu instid0(SALU_CYCLE_1)
	s_mul_hi_u32 s61, s50, s59
	s_mul_i32 s60, s50, s59
	s_mul_hi_u32 s18, s50, s58
	s_mul_i32 s41, s51, s58
	s_wait_alu 0xfffe
	s_add_nc_u64 s[60:61], s[18:19], s[60:61]
	s_mul_hi_u32 s2, s51, s58
	s_mul_hi_u32 s43, s51, s59
	s_add_co_u32 s18, s60, s41
	s_wait_alu 0xfffe
	s_add_co_ci_u32 s18, s61, s2
	s_mul_i32 s58, s51, s59
	s_add_co_ci_u32 s59, s43, 0
	s_wait_alu 0xfffe
	s_add_nc_u64 s[58:59], s[18:19], s[58:59]
	s_delay_alu instid0(SALU_CYCLE_1)
	s_add_co_u32 s2, s50, s58
	s_cselect_b32 s18, -1, 0
	s_wait_alu 0xfffe
	v_mul_hi_u32 v9, v5, s2
	s_cmp_lg_u32 s18, 0
	v_mad_co_u64_u32 v[21:22], null, v7, s2, 0
	s_add_co_ci_u32 s18, s51, s59
	s_wait_alu 0xfffe
	v_mad_co_u64_u32 v[19:20], null, v5, s18, 0
	v_mad_co_u64_u32 v[28:29], null, v7, s18, 0
	s_delay_alu instid0(VALU_DEP_2) | instskip(SKIP_1) | instid1(VALU_DEP_3)
	v_add_co_u32 v9, vcc_lo, v9, v19
	s_wait_alu 0xfffd
	v_add_co_ci_u32_e64 v11, null, 0, v20, vcc_lo
	s_delay_alu instid0(VALU_DEP_2) | instskip(SKIP_1) | instid1(VALU_DEP_2)
	v_add_co_u32 v9, vcc_lo, v9, v21
	s_wait_alu 0xfffd
	v_add_co_ci_u32_e32 v9, vcc_lo, v11, v22, vcc_lo
	s_wait_alu 0xfffd
	v_add_co_ci_u32_e32 v11, vcc_lo, 0, v29, vcc_lo
	s_delay_alu instid0(VALU_DEP_2) | instskip(SKIP_1) | instid1(VALU_DEP_2)
	v_add_co_u32 v9, vcc_lo, v9, v28
	s_wait_alu 0xfffd
	v_add_co_ci_u32_e64 v11, null, 0, v11, vcc_lo
	s_delay_alu instid0(VALU_DEP_2) | instskip(SKIP_1) | instid1(VALU_DEP_3)
	v_mul_lo_u32 v13, s47, v9
	v_mad_co_u64_u32 v[19:20], null, s46, v9, 0
	v_mul_lo_u32 v15, s46, v11
	v_add_co_u32 v17, s2, v9, 2
	s_delay_alu instid0(VALU_DEP_3) | instskip(NEXT) | instid1(VALU_DEP_3)
	v_sub_co_u32 v5, vcc_lo, v5, v19
	v_add3_u32 v13, v20, v15, v13
	s_wait_alu 0xf1ff
	v_add_co_ci_u32_e64 v19, null, 0, v11, s2
	s_delay_alu instid0(VALU_DEP_3) | instskip(NEXT) | instid1(VALU_DEP_3)
	v_sub_co_u32 v20, s2, v5, s46
	v_sub_nc_u32_e32 v15, v7, v13
	s_wait_alu 0xfffd
	v_sub_co_ci_u32_e64 v7, null, v7, v13, vcc_lo
	s_delay_alu instid0(VALU_DEP_2) | instskip(SKIP_2) | instid1(VALU_DEP_2)
	v_subrev_co_ci_u32_e64 v15, null, s47, v15, vcc_lo
	v_cmp_le_u32_e32 vcc_lo, s46, v20
	s_wait_alu 0xf1ff
	v_subrev_co_ci_u32_e64 v15, null, 0, v15, s2
	s_wait_alu 0xfffd
	v_cndmask_b32_e64 v13, 0, -1, vcc_lo
	s_delay_alu instid0(VALU_DEP_2)
	v_cmp_le_u32_e32 vcc_lo, s47, v15
	s_wait_alu 0xfffd
	v_cndmask_b32_e64 v20, 0, -1, vcc_lo
	v_cmp_le_u32_e32 vcc_lo, s46, v5
	s_wait_alu 0xfffd
	v_cndmask_b32_e64 v5, 0, -1, vcc_lo
	;; [unrolled: 3-line block ×3, first 2 shown]
	v_cmp_eq_u32_e32 vcc_lo, s47, v15
	s_wait_alu 0xfffd
	v_cndmask_b32_e32 v13, v20, v13, vcc_lo
	v_add_co_u32 v15, vcc_lo, v9, 1
	s_wait_alu 0xfffd
	v_add_co_ci_u32_e64 v20, null, 0, v11, vcc_lo
	v_cmp_eq_u32_e32 vcc_lo, s47, v7
	s_wait_alu 0xfffd
	v_cndmask_b32_e32 v5, v21, v5, vcc_lo
	v_cmp_ne_u32_e32 vcc_lo, 0, v13
	s_delay_alu instid0(VALU_DEP_2) | instskip(SKIP_4) | instid1(VALU_DEP_2)
	v_cmp_ne_u32_e64 s2, 0, v5
	s_wait_alu 0xfffd
	v_cndmask_b32_e32 v5, v15, v17, vcc_lo
	v_cndmask_b32_e32 v7, v20, v19, vcc_lo
	s_wait_alu 0xf1ff
	v_cndmask_b32_e64 v5, v9, v5, s2
	s_delay_alu instid0(VALU_DEP_2) | instskip(NEXT) | instid1(VALU_DEP_2)
	v_cndmask_b32_e64 v7, v11, v7, s2
	v_xor_b32_e32 v5, v5, v3
	s_delay_alu instid0(VALU_DEP_2) | instskip(NEXT) | instid1(VALU_DEP_2)
	v_xor_b32_e32 v7, v7, v3
	v_sub_co_u32 v20, vcc_lo, v5, v3
	s_wait_alu 0xfffd
	s_delay_alu instid0(VALU_DEP_2)
	v_sub_co_ci_u32_e64 v21, null, v7, v3, vcc_lo
.LBB56_48:                              ;   in Loop: Header=BB56_22 Depth=2
	s_wait_alu 0xfffe
	s_and_not1_saveexec_b32 s2, s27
	s_cbranch_execz .LBB56_50
; %bb.49:                               ;   in Loop: Header=BB56_22 Depth=2
	v_cvt_f32_u32_e32 v3, s42
	s_sub_co_i32 s18, 0, s42
	v_mov_b32_e32 v21, v2
	s_delay_alu instid0(VALU_DEP_2) | instskip(NEXT) | instid1(TRANS32_DEP_1)
	v_rcp_iflag_f32_e32 v3, v3
	v_mul_f32_e32 v3, 0x4f7ffffe, v3
	s_delay_alu instid0(VALU_DEP_1) | instskip(SKIP_1) | instid1(VALU_DEP_1)
	v_cvt_u32_f32_e32 v3, v3
	s_wait_alu 0xfffe
	v_mul_lo_u32 v5, s18, v3
	s_delay_alu instid0(VALU_DEP_1) | instskip(NEXT) | instid1(VALU_DEP_1)
	v_mul_hi_u32 v5, v3, v5
	v_add_nc_u32_e32 v3, v3, v5
	s_delay_alu instid0(VALU_DEP_1) | instskip(NEXT) | instid1(VALU_DEP_1)
	v_mul_hi_u32 v3, v18, v3
	v_mul_lo_u32 v5, v3, s42
	v_add_nc_u32_e32 v7, 1, v3
	s_delay_alu instid0(VALU_DEP_2) | instskip(NEXT) | instid1(VALU_DEP_1)
	v_sub_nc_u32_e32 v5, v18, v5
	v_cmp_le_u32_e32 vcc_lo, s42, v5
	v_subrev_nc_u32_e32 v9, s42, v5
	s_wait_alu 0xfffd
	v_cndmask_b32_e32 v3, v3, v7, vcc_lo
	s_delay_alu instid0(VALU_DEP_1) | instskip(NEXT) | instid1(VALU_DEP_3)
	v_add_nc_u32_e32 v7, 1, v3
	v_cndmask_b32_e32 v5, v5, v9, vcc_lo
	s_delay_alu instid0(VALU_DEP_1) | instskip(SKIP_1) | instid1(VALU_DEP_3)
	v_cmp_le_u32_e32 vcc_lo, s42, v5
	s_wait_alu 0xfffd
	v_cndmask_b32_e32 v20, v3, v7, vcc_lo
.LBB56_50:                              ;   in Loop: Header=BB56_22 Depth=2
	s_wait_alu 0xfffe
	s_or_b32 exec_lo, exec_lo, s2
	s_mov_b32 s27, s19
	s_add_nc_u64 s[48:49], s[0:1], s[48:49]
	s_wait_alu 0xfffe
	s_lshl_b64 s[46:47], s[26:27], 2
                                        ; implicit-def: $vgpr22_vgpr23
	s_mov_b32 s2, exec_lo
	s_wait_alu 0xfffe
	s_add_nc_u64 s[44:45], s[10:11], s[46:47]
	s_clause 0x1
	s_load_b32 s27, s[48:49], 0x6c
	s_load_b32 s44, s[44:45], 0x8
	s_wait_kmcnt 0x0
	s_ashr_i32 s45, s44, 31
	s_wait_alu 0xfffe
	v_or_b32_e32 v3, s45, v21
	s_delay_alu instid0(VALU_DEP_1)
	v_cmpx_ne_u64_e32 0, v[2:3]
	s_xor_b32 s41, exec_lo, s2
	s_cbranch_execz .LBB56_52
; %bb.51:                               ;   in Loop: Header=BB56_22 Depth=2
	s_ashr_i32 s48, s45, 31
	v_ashrrev_i32_e32 v3, 31, v21
	s_wait_alu 0xfffe
	s_mov_b32 s49, s48
	s_wait_alu 0xfffe
	s_add_nc_u64 s[50:51], s[44:45], s[48:49]
	v_add_co_u32 v5, vcc_lo, v20, v3
	s_wait_alu 0xfffe
	s_xor_b64 s[50:51], s[50:51], s[48:49]
	s_wait_alu 0xfffd
	v_add_co_ci_u32_e64 v7, null, v21, v3, vcc_lo
	s_wait_alu 0xfffe
	s_cvt_f32_u32 s2, s50
	s_cvt_f32_u32 s18, s51
	s_sub_nc_u64 s[60:61], 0, s[50:51]
	v_xor_b32_e32 v5, v5, v3
	v_xor_b32_e32 v7, v7, v3
	s_wait_alu 0xfffe
	s_fmamk_f32 s2, s18, 0x4f800000, s2
	v_xor_b32_e32 v3, s48, v3
	s_wait_alu 0xfffe
	s_delay_alu instid0(SALU_CYCLE_1) | instskip(NEXT) | instid1(TRANS32_DEP_1)
	v_s_rcp_f32 s2, s2
	s_mul_f32 s2, s2, 0x5f7ffffc
	s_wait_alu 0xfffe
	s_delay_alu instid0(SALU_CYCLE_2) | instskip(SKIP_1) | instid1(SALU_CYCLE_2)
	s_mul_f32 s18, s2, 0x2f800000
	s_wait_alu 0xfffe
	s_trunc_f32 s18, s18
	s_wait_alu 0xfffe
	s_delay_alu instid0(SALU_CYCLE_2) | instskip(SKIP_2) | instid1(SALU_CYCLE_1)
	s_fmamk_f32 s2, s18, 0xcf800000, s2
	s_cvt_u32_f32 s59, s18
	s_wait_alu 0xfffe
	s_cvt_u32_f32 s58, s2
	s_delay_alu instid0(SALU_CYCLE_3) | instskip(NEXT) | instid1(SALU_CYCLE_1)
	s_mul_u64 s[62:63], s[60:61], s[58:59]
	s_mul_hi_u32 s65, s58, s63
	s_mul_i32 s64, s58, s63
	s_mul_hi_u32 s18, s58, s62
	s_mul_i32 s43, s59, s62
	s_wait_alu 0xfffe
	s_add_nc_u64 s[64:65], s[18:19], s[64:65]
	s_mul_hi_u32 s2, s59, s62
	s_mul_hi_u32 s45, s59, s63
	s_add_co_u32 s18, s64, s43
	s_wait_alu 0xfffe
	s_add_co_ci_u32 s18, s65, s2
	s_mul_i32 s62, s59, s63
	s_add_co_ci_u32 s63, s45, 0
	s_wait_alu 0xfffe
	s_add_nc_u64 s[62:63], s[18:19], s[62:63]
	s_delay_alu instid0(SALU_CYCLE_1) | instskip(SKIP_4) | instid1(SALU_CYCLE_1)
	s_add_co_u32 s58, s58, s62
	s_cselect_b32 s2, -1, 0
	s_wait_alu 0xfffe
	s_cmp_lg_u32 s2, 0
	s_add_co_ci_u32 s59, s59, s63
	s_mul_u64 s[60:61], s[60:61], s[58:59]
	s_delay_alu instid0(SALU_CYCLE_1)
	s_mul_hi_u32 s63, s58, s61
	s_mul_i32 s62, s58, s61
	s_mul_hi_u32 s18, s58, s60
	s_mul_i32 s43, s59, s60
	s_wait_alu 0xfffe
	s_add_nc_u64 s[62:63], s[18:19], s[62:63]
	s_mul_hi_u32 s2, s59, s60
	s_mul_hi_u32 s45, s59, s61
	s_add_co_u32 s18, s62, s43
	s_wait_alu 0xfffe
	s_add_co_ci_u32 s18, s63, s2
	s_mul_i32 s60, s59, s61
	s_add_co_ci_u32 s61, s45, 0
	s_wait_alu 0xfffe
	s_add_nc_u64 s[60:61], s[18:19], s[60:61]
	s_delay_alu instid0(SALU_CYCLE_1)
	s_add_co_u32 s2, s58, s60
	s_cselect_b32 s18, -1, 0
	s_wait_alu 0xfffe
	v_mul_hi_u32 v9, v5, s2
	s_cmp_lg_u32 s18, 0
	v_mad_co_u64_u32 v[28:29], null, v7, s2, 0
	s_add_co_ci_u32 s18, s59, s61
	s_wait_alu 0xfffe
	v_mad_co_u64_u32 v[21:22], null, v5, s18, 0
	v_mad_co_u64_u32 v[30:31], null, v7, s18, 0
	s_delay_alu instid0(VALU_DEP_2) | instskip(SKIP_1) | instid1(VALU_DEP_3)
	v_add_co_u32 v9, vcc_lo, v9, v21
	s_wait_alu 0xfffd
	v_add_co_ci_u32_e64 v11, null, 0, v22, vcc_lo
	s_delay_alu instid0(VALU_DEP_2) | instskip(SKIP_1) | instid1(VALU_DEP_2)
	v_add_co_u32 v9, vcc_lo, v9, v28
	s_wait_alu 0xfffd
	v_add_co_ci_u32_e32 v9, vcc_lo, v11, v29, vcc_lo
	s_wait_alu 0xfffd
	v_add_co_ci_u32_e32 v11, vcc_lo, 0, v31, vcc_lo
	s_delay_alu instid0(VALU_DEP_2) | instskip(SKIP_1) | instid1(VALU_DEP_2)
	v_add_co_u32 v9, vcc_lo, v9, v30
	s_wait_alu 0xfffd
	v_add_co_ci_u32_e64 v11, null, 0, v11, vcc_lo
	s_delay_alu instid0(VALU_DEP_2) | instskip(SKIP_1) | instid1(VALU_DEP_3)
	v_mul_lo_u32 v13, s51, v9
	v_mad_co_u64_u32 v[21:22], null, s50, v9, 0
	v_mul_lo_u32 v15, s50, v11
	v_add_co_u32 v17, s2, v9, 2
	s_wait_alu 0xf1ff
	v_add_co_ci_u32_e64 v19, null, 0, v11, s2
	s_delay_alu instid0(VALU_DEP_4) | instskip(NEXT) | instid1(VALU_DEP_4)
	v_sub_co_u32 v5, vcc_lo, v5, v21
	v_add3_u32 v13, v22, v15, v13
	s_delay_alu instid0(VALU_DEP_2) | instskip(NEXT) | instid1(VALU_DEP_2)
	v_sub_co_u32 v21, s2, v5, s50
	v_sub_nc_u32_e32 v15, v7, v13
	s_wait_alu 0xfffd
	v_sub_co_ci_u32_e64 v7, null, v7, v13, vcc_lo
	s_delay_alu instid0(VALU_DEP_2) | instskip(SKIP_2) | instid1(VALU_DEP_2)
	v_subrev_co_ci_u32_e64 v15, null, s51, v15, vcc_lo
	v_cmp_le_u32_e32 vcc_lo, s50, v21
	s_wait_alu 0xf1ff
	v_subrev_co_ci_u32_e64 v15, null, 0, v15, s2
	s_wait_alu 0xfffd
	v_cndmask_b32_e64 v13, 0, -1, vcc_lo
	s_delay_alu instid0(VALU_DEP_2)
	v_cmp_le_u32_e32 vcc_lo, s51, v15
	s_wait_alu 0xfffd
	v_cndmask_b32_e64 v21, 0, -1, vcc_lo
	v_cmp_le_u32_e32 vcc_lo, s50, v5
	s_wait_alu 0xfffd
	v_cndmask_b32_e64 v5, 0, -1, vcc_lo
	;; [unrolled: 3-line block ×3, first 2 shown]
	v_cmp_eq_u32_e32 vcc_lo, s51, v15
	s_wait_alu 0xfffd
	v_cndmask_b32_e32 v13, v21, v13, vcc_lo
	v_add_co_u32 v15, vcc_lo, v9, 1
	s_wait_alu 0xfffd
	v_add_co_ci_u32_e64 v21, null, 0, v11, vcc_lo
	v_cmp_eq_u32_e32 vcc_lo, s51, v7
	s_wait_alu 0xfffd
	v_cndmask_b32_e32 v5, v22, v5, vcc_lo
	v_cmp_ne_u32_e32 vcc_lo, 0, v13
	s_delay_alu instid0(VALU_DEP_2) | instskip(SKIP_4) | instid1(VALU_DEP_2)
	v_cmp_ne_u32_e64 s2, 0, v5
	s_wait_alu 0xfffd
	v_cndmask_b32_e32 v5, v15, v17, vcc_lo
	v_cndmask_b32_e32 v7, v21, v19, vcc_lo
	s_wait_alu 0xf1ff
	v_cndmask_b32_e64 v5, v9, v5, s2
	s_delay_alu instid0(VALU_DEP_2) | instskip(NEXT) | instid1(VALU_DEP_2)
	v_cndmask_b32_e64 v7, v11, v7, s2
	v_xor_b32_e32 v5, v5, v3
	s_delay_alu instid0(VALU_DEP_2) | instskip(NEXT) | instid1(VALU_DEP_2)
	v_xor_b32_e32 v7, v7, v3
	v_sub_co_u32 v22, vcc_lo, v5, v3
	s_wait_alu 0xfffd
	s_delay_alu instid0(VALU_DEP_2)
	v_sub_co_ci_u32_e64 v23, null, v7, v3, vcc_lo
.LBB56_52:                              ;   in Loop: Header=BB56_22 Depth=2
	s_wait_alu 0xfffe
	s_and_not1_saveexec_b32 s2, s41
	s_cbranch_execz .LBB56_54
; %bb.53:                               ;   in Loop: Header=BB56_22 Depth=2
	v_cvt_f32_u32_e32 v3, s44
	s_sub_co_i32 s18, 0, s44
	v_mov_b32_e32 v23, v2
	s_delay_alu instid0(VALU_DEP_2) | instskip(NEXT) | instid1(TRANS32_DEP_1)
	v_rcp_iflag_f32_e32 v3, v3
	v_mul_f32_e32 v3, 0x4f7ffffe, v3
	s_delay_alu instid0(VALU_DEP_1) | instskip(SKIP_1) | instid1(VALU_DEP_1)
	v_cvt_u32_f32_e32 v3, v3
	s_wait_alu 0xfffe
	v_mul_lo_u32 v5, s18, v3
	s_delay_alu instid0(VALU_DEP_1) | instskip(NEXT) | instid1(VALU_DEP_1)
	v_mul_hi_u32 v5, v3, v5
	v_add_nc_u32_e32 v3, v3, v5
	s_delay_alu instid0(VALU_DEP_1) | instskip(NEXT) | instid1(VALU_DEP_1)
	v_mul_hi_u32 v3, v20, v3
	v_mul_lo_u32 v5, v3, s44
	v_add_nc_u32_e32 v7, 1, v3
	s_delay_alu instid0(VALU_DEP_2) | instskip(NEXT) | instid1(VALU_DEP_1)
	v_sub_nc_u32_e32 v5, v20, v5
	v_cmp_le_u32_e32 vcc_lo, s44, v5
	v_subrev_nc_u32_e32 v9, s44, v5
	s_wait_alu 0xfffd
	v_cndmask_b32_e32 v3, v3, v7, vcc_lo
	s_delay_alu instid0(VALU_DEP_1) | instskip(NEXT) | instid1(VALU_DEP_3)
	v_add_nc_u32_e32 v7, 1, v3
	v_cndmask_b32_e32 v5, v5, v9, vcc_lo
	s_delay_alu instid0(VALU_DEP_1) | instskip(SKIP_1) | instid1(VALU_DEP_3)
	v_cmp_le_u32_e32 vcc_lo, s44, v5
	s_wait_alu 0xfffd
	v_cndmask_b32_e32 v22, v3, v7, vcc_lo
.LBB56_54:                              ;   in Loop: Header=BB56_22 Depth=2
	s_wait_alu 0xfffe
	s_or_b32 exec_lo, exec_lo, s2
	v_mul_lo_u32 v3, v8, s28
	v_mul_lo_u32 v5, v10, s30
	;; [unrolled: 1-line block ×5, first 2 shown]
	s_add_nc_u64 s[40:41], s[0:1], s[46:47]
	v_mul_lo_u32 v11, v16, s38
	s_load_b32 s2, s[40:41], 0x6c
	v_sub_nc_u32_e32 v3, v6, v3
	v_sub_nc_u32_e32 v5, v8, v5
	;; [unrolled: 1-line block ×4, first 2 shown]
	v_mul_lo_u32 v8, v20, s42
	v_mul_lo_u32 v3, s25, v3
	;; [unrolled: 1-line block ×4, first 2 shown]
	v_sub_nc_u32_e32 v10, v14, v11
	v_sub_nc_u32_e32 v11, v16, v13
	v_mul_lo_u32 v6, s31, v6
	v_mul_lo_u32 v7, s35, v7
	s_add_co_i32 s26, s26, -8
	v_mul_lo_u32 v10, s37, v10
	v_add3_u32 v3, v3, v4, v5
	v_sub_nc_u32_e32 v4, v18, v8
	v_sub_nc_u32_e32 v5, v20, v9
	v_mul_lo_u32 v8, s39, v11
	s_wait_alu 0xfffe
	s_cmp_eq_u32 s26, -8
	v_add3_u32 v3, v6, v3, v7
	v_mul_lo_u32 v4, s27, v4
	s_wait_kmcnt 0x0
	v_mul_lo_u32 v5, s2, v5
	s_delay_alu instid0(VALU_DEP_3) | instskip(NEXT) | instid1(VALU_DEP_1)
	v_add3_u32 v3, v10, v3, v8
	v_add3_u32 v4, v4, v3, v5
	s_cbranch_scc1 .LBB56_56
; %bb.55:                               ;   in Loop: Header=BB56_22 Depth=2
	v_dual_mov_b32 v6, v22 :: v_dual_mov_b32 v7, v23
	s_branch .LBB56_22
.LBB56_56:                              ;   in Loop: Header=BB56_3 Depth=1
	s_load_b32 s2, s[12:13], 0x4
	s_wait_kmcnt 0x0
	v_cmp_gt_i32_e32 vcc_lo, s2, v27
	s_and_b32 exec_lo, exec_lo, vcc_lo
	s_cbranch_execz .LBB56_2
; %bb.57:                               ;   in Loop: Header=BB56_3 Depth=1
	v_ashrrev_i32_e32 v6, 31, v4
	v_add_nc_u32_e32 v3, 1, v27
	v_add_co_u32 v5, vcc_lo, s16, v4
	s_wait_alu 0xfffd
	s_delay_alu instid0(VALU_DEP_3) | instskip(NEXT) | instid1(VALU_DEP_3)
	v_add_co_ci_u32_e64 v6, null, s17, v6, vcc_lo
	v_cmp_gt_i32_e32 vcc_lo, s2, v3
	global_store_b8 v[5:6], v2, off
	s_and_b32 exec_lo, exec_lo, vcc_lo
	s_cbranch_execz .LBB56_2
; %bb.58:                               ;   in Loop: Header=BB56_3 Depth=1
	v_sub_nc_u32_e32 v5, v3, v26
	s_mov_b32 s18, exec_lo
	s_delay_alu instid0(VALU_DEP_1) | instskip(NEXT) | instid1(VALU_DEP_1)
	v_ashrrev_i32_e32 v6, 31, v5
	v_cmpx_gt_i64_e64 s[4:5], v[5:6]
	s_cbranch_execz .LBB56_60
; %bb.59:                               ;   in Loop: Header=BB56_3 Depth=1
	v_add_nc_u32_e32 v3, s3, v4
	s_delay_alu instid0(VALU_DEP_1) | instskip(SKIP_2) | instid1(VALU_DEP_2)
	v_ashrrev_i32_e32 v6, 31, v3
	v_add_co_u32 v5, vcc_lo, s16, v3
	s_wait_alu 0xfffd
	v_add_co_ci_u32_e64 v6, null, s17, v6, vcc_lo
	global_store_b8 v[5:6], v2, off
.LBB56_60:                              ;   in Loop: Header=BB56_3 Depth=1
	s_wait_alu 0xfffe
	s_or_b32 exec_lo, exec_lo, s18
	v_add_nc_u32_e32 v3, 2, v27
	s_delay_alu instid0(VALU_DEP_1)
	v_cmp_gt_i32_e32 vcc_lo, s2, v3
	s_and_b32 exec_lo, exec_lo, vcc_lo
	s_cbranch_execz .LBB56_2
; %bb.61:                               ;   in Loop: Header=BB56_3 Depth=1
	v_sub_nc_u32_e32 v5, v3, v26
	s_mov_b32 s18, exec_lo
	s_delay_alu instid0(VALU_DEP_1) | instskip(NEXT) | instid1(VALU_DEP_1)
	v_ashrrev_i32_e32 v6, 31, v5
	v_cmpx_gt_i64_e64 s[4:5], v[5:6]
	s_cbranch_execz .LBB56_63
; %bb.62:                               ;   in Loop: Header=BB56_3 Depth=1
	v_lshl_add_u32 v3, s3, 1, v4
	s_delay_alu instid0(VALU_DEP_1) | instskip(SKIP_2) | instid1(VALU_DEP_2)
	v_ashrrev_i32_e32 v6, 31, v3
	v_add_co_u32 v5, vcc_lo, s16, v3
	s_wait_alu 0xfffd
	v_add_co_ci_u32_e64 v6, null, s17, v6, vcc_lo
	global_store_b8 v[5:6], v2, off
.LBB56_63:                              ;   in Loop: Header=BB56_3 Depth=1
	s_wait_alu 0xfffe
	s_or_b32 exec_lo, exec_lo, s18
	v_add_nc_u32_e32 v3, 3, v27
	s_delay_alu instid0(VALU_DEP_1)
	v_cmp_gt_i32_e32 vcc_lo, s2, v3
	s_and_b32 exec_lo, exec_lo, vcc_lo
	s_cbranch_execz .LBB56_2
; %bb.64:                               ;   in Loop: Header=BB56_3 Depth=1
	v_sub_nc_u32_e32 v5, v3, v26
	s_delay_alu instid0(VALU_DEP_1) | instskip(NEXT) | instid1(VALU_DEP_1)
	v_ashrrev_i32_e32 v6, 31, v5
	v_cmp_gt_i64_e32 vcc_lo, s[4:5], v[5:6]
	s_and_b32 exec_lo, exec_lo, vcc_lo
	s_cbranch_execz .LBB56_2
; %bb.65:                               ;   in Loop: Header=BB56_3 Depth=1
	v_mad_co_u64_u32 v[3:4], null, s3, 3, v[4:5]
	s_delay_alu instid0(VALU_DEP_1) | instskip(SKIP_2) | instid1(VALU_DEP_2)
	v_ashrrev_i32_e32 v4, 31, v3
	v_add_co_u32 v3, vcc_lo, s16, v3
	s_wait_alu 0xfffd
	v_add_co_ci_u32_e64 v4, null, s17, v4, vcc_lo
	global_store_b8 v[3:4], v2, off
	s_branch .LBB56_2
.LBB56_66:
	s_endpgm
	.section	.rodata,"a",@progbits
	.p2align	6, 0x0
	.amdhsa_kernel _ZN2at6native16triu_tril_kernelIaiLb1ELi4ELb1EEEvNS_4cuda6detail10TensorInfoIT_T0_EENS4_IKS5_S6_EEllS6_
		.amdhsa_group_segment_fixed_size 0
		.amdhsa_private_segment_fixed_size 0
		.amdhsa_kernarg_size 712
		.amdhsa_user_sgpr_count 2
		.amdhsa_user_sgpr_dispatch_ptr 0
		.amdhsa_user_sgpr_queue_ptr 0
		.amdhsa_user_sgpr_kernarg_segment_ptr 1
		.amdhsa_user_sgpr_dispatch_id 0
		.amdhsa_user_sgpr_private_segment_size 0
		.amdhsa_wavefront_size32 1
		.amdhsa_uses_dynamic_stack 0
		.amdhsa_enable_private_segment 0
		.amdhsa_system_sgpr_workgroup_id_x 1
		.amdhsa_system_sgpr_workgroup_id_y 0
		.amdhsa_system_sgpr_workgroup_id_z 0
		.amdhsa_system_sgpr_workgroup_info 0
		.amdhsa_system_vgpr_workitem_id 0
		.amdhsa_next_free_vgpr 32
		.amdhsa_next_free_sgpr 66
		.amdhsa_reserve_vcc 1
		.amdhsa_float_round_mode_32 0
		.amdhsa_float_round_mode_16_64 0
		.amdhsa_float_denorm_mode_32 3
		.amdhsa_float_denorm_mode_16_64 3
		.amdhsa_fp16_overflow 0
		.amdhsa_workgroup_processor_mode 1
		.amdhsa_memory_ordered 1
		.amdhsa_forward_progress 1
		.amdhsa_inst_pref_size 97
		.amdhsa_round_robin_scheduling 0
		.amdhsa_exception_fp_ieee_invalid_op 0
		.amdhsa_exception_fp_denorm_src 0
		.amdhsa_exception_fp_ieee_div_zero 0
		.amdhsa_exception_fp_ieee_overflow 0
		.amdhsa_exception_fp_ieee_underflow 0
		.amdhsa_exception_fp_ieee_inexact 0
		.amdhsa_exception_int_div_zero 0
	.end_amdhsa_kernel
	.section	.text._ZN2at6native16triu_tril_kernelIaiLb1ELi4ELb1EEEvNS_4cuda6detail10TensorInfoIT_T0_EENS4_IKS5_S6_EEllS6_,"axG",@progbits,_ZN2at6native16triu_tril_kernelIaiLb1ELi4ELb1EEEvNS_4cuda6detail10TensorInfoIT_T0_EENS4_IKS5_S6_EEllS6_,comdat
.Lfunc_end56:
	.size	_ZN2at6native16triu_tril_kernelIaiLb1ELi4ELb1EEEvNS_4cuda6detail10TensorInfoIT_T0_EENS4_IKS5_S6_EEllS6_, .Lfunc_end56-_ZN2at6native16triu_tril_kernelIaiLb1ELi4ELb1EEEvNS_4cuda6detail10TensorInfoIT_T0_EENS4_IKS5_S6_EEllS6_
                                        ; -- End function
	.set _ZN2at6native16triu_tril_kernelIaiLb1ELi4ELb1EEEvNS_4cuda6detail10TensorInfoIT_T0_EENS4_IKS5_S6_EEllS6_.num_vgpr, 32
	.set _ZN2at6native16triu_tril_kernelIaiLb1ELi4ELb1EEEvNS_4cuda6detail10TensorInfoIT_T0_EENS4_IKS5_S6_EEllS6_.num_agpr, 0
	.set _ZN2at6native16triu_tril_kernelIaiLb1ELi4ELb1EEEvNS_4cuda6detail10TensorInfoIT_T0_EENS4_IKS5_S6_EEllS6_.numbered_sgpr, 66
	.set _ZN2at6native16triu_tril_kernelIaiLb1ELi4ELb1EEEvNS_4cuda6detail10TensorInfoIT_T0_EENS4_IKS5_S6_EEllS6_.num_named_barrier, 0
	.set _ZN2at6native16triu_tril_kernelIaiLb1ELi4ELb1EEEvNS_4cuda6detail10TensorInfoIT_T0_EENS4_IKS5_S6_EEllS6_.private_seg_size, 0
	.set _ZN2at6native16triu_tril_kernelIaiLb1ELi4ELb1EEEvNS_4cuda6detail10TensorInfoIT_T0_EENS4_IKS5_S6_EEllS6_.uses_vcc, 1
	.set _ZN2at6native16triu_tril_kernelIaiLb1ELi4ELb1EEEvNS_4cuda6detail10TensorInfoIT_T0_EENS4_IKS5_S6_EEllS6_.uses_flat_scratch, 0
	.set _ZN2at6native16triu_tril_kernelIaiLb1ELi4ELb1EEEvNS_4cuda6detail10TensorInfoIT_T0_EENS4_IKS5_S6_EEllS6_.has_dyn_sized_stack, 0
	.set _ZN2at6native16triu_tril_kernelIaiLb1ELi4ELb1EEEvNS_4cuda6detail10TensorInfoIT_T0_EENS4_IKS5_S6_EEllS6_.has_recursion, 0
	.set _ZN2at6native16triu_tril_kernelIaiLb1ELi4ELb1EEEvNS_4cuda6detail10TensorInfoIT_T0_EENS4_IKS5_S6_EEllS6_.has_indirect_call, 0
	.section	.AMDGPU.csdata,"",@progbits
; Kernel info:
; codeLenInByte = 12340
; TotalNumSgprs: 68
; NumVgprs: 32
; ScratchSize: 0
; MemoryBound: 0
; FloatMode: 240
; IeeeMode: 1
; LDSByteSize: 0 bytes/workgroup (compile time only)
; SGPRBlocks: 0
; VGPRBlocks: 3
; NumSGPRsForWavesPerEU: 68
; NumVGPRsForWavesPerEU: 32
; Occupancy: 16
; WaveLimiterHint : 0
; COMPUTE_PGM_RSRC2:SCRATCH_EN: 0
; COMPUTE_PGM_RSRC2:USER_SGPR: 2
; COMPUTE_PGM_RSRC2:TRAP_HANDLER: 0
; COMPUTE_PGM_RSRC2:TGID_X_EN: 1
; COMPUTE_PGM_RSRC2:TGID_Y_EN: 0
; COMPUTE_PGM_RSRC2:TGID_Z_EN: 0
; COMPUTE_PGM_RSRC2:TIDIG_COMP_CNT: 0
	.section	.text._ZN2at6native16triu_tril_kernelIaiLb1ELi4ELb0EEEvNS_4cuda6detail10TensorInfoIT_T0_EENS4_IKS5_S6_EEllS6_,"axG",@progbits,_ZN2at6native16triu_tril_kernelIaiLb1ELi4ELb0EEEvNS_4cuda6detail10TensorInfoIT_T0_EENS4_IKS5_S6_EEllS6_,comdat
	.protected	_ZN2at6native16triu_tril_kernelIaiLb1ELi4ELb0EEEvNS_4cuda6detail10TensorInfoIT_T0_EENS4_IKS5_S6_EEllS6_ ; -- Begin function _ZN2at6native16triu_tril_kernelIaiLb1ELi4ELb0EEEvNS_4cuda6detail10TensorInfoIT_T0_EENS4_IKS5_S6_EEllS6_
	.globl	_ZN2at6native16triu_tril_kernelIaiLb1ELi4ELb0EEEvNS_4cuda6detail10TensorInfoIT_T0_EENS4_IKS5_S6_EEllS6_
	.p2align	8
	.type	_ZN2at6native16triu_tril_kernelIaiLb1ELi4ELb0EEEvNS_4cuda6detail10TensorInfoIT_T0_EENS4_IKS5_S6_EEllS6_,@function
_ZN2at6native16triu_tril_kernelIaiLb1ELi4ELb0EEEvNS_4cuda6detail10TensorInfoIT_T0_EENS4_IKS5_S6_EEllS6_: ; @_ZN2at6native16triu_tril_kernelIaiLb1ELi4ELb0EEEvNS_4cuda6detail10TensorInfoIT_T0_EENS4_IKS5_S6_EEllS6_
; %bb.0:
	s_clause 0x1
	s_load_b32 s2, s[0:1], 0x1d4
	s_load_b128 s[4:7], s[0:1], 0x1b0
	v_mov_b32_e32 v2, 0
	s_delay_alu instid0(VALU_DEP_1) | instskip(SKIP_3) | instid1(VALU_DEP_1)
	v_mov_b32_e32 v1, v2
	s_wait_kmcnt 0x0
	s_and_b32 s16, s2, 0xffff
	s_mov_b32 s2, exec_lo
	v_mad_co_u64_u32 v[0:1], null, s16, ttmp9, v[0:1]
	s_delay_alu instid0(VALU_DEP_1) | instskip(NEXT) | instid1(VALU_DEP_1)
	v_lshlrev_b64_e32 v[0:1], 2, v[0:1]
	v_cmpx_gt_i64_e64 s[6:7], v[0:1]
	s_cbranch_execz .LBB57_53
; %bb.1:
	s_clause 0x2
	s_load_b32 s34, s[0:1], 0x1a8
	s_load_b32 s8, s[0:1], 0x1c0
	s_load_b64 s[10:11], s[0:1], 0xd8
	s_add_nc_u64 s[12:13], s[0:1], 0xd8
	s_add_nc_u64 s[18:19], s[0:1], 0x1c8
	s_mov_b32 s17, 0
	s_mov_b32 s20, s4
	;; [unrolled: 1-line block ×6, first 2 shown]
	s_wait_kmcnt 0x0
	s_ashr_i32 s35, s34, 31
	v_cvt_f32_u32_e32 v3, s8
	s_lshl_b64 s[22:23], s[34:35], 2
	s_and_b32 s52, s34, 3
	s_add_nc_u64 s[24:25], s[12:13], s[22:23]
	s_add_nc_u64 s[26:27], s[0:1], s[22:23]
	s_clause 0x1
	s_load_b64 s[2:3], s[24:25], 0x0
	s_load_b64 s[14:15], s[0:1], 0x0
	s_load_b32 s31, s[18:19], 0x0
	v_rcp_iflag_f32_e32 v3, v3
	s_clause 0x1
	s_load_b64 s[22:23], s[24:25], 0x64
	s_load_b64 s[26:27], s[26:27], 0x64
	s_ashr_i32 s9, s8, 31
	s_add_co_i32 s33, s34, -3
	v_cmp_gt_i64_e64 s53, s[34:35], 2
	s_mov_b32 s18, s4
	s_mov_b32 s19, s5
	;; [unrolled: 1-line block ×4, first 2 shown]
	v_mul_f32_e32 v3, 0x4f7ffffe, v3
	s_delay_alu instid0(VALU_DEP_1)
	v_cvt_u32_f32_e32 v18, v3
	s_wait_kmcnt 0x0
	s_mov_b32 s30, s2
	s_mul_i32 s31, s31, s16
	v_cvt_f32_u32_e32 v4, s30
	s_lshl_b32 s54, s31, 2
	s_ashr_i32 s31, s2, 31
	s_cmp_lg_u32 s52, 2
	s_mov_b32 s55, s23
	v_rcp_iflag_f32_e32 v4, v4
	s_cselect_b32 s57, -1, 0
	s_cmp_gt_u32 s33, 2
	s_mov_b32 s56, s27
	s_cselect_b32 s58, -1, 0
	s_ashr_i32 s59, s23, 31
	s_add_co_i32 s23, s23, s23
	s_ashr_i32 s60, s27, 31
	s_add_co_i32 s27, s27, s27
	s_wait_alu 0xfffe
	s_ashr_i32 s34, s9, 31
	v_mul_f32_e32 v3, 0x4f7ffffe, v4
	s_delay_alu instid0(VALU_DEP_1)
	v_cvt_u32_f32_e32 v19, v3
	s_branch .LBB57_3
.LBB57_2:                               ;   in Loop: Header=BB57_3 Depth=1
	s_wait_alu 0xfffe
	s_or_b32 exec_lo, exec_lo, s2
	v_add_co_u32 v0, vcc_lo, v0, s54
	s_wait_alu 0xfffd
	v_add_co_ci_u32_e64 v1, null, 0, v1, vcc_lo
	s_delay_alu instid0(VALU_DEP_1)
	v_cmp_le_i64_e32 vcc_lo, s[6:7], v[0:1]
	s_or_b32 s61, vcc_lo, s61
	s_wait_alu 0xfffe
	s_and_not1_b32 exec_lo, exec_lo, s61
	s_cbranch_execz .LBB57_53
.LBB57_3:                               ; =>This Loop Header: Depth=1
                                        ;     Child Loop BB57_15 Depth 2
                                        ;     Child Loop BB57_20 Depth 2
	v_or_b32_e32 v3, s9, v1
                                        ; implicit-def: $vgpr4_vgpr5
	s_mov_b32 s2, exec_lo
	s_delay_alu instid0(VALU_DEP_1)
	v_cmpx_ne_u64_e32 0, v[2:3]
	s_wait_alu 0xfffe
	s_xor_b32 s38, exec_lo, s2
	s_cbranch_execz .LBB57_5
; %bb.4:                                ;   in Loop: Header=BB57_3 Depth=1
	s_mov_b32 s35, s34
	v_ashrrev_i32_e32 v9, 31, v1
	s_wait_alu 0xfffe
	s_add_nc_u64 s[36:37], s[8:9], s[34:35]
	s_wait_alu 0xfffe
	s_xor_b64 s[36:37], s[36:37], s[34:35]
	v_add_co_u32 v3, vcc_lo, v0, v9
	s_wait_alu 0xfffe
	s_cvt_f32_u32 s2, s36
	s_cvt_f32_u32 s16, s37
	s_sub_nc_u64 s[42:43], 0, s[36:37]
	s_wait_alu 0xfffd
	v_add_co_ci_u32_e64 v4, null, v1, v9, vcc_lo
	s_wait_alu 0xfffe
	s_fmamk_f32 s2, s16, 0x4f800000, s2
	v_xor_b32_e32 v10, v3, v9
	s_delay_alu instid0(VALU_DEP_2) | instskip(SKIP_2) | instid1(TRANS32_DEP_1)
	v_xor_b32_e32 v11, v4, v9
	s_wait_alu 0xfffe
	v_s_rcp_f32 s2, s2
	s_mul_f32 s2, s2, 0x5f7ffffc
	s_wait_alu 0xfffe
	s_delay_alu instid0(SALU_CYCLE_2) | instskip(SKIP_1) | instid1(SALU_CYCLE_2)
	s_mul_f32 s16, s2, 0x2f800000
	s_wait_alu 0xfffe
	s_trunc_f32 s16, s16
	s_wait_alu 0xfffe
	s_delay_alu instid0(SALU_CYCLE_2) | instskip(SKIP_2) | instid1(SALU_CYCLE_1)
	s_fmamk_f32 s2, s16, 0xcf800000, s2
	s_cvt_u32_f32 s41, s16
	s_wait_alu 0xfffe
	s_cvt_u32_f32 s40, s2
	s_wait_alu 0xfffe
	s_delay_alu instid0(SALU_CYCLE_2)
	s_mul_u64 s[44:45], s[42:43], s[40:41]
	s_wait_alu 0xfffe
	s_mul_hi_u32 s47, s40, s45
	s_mul_i32 s46, s40, s45
	s_mul_hi_u32 s16, s40, s44
	s_mul_i32 s35, s41, s44
	s_wait_alu 0xfffe
	s_add_nc_u64 s[46:47], s[16:17], s[46:47]
	s_mul_hi_u32 s2, s41, s44
	s_mul_hi_u32 s39, s41, s45
	s_wait_alu 0xfffe
	s_add_co_u32 s16, s46, s35
	s_add_co_ci_u32 s16, s47, s2
	s_mul_i32 s44, s41, s45
	s_add_co_ci_u32 s45, s39, 0
	s_wait_alu 0xfffe
	s_add_nc_u64 s[44:45], s[16:17], s[44:45]
	s_wait_alu 0xfffe
	s_add_co_u32 s40, s40, s44
	s_cselect_b32 s2, -1, 0
	s_wait_alu 0xfffe
	s_cmp_lg_u32 s2, 0
	s_add_co_ci_u32 s41, s41, s45
	s_wait_alu 0xfffe
	s_mul_u64 s[42:43], s[42:43], s[40:41]
	s_wait_alu 0xfffe
	s_mul_hi_u32 s45, s40, s43
	s_mul_i32 s44, s40, s43
	s_mul_hi_u32 s16, s40, s42
	s_mul_i32 s35, s41, s42
	s_wait_alu 0xfffe
	s_add_nc_u64 s[44:45], s[16:17], s[44:45]
	s_mul_hi_u32 s2, s41, s42
	s_mul_hi_u32 s39, s41, s43
	s_wait_alu 0xfffe
	s_add_co_u32 s16, s44, s35
	s_add_co_ci_u32 s16, s45, s2
	s_mul_i32 s42, s41, s43
	s_add_co_ci_u32 s43, s39, 0
	s_wait_alu 0xfffe
	s_add_nc_u64 s[42:43], s[16:17], s[42:43]
	s_wait_alu 0xfffe
	s_add_co_u32 s2, s40, s42
	s_cselect_b32 s16, -1, 0
	s_wait_alu 0xfffe
	v_mul_hi_u32 v12, v10, s2
	s_cmp_lg_u32 s16, 0
	v_mad_co_u64_u32 v[5:6], null, v11, s2, 0
	s_add_co_ci_u32 s16, s41, s43
	s_wait_alu 0xfffe
	v_mad_co_u64_u32 v[3:4], null, v10, s16, 0
	v_mad_co_u64_u32 v[7:8], null, v11, s16, 0
	s_delay_alu instid0(VALU_DEP_2) | instskip(SKIP_1) | instid1(VALU_DEP_3)
	v_add_co_u32 v3, vcc_lo, v12, v3
	s_wait_alu 0xfffd
	v_add_co_ci_u32_e64 v4, null, 0, v4, vcc_lo
	s_delay_alu instid0(VALU_DEP_2) | instskip(SKIP_1) | instid1(VALU_DEP_2)
	v_add_co_u32 v3, vcc_lo, v3, v5
	s_wait_alu 0xfffd
	v_add_co_ci_u32_e32 v3, vcc_lo, v4, v6, vcc_lo
	s_wait_alu 0xfffd
	v_add_co_ci_u32_e32 v4, vcc_lo, 0, v8, vcc_lo
	s_delay_alu instid0(VALU_DEP_2) | instskip(SKIP_1) | instid1(VALU_DEP_2)
	v_add_co_u32 v5, vcc_lo, v3, v7
	s_wait_alu 0xfffd
	v_add_co_ci_u32_e64 v6, null, 0, v4, vcc_lo
	s_delay_alu instid0(VALU_DEP_2) | instskip(SKIP_1) | instid1(VALU_DEP_3)
	v_mul_lo_u32 v7, s37, v5
	v_mad_co_u64_u32 v[3:4], null, s36, v5, 0
	v_mul_lo_u32 v8, s36, v6
	s_delay_alu instid0(VALU_DEP_2) | instskip(NEXT) | instid1(VALU_DEP_2)
	v_sub_co_u32 v3, vcc_lo, v10, v3
	v_add3_u32 v4, v4, v8, v7
	v_add_co_u32 v8, s2, v5, 2
	s_wait_alu 0xf1ff
	v_add_co_ci_u32_e64 v10, null, 0, v6, s2
	s_delay_alu instid0(VALU_DEP_3) | instskip(SKIP_3) | instid1(VALU_DEP_3)
	v_sub_nc_u32_e32 v7, v11, v4
	v_sub_co_u32 v12, s2, v3, s36
	s_wait_alu 0xfffd
	v_sub_co_ci_u32_e64 v4, null, v11, v4, vcc_lo
	v_subrev_co_ci_u32_e64 v7, null, s37, v7, vcc_lo
	s_delay_alu instid0(VALU_DEP_3) | instskip(SKIP_1) | instid1(VALU_DEP_2)
	v_cmp_le_u32_e32 vcc_lo, s36, v12
	s_wait_alu 0xf1ff
	v_subrev_co_ci_u32_e64 v7, null, 0, v7, s2
	s_wait_alu 0xfffd
	v_cndmask_b32_e64 v11, 0, -1, vcc_lo
	s_delay_alu instid0(VALU_DEP_2)
	v_cmp_le_u32_e32 vcc_lo, s37, v7
	s_wait_alu 0xfffd
	v_cndmask_b32_e64 v12, 0, -1, vcc_lo
	v_cmp_le_u32_e32 vcc_lo, s36, v3
	s_wait_alu 0xfffd
	v_cndmask_b32_e64 v3, 0, -1, vcc_lo
	v_cmp_le_u32_e32 vcc_lo, s37, v4
	s_wait_alu 0xfffd
	v_cndmask_b32_e64 v13, 0, -1, vcc_lo
	v_cmp_eq_u32_e32 vcc_lo, s37, v7
	s_wait_alu 0xfffd
	v_cndmask_b32_e32 v7, v12, v11, vcc_lo
	v_add_co_u32 v11, vcc_lo, v5, 1
	s_wait_alu 0xfffd
	v_add_co_ci_u32_e64 v12, null, 0, v6, vcc_lo
	v_cmp_eq_u32_e32 vcc_lo, s37, v4
	s_wait_alu 0xfffd
	v_cndmask_b32_e32 v3, v13, v3, vcc_lo
	v_cmp_ne_u32_e32 vcc_lo, 0, v7
	v_xor_b32_e32 v7, s34, v9
	s_wait_alu 0xfffd
	v_cndmask_b32_e32 v4, v12, v10, vcc_lo
	v_cmp_ne_u32_e64 s2, 0, v3
	v_cndmask_b32_e32 v3, v11, v8, vcc_lo
	s_wait_alu 0xf1ff
	s_delay_alu instid0(VALU_DEP_2) | instskip(NEXT) | instid1(VALU_DEP_2)
	v_cndmask_b32_e64 v4, v6, v4, s2
	v_cndmask_b32_e64 v3, v5, v3, s2
	s_delay_alu instid0(VALU_DEP_2) | instskip(NEXT) | instid1(VALU_DEP_2)
	v_xor_b32_e32 v5, v4, v7
	v_xor_b32_e32 v3, v3, v7
	s_delay_alu instid0(VALU_DEP_1) | instskip(SKIP_1) | instid1(VALU_DEP_3)
	v_sub_co_u32 v4, vcc_lo, v3, v7
	s_wait_alu 0xfffd
	v_sub_co_ci_u32_e64 v5, null, v5, v7, vcc_lo
.LBB57_5:                               ;   in Loop: Header=BB57_3 Depth=1
	s_wait_alu 0xfffe
	s_and_not1_saveexec_b32 s2, s38
	s_cbranch_execz .LBB57_7
; %bb.6:                                ;   in Loop: Header=BB57_3 Depth=1
	s_sub_co_i32 s16, 0, s8
	s_wait_alu 0xfffe
	v_mul_lo_u32 v3, s16, v18
	s_delay_alu instid0(VALU_DEP_1) | instskip(NEXT) | instid1(VALU_DEP_1)
	v_mul_hi_u32 v3, v18, v3
	v_add_nc_u32_e32 v3, v18, v3
	s_delay_alu instid0(VALU_DEP_1) | instskip(NEXT) | instid1(VALU_DEP_1)
	v_mul_hi_u32 v3, v0, v3
	v_mul_lo_u32 v4, v3, s8
	v_add_nc_u32_e32 v5, 1, v3
	s_delay_alu instid0(VALU_DEP_2) | instskip(NEXT) | instid1(VALU_DEP_1)
	v_sub_nc_u32_e32 v4, v0, v4
	v_subrev_nc_u32_e32 v6, s8, v4
	v_cmp_le_u32_e32 vcc_lo, s8, v4
	s_wait_alu 0xfffd
	s_delay_alu instid0(VALU_DEP_2) | instskip(NEXT) | instid1(VALU_DEP_1)
	v_dual_cndmask_b32 v4, v4, v6 :: v_dual_cndmask_b32 v3, v3, v5
	v_cmp_le_u32_e32 vcc_lo, s8, v4
	s_delay_alu instid0(VALU_DEP_2) | instskip(SKIP_1) | instid1(VALU_DEP_1)
	v_add_nc_u32_e32 v5, 1, v3
	s_wait_alu 0xfffd
	v_dual_cndmask_b32 v4, v3, v5 :: v_dual_mov_b32 v5, v2
.LBB57_7:                               ;   in Loop: Header=BB57_3 Depth=1
	s_wait_alu 0xfffe
	s_or_b32 exec_lo, exec_lo, s2
	s_delay_alu instid0(VALU_DEP_1) | instskip(SKIP_1) | instid1(VALU_DEP_1)
	v_or_b32_e32 v3, s31, v5
                                        ; implicit-def: $vgpr8_vgpr9
	s_mov_b32 s2, exec_lo
	v_cmpx_ne_u64_e32 0, v[2:3]
	s_wait_alu 0xfffe
	s_xor_b32 s35, exec_lo, s2
	s_cbranch_execz .LBB57_9
; %bb.8:                                ;   in Loop: Header=BB57_3 Depth=1
	s_ashr_i32 s36, s31, 31
	v_ashrrev_i32_e32 v3, 31, v5
	s_wait_alu 0xfffe
	s_mov_b32 s37, s36
	s_wait_alu 0xfffe
	s_add_nc_u64 s[38:39], s[30:31], s[36:37]
	v_add_co_u32 v6, vcc_lo, v4, v3
	s_wait_alu 0xfffe
	s_xor_b64 s[38:39], s[38:39], s[36:37]
	s_wait_alu 0xfffd
	v_add_co_ci_u32_e64 v5, null, v5, v3, vcc_lo
	s_wait_alu 0xfffe
	s_cvt_f32_u32 s2, s38
	s_cvt_f32_u32 s16, s39
	s_sub_nc_u64 s[42:43], 0, s[38:39]
	v_xor_b32_e32 v11, v6, v3
	v_xor_b32_e32 v12, v5, v3
	s_wait_alu 0xfffe
	s_fmamk_f32 s2, s16, 0x4f800000, s2
	v_xor_b32_e32 v3, s36, v3
	s_wait_alu 0xfffe
	s_delay_alu instid0(SALU_CYCLE_1) | instskip(NEXT) | instid1(TRANS32_DEP_1)
	v_s_rcp_f32 s2, s2
	s_mul_f32 s2, s2, 0x5f7ffffc
	s_wait_alu 0xfffe
	s_delay_alu instid0(SALU_CYCLE_2) | instskip(SKIP_1) | instid1(SALU_CYCLE_2)
	s_mul_f32 s16, s2, 0x2f800000
	s_wait_alu 0xfffe
	s_trunc_f32 s16, s16
	s_wait_alu 0xfffe
	s_delay_alu instid0(SALU_CYCLE_2) | instskip(SKIP_2) | instid1(SALU_CYCLE_1)
	s_fmamk_f32 s2, s16, 0xcf800000, s2
	s_cvt_u32_f32 s41, s16
	s_wait_alu 0xfffe
	s_cvt_u32_f32 s40, s2
	s_wait_alu 0xfffe
	s_delay_alu instid0(SALU_CYCLE_2)
	s_mul_u64 s[44:45], s[42:43], s[40:41]
	s_wait_alu 0xfffe
	s_mul_hi_u32 s47, s40, s45
	s_mul_i32 s46, s40, s45
	s_mul_hi_u32 s16, s40, s44
	s_mul_i32 s37, s41, s44
	s_wait_alu 0xfffe
	s_add_nc_u64 s[46:47], s[16:17], s[46:47]
	s_mul_hi_u32 s2, s41, s44
	s_mul_hi_u32 s48, s41, s45
	s_wait_alu 0xfffe
	s_add_co_u32 s16, s46, s37
	s_add_co_ci_u32 s16, s47, s2
	s_mul_i32 s44, s41, s45
	s_add_co_ci_u32 s45, s48, 0
	s_wait_alu 0xfffe
	s_add_nc_u64 s[44:45], s[16:17], s[44:45]
	s_wait_alu 0xfffe
	s_add_co_u32 s40, s40, s44
	s_cselect_b32 s2, -1, 0
	s_wait_alu 0xfffe
	s_cmp_lg_u32 s2, 0
	s_add_co_ci_u32 s41, s41, s45
	s_wait_alu 0xfffe
	s_mul_u64 s[42:43], s[42:43], s[40:41]
	s_wait_alu 0xfffe
	s_mul_hi_u32 s45, s40, s43
	s_mul_i32 s44, s40, s43
	s_mul_hi_u32 s16, s40, s42
	s_mul_i32 s37, s41, s42
	s_wait_alu 0xfffe
	s_add_nc_u64 s[44:45], s[16:17], s[44:45]
	s_mul_hi_u32 s2, s41, s42
	s_mul_hi_u32 s46, s41, s43
	s_wait_alu 0xfffe
	s_add_co_u32 s16, s44, s37
	s_add_co_ci_u32 s16, s45, s2
	s_mul_i32 s42, s41, s43
	s_add_co_ci_u32 s43, s46, 0
	s_wait_alu 0xfffe
	s_add_nc_u64 s[42:43], s[16:17], s[42:43]
	s_wait_alu 0xfffe
	s_add_co_u32 s2, s40, s42
	s_cselect_b32 s16, -1, 0
	s_wait_alu 0xfffe
	v_mul_hi_u32 v13, v11, s2
	s_cmp_lg_u32 s16, 0
	v_mad_co_u64_u32 v[7:8], null, v12, s2, 0
	s_add_co_ci_u32 s16, s41, s43
	s_wait_alu 0xfffe
	v_mad_co_u64_u32 v[5:6], null, v11, s16, 0
	v_mad_co_u64_u32 v[9:10], null, v12, s16, 0
	s_delay_alu instid0(VALU_DEP_2) | instskip(SKIP_1) | instid1(VALU_DEP_3)
	v_add_co_u32 v5, vcc_lo, v13, v5
	s_wait_alu 0xfffd
	v_add_co_ci_u32_e64 v6, null, 0, v6, vcc_lo
	s_delay_alu instid0(VALU_DEP_2) | instskip(SKIP_1) | instid1(VALU_DEP_2)
	v_add_co_u32 v5, vcc_lo, v5, v7
	s_wait_alu 0xfffd
	v_add_co_ci_u32_e32 v5, vcc_lo, v6, v8, vcc_lo
	s_wait_alu 0xfffd
	v_add_co_ci_u32_e32 v6, vcc_lo, 0, v10, vcc_lo
	s_delay_alu instid0(VALU_DEP_2) | instskip(SKIP_1) | instid1(VALU_DEP_2)
	v_add_co_u32 v7, vcc_lo, v5, v9
	s_wait_alu 0xfffd
	v_add_co_ci_u32_e64 v8, null, 0, v6, vcc_lo
	s_delay_alu instid0(VALU_DEP_2) | instskip(SKIP_1) | instid1(VALU_DEP_3)
	v_mul_lo_u32 v9, s39, v7
	v_mad_co_u64_u32 v[5:6], null, s38, v7, 0
	v_mul_lo_u32 v10, s38, v8
	s_delay_alu instid0(VALU_DEP_2) | instskip(NEXT) | instid1(VALU_DEP_2)
	v_sub_co_u32 v5, vcc_lo, v11, v5
	v_add3_u32 v6, v6, v10, v9
	v_add_co_u32 v10, s2, v7, 2
	s_wait_alu 0xf1ff
	v_add_co_ci_u32_e64 v11, null, 0, v8, s2
	s_delay_alu instid0(VALU_DEP_3) | instskip(SKIP_3) | instid1(VALU_DEP_3)
	v_sub_nc_u32_e32 v9, v12, v6
	v_sub_co_u32 v13, s2, v5, s38
	s_wait_alu 0xfffd
	v_sub_co_ci_u32_e64 v6, null, v12, v6, vcc_lo
	v_subrev_co_ci_u32_e64 v9, null, s39, v9, vcc_lo
	s_delay_alu instid0(VALU_DEP_3) | instskip(SKIP_1) | instid1(VALU_DEP_2)
	v_cmp_le_u32_e32 vcc_lo, s38, v13
	s_wait_alu 0xf1ff
	v_subrev_co_ci_u32_e64 v9, null, 0, v9, s2
	s_wait_alu 0xfffd
	v_cndmask_b32_e64 v12, 0, -1, vcc_lo
	s_delay_alu instid0(VALU_DEP_2)
	v_cmp_le_u32_e32 vcc_lo, s39, v9
	s_wait_alu 0xfffd
	v_cndmask_b32_e64 v13, 0, -1, vcc_lo
	v_cmp_le_u32_e32 vcc_lo, s38, v5
	s_wait_alu 0xfffd
	v_cndmask_b32_e64 v5, 0, -1, vcc_lo
	;; [unrolled: 3-line block ×3, first 2 shown]
	v_cmp_eq_u32_e32 vcc_lo, s39, v9
	s_wait_alu 0xfffd
	v_cndmask_b32_e32 v9, v13, v12, vcc_lo
	v_add_co_u32 v12, vcc_lo, v7, 1
	s_wait_alu 0xfffd
	v_add_co_ci_u32_e64 v13, null, 0, v8, vcc_lo
	v_cmp_eq_u32_e32 vcc_lo, s39, v6
	s_wait_alu 0xfffd
	v_cndmask_b32_e32 v5, v14, v5, vcc_lo
	v_cmp_ne_u32_e32 vcc_lo, 0, v9
	s_wait_alu 0xfffd
	v_cndmask_b32_e32 v6, v13, v11, vcc_lo
	s_delay_alu instid0(VALU_DEP_3) | instskip(SKIP_2) | instid1(VALU_DEP_2)
	v_cmp_ne_u32_e64 s2, 0, v5
	v_cndmask_b32_e32 v5, v12, v10, vcc_lo
	s_wait_alu 0xf1ff
	v_cndmask_b32_e64 v6, v8, v6, s2
	s_delay_alu instid0(VALU_DEP_2) | instskip(NEXT) | instid1(VALU_DEP_2)
	v_cndmask_b32_e64 v5, v7, v5, s2
	v_xor_b32_e32 v6, v6, v3
	s_delay_alu instid0(VALU_DEP_2) | instskip(NEXT) | instid1(VALU_DEP_1)
	v_xor_b32_e32 v5, v5, v3
	v_sub_co_u32 v8, vcc_lo, v5, v3
	s_wait_alu 0xfffd
	s_delay_alu instid0(VALU_DEP_3)
	v_sub_co_ci_u32_e64 v9, null, v6, v3, vcc_lo
.LBB57_9:                               ;   in Loop: Header=BB57_3 Depth=1
	s_wait_alu 0xfffe
	s_and_not1_saveexec_b32 s2, s35
	s_cbranch_execz .LBB57_11
; %bb.10:                               ;   in Loop: Header=BB57_3 Depth=1
	s_sub_co_i32 s16, 0, s30
	v_mov_b32_e32 v9, v2
	s_wait_alu 0xfffe
	v_mul_lo_u32 v3, s16, v19
	s_delay_alu instid0(VALU_DEP_1) | instskip(NEXT) | instid1(VALU_DEP_1)
	v_mul_hi_u32 v3, v19, v3
	v_add_nc_u32_e32 v3, v19, v3
	s_delay_alu instid0(VALU_DEP_1) | instskip(NEXT) | instid1(VALU_DEP_1)
	v_mul_hi_u32 v3, v4, v3
	v_mul_lo_u32 v5, v3, s30
	v_add_nc_u32_e32 v6, 1, v3
	s_delay_alu instid0(VALU_DEP_2) | instskip(NEXT) | instid1(VALU_DEP_1)
	v_sub_nc_u32_e32 v5, v4, v5
	v_cmp_le_u32_e32 vcc_lo, s30, v5
	v_subrev_nc_u32_e32 v7, s30, v5
	s_wait_alu 0xfffd
	v_cndmask_b32_e32 v3, v3, v6, vcc_lo
	s_delay_alu instid0(VALU_DEP_1) | instskip(NEXT) | instid1(VALU_DEP_3)
	v_add_nc_u32_e32 v6, 1, v3
	v_cndmask_b32_e32 v5, v5, v7, vcc_lo
	s_delay_alu instid0(VALU_DEP_1) | instskip(SKIP_1) | instid1(VALU_DEP_3)
	v_cmp_le_u32_e32 vcc_lo, s30, v5
	s_wait_alu 0xfffd
	v_cndmask_b32_e32 v8, v3, v6, vcc_lo
.LBB57_11:                              ;   in Loop: Header=BB57_3 Depth=1
	s_wait_alu 0xfffe
	s_or_b32 exec_lo, exec_lo, s2
	v_mad_co_u64_u32 v[5:6], null, v4, s8, 0
	s_delay_alu instid0(VALU_DEP_2) | instskip(SKIP_3) | instid1(VALU_DEP_2)
	v_mad_co_u64_u32 v[6:7], null, v8, s30, 0
	s_and_not1_b32 vcc_lo, exec_lo, s53
	v_sub_co_u32 v20, null, v0, v5
	v_sub_co_u32 v21, null, v4, v6
	v_mul_lo_u32 v3, s55, v20
	v_mul_lo_u32 v5, s56, v20
	s_delay_alu instid0(VALU_DEP_2) | instskip(NEXT) | instid1(VALU_DEP_1)
	v_mad_co_u64_u32 v[6:7], null, s22, v21, v[3:4]
	v_mad_co_u64_u32 v[4:5], null, s26, v21, v[5:6]
	s_wait_alu 0xfffe
	s_cbranch_vccnz .LBB57_38
; %bb.12:                               ;   in Loop: Header=BB57_3 Depth=1
	s_mov_b32 s35, 1
	s_and_not1_b32 vcc_lo, exec_lo, s57
	s_mov_b32 s16, s33
	s_mov_b32 s2, s33
	s_wait_alu 0xfffe
	s_cbranch_vccz .LBB57_15
; %bb.13:                               ;   in Loop: Header=BB57_3 Depth=1
	s_and_b32 vcc_lo, exec_lo, s58
	s_mov_b32 s16, s2
	s_wait_alu 0xfffe
	s_cbranch_vccnz .LBB57_20
	s_branch .LBB57_38
.LBB57_14:                              ;   in Loop: Header=BB57_15 Depth=2
	s_wait_alu 0xfffe
	s_or_b32 exec_lo, exec_lo, s2
	s_add_nc_u64 s[40:41], s[0:1], s[40:41]
	s_clause 0x1
	s_load_b32 s2, s[38:39], 0x6c
	s_load_b32 s37, s[40:41], 0x6c
	v_mul_lo_u32 v3, v10, s36
	s_add_co_i32 s16, s16, -1
	s_delay_alu instid0(VALU_DEP_1) | instskip(SKIP_2) | instid1(VALU_DEP_2)
	v_sub_nc_u32_e32 v3, v8, v3
	v_dual_mov_b32 v8, v10 :: v_dual_mov_b32 v9, v11
	s_wait_kmcnt 0x0
	v_mad_co_u64_u32 v[6:7], null, s2, v3, v[6:7]
	v_mad_co_u64_u32 v[4:5], null, s37, v3, v[4:5]
	s_xor_b32 s2, s52, s35
	s_add_co_i32 s35, s35, 1
	s_wait_alu 0xfffe
	s_cmp_lg_u32 s2, 2
	s_cbranch_scc0 .LBB57_19
.LBB57_15:                              ;   Parent Loop BB57_3 Depth=1
                                        ; =>  This Inner Loop Header: Depth=2
	s_lshl_b64 s[40:41], s[16:17], 2
                                        ; implicit-def: $vgpr10_vgpr11
	s_mov_b32 s2, exec_lo
	s_wait_alu 0xfffe
	s_add_nc_u64 s[38:39], s[12:13], s[40:41]
	s_load_b32 s36, s[38:39], 0x8
	s_wait_kmcnt 0x0
	s_ashr_i32 s37, s36, 31
	s_wait_alu 0xfffe
	v_or_b32_e32 v3, s37, v9
	s_delay_alu instid0(VALU_DEP_1)
	v_cmpx_ne_u64_e32 0, v[2:3]
	s_xor_b32 s46, exec_lo, s2
	s_cbranch_execz .LBB57_17
; %bb.16:                               ;   in Loop: Header=BB57_15 Depth=2
	s_ashr_i32 s42, s37, 31
	s_mov_b32 s63, s17
	s_wait_alu 0xfffe
	s_mov_b32 s43, s42
	s_mov_b32 s67, s17
	s_wait_alu 0xfffe
	s_add_nc_u64 s[44:45], s[36:37], s[42:43]
	v_ashrrev_i32_e32 v3, 31, v9
	s_wait_alu 0xfffe
	s_xor_b64 s[44:45], s[44:45], s[42:43]
	s_wait_alu 0xfffe
	s_cvt_f32_u32 s2, s44
	s_cvt_f32_u32 s37, s45
	s_sub_nc_u64 s[50:51], 0, s[44:45]
	v_add_co_u32 v5, vcc_lo, v8, v3
	s_wait_alu 0xfffe
	s_fmamk_f32 s2, s37, 0x4f800000, s2
	s_wait_alu 0xfffd
	v_add_co_ci_u32_e64 v7, null, v9, v3, vcc_lo
	v_xor_b32_e32 v5, v5, v3
	s_wait_alu 0xfffe
	v_s_rcp_f32 s2, s2
	s_delay_alu instid0(VALU_DEP_2) | instskip(SKIP_1) | instid1(TRANS32_DEP_1)
	v_xor_b32_e32 v7, v7, v3
	v_xor_b32_e32 v3, s42, v3
	s_mul_f32 s2, s2, 0x5f7ffffc
	s_wait_alu 0xfffe
	s_delay_alu instid0(SALU_CYCLE_2) | instskip(SKIP_1) | instid1(SALU_CYCLE_2)
	s_mul_f32 s37, s2, 0x2f800000
	s_wait_alu 0xfffe
	s_trunc_f32 s37, s37
	s_wait_alu 0xfffe
	s_delay_alu instid0(SALU_CYCLE_2) | instskip(SKIP_2) | instid1(SALU_CYCLE_1)
	s_fmamk_f32 s2, s37, 0xcf800000, s2
	s_cvt_u32_f32 s49, s37
	s_wait_alu 0xfffe
	s_cvt_u32_f32 s48, s2
	s_wait_alu 0xfffe
	s_delay_alu instid0(SALU_CYCLE_2) | instskip(NEXT) | instid1(SALU_CYCLE_1)
	s_mul_u64 s[64:65], s[50:51], s[48:49]
	s_mul_hi_u32 s69, s48, s65
	s_mul_i32 s68, s48, s65
	s_mul_hi_u32 s62, s48, s64
	s_mul_i32 s37, s49, s64
	s_wait_alu 0xfffe
	s_add_nc_u64 s[62:63], s[62:63], s[68:69]
	s_mul_hi_u32 s2, s49, s64
	s_mul_hi_u32 s43, s49, s65
	s_wait_alu 0xfffe
	s_add_co_u32 s37, s62, s37
	s_add_co_ci_u32 s66, s63, s2
	s_mul_i32 s64, s49, s65
	s_add_co_ci_u32 s65, s43, 0
	s_delay_alu instid0(SALU_CYCLE_1)
	s_add_nc_u64 s[62:63], s[66:67], s[64:65]
	s_mov_b32 s65, s17
	s_wait_alu 0xfffe
	s_add_co_u32 s48, s48, s62
	s_cselect_b32 s2, -1, 0
	s_wait_alu 0xfffe
	s_cmp_lg_u32 s2, 0
	s_add_co_ci_u32 s49, s49, s63
	s_mov_b32 s63, s17
	s_wait_alu 0xfffe
	s_mul_u64 s[50:51], s[50:51], s[48:49]
	s_wait_alu 0xfffe
	s_mul_hi_u32 s67, s48, s51
	s_mul_i32 s66, s48, s51
	s_mul_hi_u32 s64, s48, s50
	s_mul_i32 s37, s49, s50
	s_add_nc_u64 s[64:65], s[64:65], s[66:67]
	s_mul_hi_u32 s2, s49, s50
	s_mul_hi_u32 s43, s49, s51
	s_wait_alu 0xfffe
	s_add_co_u32 s37, s64, s37
	s_add_co_ci_u32 s62, s65, s2
	s_mul_i32 s50, s49, s51
	s_add_co_ci_u32 s51, s43, 0
	s_wait_alu 0xfffe
	s_add_nc_u64 s[50:51], s[62:63], s[50:51]
	s_wait_alu 0xfffe
	s_add_co_u32 s2, s48, s50
	s_cselect_b32 s37, -1, 0
	s_wait_alu 0xfffe
	v_mul_hi_u32 v15, v5, s2
	s_cmp_lg_u32 s37, 0
	v_mad_co_u64_u32 v[11:12], null, v7, s2, 0
	s_add_co_ci_u32 s37, s49, s51
	s_wait_alu 0xfffe
	v_mad_co_u64_u32 v[9:10], null, v5, s37, 0
	v_mad_co_u64_u32 v[13:14], null, v7, s37, 0
	s_delay_alu instid0(VALU_DEP_2) | instskip(SKIP_1) | instid1(VALU_DEP_3)
	v_add_co_u32 v9, vcc_lo, v15, v9
	s_wait_alu 0xfffd
	v_add_co_ci_u32_e64 v10, null, 0, v10, vcc_lo
	s_delay_alu instid0(VALU_DEP_2) | instskip(SKIP_1) | instid1(VALU_DEP_2)
	v_add_co_u32 v9, vcc_lo, v9, v11
	s_wait_alu 0xfffd
	v_add_co_ci_u32_e32 v9, vcc_lo, v10, v12, vcc_lo
	s_wait_alu 0xfffd
	v_add_co_ci_u32_e32 v10, vcc_lo, 0, v14, vcc_lo
	s_delay_alu instid0(VALU_DEP_2) | instskip(SKIP_1) | instid1(VALU_DEP_2)
	v_add_co_u32 v11, vcc_lo, v9, v13
	s_wait_alu 0xfffd
	v_add_co_ci_u32_e64 v12, null, 0, v10, vcc_lo
	s_delay_alu instid0(VALU_DEP_2) | instskip(SKIP_1) | instid1(VALU_DEP_3)
	v_mul_lo_u32 v13, s45, v11
	v_mad_co_u64_u32 v[9:10], null, s44, v11, 0
	v_mul_lo_u32 v14, s44, v12
	s_delay_alu instid0(VALU_DEP_2) | instskip(NEXT) | instid1(VALU_DEP_2)
	v_sub_co_u32 v5, vcc_lo, v5, v9
	v_add3_u32 v10, v10, v14, v13
	s_delay_alu instid0(VALU_DEP_1) | instskip(SKIP_2) | instid1(VALU_DEP_2)
	v_sub_nc_u32_e32 v13, v7, v10
	s_wait_alu 0xfffd
	v_sub_co_ci_u32_e64 v7, null, v7, v10, vcc_lo
	v_subrev_co_ci_u32_e64 v9, null, s45, v13, vcc_lo
	v_add_co_u32 v13, s2, v11, 2
	s_wait_alu 0xf1ff
	v_add_co_ci_u32_e64 v14, null, 0, v12, s2
	v_sub_co_u32 v15, s2, v5, s44
	s_wait_alu 0xf1ff
	v_subrev_co_ci_u32_e64 v9, null, 0, v9, s2
	s_delay_alu instid0(VALU_DEP_2) | instskip(SKIP_2) | instid1(VALU_DEP_3)
	v_cmp_le_u32_e32 vcc_lo, s44, v15
	s_wait_alu 0xfffd
	v_cndmask_b32_e64 v10, 0, -1, vcc_lo
	v_cmp_le_u32_e32 vcc_lo, s45, v9
	s_wait_alu 0xfffd
	v_cndmask_b32_e64 v15, 0, -1, vcc_lo
	;; [unrolled: 3-line block ×4, first 2 shown]
	v_cmp_eq_u32_e32 vcc_lo, s45, v9
	s_wait_alu 0xfffd
	v_cndmask_b32_e32 v9, v15, v10, vcc_lo
	v_add_co_u32 v10, vcc_lo, v11, 1
	s_wait_alu 0xfffd
	v_add_co_ci_u32_e64 v15, null, 0, v12, vcc_lo
	v_cmp_eq_u32_e32 vcc_lo, s45, v7
	s_wait_alu 0xfffd
	v_cndmask_b32_e32 v5, v16, v5, vcc_lo
	v_cmp_ne_u32_e32 vcc_lo, 0, v9
	s_delay_alu instid0(VALU_DEP_2) | instskip(SKIP_4) | instid1(VALU_DEP_2)
	v_cmp_ne_u32_e64 s2, 0, v5
	s_wait_alu 0xfffd
	v_cndmask_b32_e32 v5, v10, v13, vcc_lo
	v_cndmask_b32_e32 v7, v15, v14, vcc_lo
	s_wait_alu 0xf1ff
	v_cndmask_b32_e64 v5, v11, v5, s2
	s_delay_alu instid0(VALU_DEP_2) | instskip(NEXT) | instid1(VALU_DEP_2)
	v_cndmask_b32_e64 v7, v12, v7, s2
	v_xor_b32_e32 v5, v5, v3
	s_delay_alu instid0(VALU_DEP_2) | instskip(NEXT) | instid1(VALU_DEP_2)
	v_xor_b32_e32 v7, v7, v3
	v_sub_co_u32 v10, vcc_lo, v5, v3
	s_wait_alu 0xfffd
	s_delay_alu instid0(VALU_DEP_2)
	v_sub_co_ci_u32_e64 v11, null, v7, v3, vcc_lo
.LBB57_17:                              ;   in Loop: Header=BB57_15 Depth=2
	s_wait_alu 0xfffe
	s_and_not1_saveexec_b32 s2, s46
	s_cbranch_execz .LBB57_14
; %bb.18:                               ;   in Loop: Header=BB57_15 Depth=2
	v_cvt_f32_u32_e32 v3, s36
	s_sub_co_i32 s37, 0, s36
	v_mov_b32_e32 v11, v2
	s_delay_alu instid0(VALU_DEP_2) | instskip(NEXT) | instid1(TRANS32_DEP_1)
	v_rcp_iflag_f32_e32 v3, v3
	v_mul_f32_e32 v3, 0x4f7ffffe, v3
	s_delay_alu instid0(VALU_DEP_1) | instskip(SKIP_1) | instid1(VALU_DEP_1)
	v_cvt_u32_f32_e32 v3, v3
	s_wait_alu 0xfffe
	v_mul_lo_u32 v5, s37, v3
	s_delay_alu instid0(VALU_DEP_1) | instskip(NEXT) | instid1(VALU_DEP_1)
	v_mul_hi_u32 v5, v3, v5
	v_add_nc_u32_e32 v3, v3, v5
	s_delay_alu instid0(VALU_DEP_1) | instskip(NEXT) | instid1(VALU_DEP_1)
	v_mul_hi_u32 v3, v8, v3
	v_mul_lo_u32 v5, v3, s36
	v_add_nc_u32_e32 v7, 1, v3
	s_delay_alu instid0(VALU_DEP_2) | instskip(NEXT) | instid1(VALU_DEP_1)
	v_sub_nc_u32_e32 v5, v8, v5
	v_cmp_le_u32_e32 vcc_lo, s36, v5
	v_subrev_nc_u32_e32 v9, s36, v5
	s_wait_alu 0xfffd
	v_cndmask_b32_e32 v3, v3, v7, vcc_lo
	s_delay_alu instid0(VALU_DEP_1) | instskip(NEXT) | instid1(VALU_DEP_3)
	v_add_nc_u32_e32 v7, 1, v3
	v_cndmask_b32_e32 v5, v5, v9, vcc_lo
	s_delay_alu instid0(VALU_DEP_1) | instskip(SKIP_1) | instid1(VALU_DEP_3)
	v_cmp_le_u32_e32 vcc_lo, s36, v5
	s_wait_alu 0xfffd
	v_cndmask_b32_e32 v10, v3, v7, vcc_lo
	s_branch .LBB57_14
.LBB57_19:                              ;   in Loop: Header=BB57_3 Depth=1
	s_mov_b32 s2, s16
	s_and_b32 vcc_lo, exec_lo, s58
	s_wait_alu 0xfffe
	s_mov_b32 s16, s2
	s_cbranch_vccz .LBB57_38
.LBB57_20:                              ;   Parent Loop BB57_3 Depth=1
                                        ; =>  This Inner Loop Header: Depth=2
	s_wait_alu 0xfffe
	s_lshl_b64 s[46:47], s[16:17], 2
                                        ; implicit-def: $vgpr10_vgpr11
	s_mov_b32 s2, exec_lo
	s_wait_alu 0xfffe
	s_add_nc_u64 s[40:41], s[12:13], s[46:47]
	s_load_b32 s36, s[40:41], 0x8
	s_wait_kmcnt 0x0
	s_ashr_i32 s37, s36, 31
	s_wait_alu 0xfffe
	v_or_b32_e32 v3, s37, v9
	s_delay_alu instid0(VALU_DEP_1)
	v_cmpx_ne_u64_e32 0, v[2:3]
	s_xor_b32 s35, exec_lo, s2
	s_cbranch_execz .LBB57_22
; %bb.21:                               ;   in Loop: Header=BB57_20 Depth=2
	s_ashr_i32 s38, s37, 31
	s_mov_b32 s51, s17
	s_wait_alu 0xfffe
	s_mov_b32 s39, s38
	s_mov_b32 s65, s17
	s_wait_alu 0xfffe
	s_add_nc_u64 s[42:43], s[36:37], s[38:39]
	v_ashrrev_i32_e32 v3, 31, v9
	s_wait_alu 0xfffe
	s_xor_b64 s[42:43], s[42:43], s[38:39]
	s_wait_alu 0xfffe
	s_cvt_f32_u32 s2, s42
	s_cvt_f32_u32 s37, s43
	s_sub_nc_u64 s[48:49], 0, s[42:43]
	v_add_co_u32 v5, vcc_lo, v8, v3
	s_wait_alu 0xfffe
	s_fmamk_f32 s2, s37, 0x4f800000, s2
	s_wait_alu 0xfffd
	v_add_co_ci_u32_e64 v7, null, v9, v3, vcc_lo
	v_xor_b32_e32 v5, v5, v3
	s_wait_alu 0xfffe
	v_s_rcp_f32 s2, s2
	s_delay_alu instid0(VALU_DEP_2) | instskip(SKIP_1) | instid1(TRANS32_DEP_1)
	v_xor_b32_e32 v7, v7, v3
	v_xor_b32_e32 v3, s38, v3
	s_mul_f32 s2, s2, 0x5f7ffffc
	s_wait_alu 0xfffe
	s_delay_alu instid0(SALU_CYCLE_2) | instskip(SKIP_1) | instid1(SALU_CYCLE_2)
	s_mul_f32 s37, s2, 0x2f800000
	s_wait_alu 0xfffe
	s_trunc_f32 s37, s37
	s_wait_alu 0xfffe
	s_delay_alu instid0(SALU_CYCLE_2) | instskip(SKIP_2) | instid1(SALU_CYCLE_1)
	s_fmamk_f32 s2, s37, 0xcf800000, s2
	s_cvt_u32_f32 s45, s37
	s_wait_alu 0xfffe
	s_cvt_u32_f32 s44, s2
	s_wait_alu 0xfffe
	s_delay_alu instid0(SALU_CYCLE_2)
	s_mul_u64 s[62:63], s[48:49], s[44:45]
	s_wait_alu 0xfffe
	s_mul_hi_u32 s67, s44, s63
	s_mul_i32 s66, s44, s63
	s_mul_hi_u32 s50, s44, s62
	s_mul_i32 s37, s45, s62
	s_wait_alu 0xfffe
	s_add_nc_u64 s[50:51], s[50:51], s[66:67]
	s_mul_hi_u32 s2, s45, s62
	s_mul_hi_u32 s39, s45, s63
	s_wait_alu 0xfffe
	s_add_co_u32 s37, s50, s37
	s_add_co_ci_u32 s64, s51, s2
	s_mul_i32 s62, s45, s63
	s_add_co_ci_u32 s63, s39, 0
	s_wait_alu 0xfffe
	s_add_nc_u64 s[50:51], s[64:65], s[62:63]
	s_mov_b32 s63, s17
	s_wait_alu 0xfffe
	s_add_co_u32 s44, s44, s50
	s_cselect_b32 s2, -1, 0
	s_wait_alu 0xfffe
	s_cmp_lg_u32 s2, 0
	s_add_co_ci_u32 s45, s45, s51
	s_mov_b32 s51, s17
	s_wait_alu 0xfffe
	s_mul_u64 s[48:49], s[48:49], s[44:45]
	s_wait_alu 0xfffe
	s_mul_hi_u32 s65, s44, s49
	s_mul_i32 s64, s44, s49
	s_mul_hi_u32 s62, s44, s48
	s_mul_i32 s37, s45, s48
	s_wait_alu 0xfffe
	s_add_nc_u64 s[62:63], s[62:63], s[64:65]
	s_mul_hi_u32 s2, s45, s48
	s_mul_hi_u32 s39, s45, s49
	s_wait_alu 0xfffe
	s_add_co_u32 s37, s62, s37
	s_add_co_ci_u32 s50, s63, s2
	s_mul_i32 s48, s45, s49
	s_add_co_ci_u32 s49, s39, 0
	s_wait_alu 0xfffe
	s_add_nc_u64 s[48:49], s[50:51], s[48:49]
	s_wait_alu 0xfffe
	s_add_co_u32 s2, s44, s48
	s_cselect_b32 s37, -1, 0
	s_wait_alu 0xfffe
	v_mul_hi_u32 v15, v5, s2
	s_cmp_lg_u32 s37, 0
	v_mad_co_u64_u32 v[11:12], null, v7, s2, 0
	s_add_co_ci_u32 s37, s45, s49
	s_wait_alu 0xfffe
	v_mad_co_u64_u32 v[9:10], null, v5, s37, 0
	v_mad_co_u64_u32 v[13:14], null, v7, s37, 0
	s_delay_alu instid0(VALU_DEP_2) | instskip(SKIP_1) | instid1(VALU_DEP_3)
	v_add_co_u32 v9, vcc_lo, v15, v9
	s_wait_alu 0xfffd
	v_add_co_ci_u32_e64 v10, null, 0, v10, vcc_lo
	s_delay_alu instid0(VALU_DEP_2) | instskip(SKIP_1) | instid1(VALU_DEP_2)
	v_add_co_u32 v9, vcc_lo, v9, v11
	s_wait_alu 0xfffd
	v_add_co_ci_u32_e32 v9, vcc_lo, v10, v12, vcc_lo
	s_wait_alu 0xfffd
	v_add_co_ci_u32_e32 v10, vcc_lo, 0, v14, vcc_lo
	s_delay_alu instid0(VALU_DEP_2) | instskip(SKIP_1) | instid1(VALU_DEP_2)
	v_add_co_u32 v11, vcc_lo, v9, v13
	s_wait_alu 0xfffd
	v_add_co_ci_u32_e64 v12, null, 0, v10, vcc_lo
	s_delay_alu instid0(VALU_DEP_2) | instskip(SKIP_1) | instid1(VALU_DEP_3)
	v_mul_lo_u32 v13, s43, v11
	v_mad_co_u64_u32 v[9:10], null, s42, v11, 0
	v_mul_lo_u32 v14, s42, v12
	s_delay_alu instid0(VALU_DEP_2) | instskip(NEXT) | instid1(VALU_DEP_2)
	v_sub_co_u32 v5, vcc_lo, v5, v9
	v_add3_u32 v10, v10, v14, v13
	s_delay_alu instid0(VALU_DEP_1) | instskip(SKIP_2) | instid1(VALU_DEP_2)
	v_sub_nc_u32_e32 v13, v7, v10
	s_wait_alu 0xfffd
	v_sub_co_ci_u32_e64 v7, null, v7, v10, vcc_lo
	v_subrev_co_ci_u32_e64 v9, null, s43, v13, vcc_lo
	v_add_co_u32 v13, s2, v11, 2
	s_wait_alu 0xf1ff
	v_add_co_ci_u32_e64 v14, null, 0, v12, s2
	v_sub_co_u32 v15, s2, v5, s42
	s_wait_alu 0xf1ff
	v_subrev_co_ci_u32_e64 v9, null, 0, v9, s2
	s_delay_alu instid0(VALU_DEP_2) | instskip(SKIP_2) | instid1(VALU_DEP_3)
	v_cmp_le_u32_e32 vcc_lo, s42, v15
	s_wait_alu 0xfffd
	v_cndmask_b32_e64 v10, 0, -1, vcc_lo
	v_cmp_le_u32_e32 vcc_lo, s43, v9
	s_wait_alu 0xfffd
	v_cndmask_b32_e64 v15, 0, -1, vcc_lo
	;; [unrolled: 3-line block ×4, first 2 shown]
	v_cmp_eq_u32_e32 vcc_lo, s43, v9
	s_wait_alu 0xfffd
	v_cndmask_b32_e32 v9, v15, v10, vcc_lo
	v_add_co_u32 v10, vcc_lo, v11, 1
	s_wait_alu 0xfffd
	v_add_co_ci_u32_e64 v15, null, 0, v12, vcc_lo
	v_cmp_eq_u32_e32 vcc_lo, s43, v7
	s_wait_alu 0xfffd
	v_cndmask_b32_e32 v5, v16, v5, vcc_lo
	v_cmp_ne_u32_e32 vcc_lo, 0, v9
	s_delay_alu instid0(VALU_DEP_2) | instskip(SKIP_4) | instid1(VALU_DEP_2)
	v_cmp_ne_u32_e64 s2, 0, v5
	s_wait_alu 0xfffd
	v_cndmask_b32_e32 v5, v10, v13, vcc_lo
	v_cndmask_b32_e32 v7, v15, v14, vcc_lo
	s_wait_alu 0xf1ff
	v_cndmask_b32_e64 v5, v11, v5, s2
	s_delay_alu instid0(VALU_DEP_2) | instskip(NEXT) | instid1(VALU_DEP_2)
	v_cndmask_b32_e64 v7, v12, v7, s2
	v_xor_b32_e32 v5, v5, v3
	s_delay_alu instid0(VALU_DEP_2) | instskip(NEXT) | instid1(VALU_DEP_2)
	v_xor_b32_e32 v7, v7, v3
	v_sub_co_u32 v10, vcc_lo, v5, v3
	s_wait_alu 0xfffd
	s_delay_alu instid0(VALU_DEP_2)
	v_sub_co_ci_u32_e64 v11, null, v7, v3, vcc_lo
.LBB57_22:                              ;   in Loop: Header=BB57_20 Depth=2
	s_wait_alu 0xfffe
	s_and_not1_saveexec_b32 s2, s35
	s_cbranch_execz .LBB57_24
; %bb.23:                               ;   in Loop: Header=BB57_20 Depth=2
	v_cvt_f32_u32_e32 v3, s36
	s_sub_co_i32 s35, 0, s36
	v_mov_b32_e32 v11, v2
	s_delay_alu instid0(VALU_DEP_2) | instskip(NEXT) | instid1(TRANS32_DEP_1)
	v_rcp_iflag_f32_e32 v3, v3
	v_mul_f32_e32 v3, 0x4f7ffffe, v3
	s_delay_alu instid0(VALU_DEP_1) | instskip(SKIP_1) | instid1(VALU_DEP_1)
	v_cvt_u32_f32_e32 v3, v3
	s_wait_alu 0xfffe
	v_mul_lo_u32 v5, s35, v3
	s_delay_alu instid0(VALU_DEP_1) | instskip(NEXT) | instid1(VALU_DEP_1)
	v_mul_hi_u32 v5, v3, v5
	v_add_nc_u32_e32 v3, v3, v5
	s_delay_alu instid0(VALU_DEP_1) | instskip(NEXT) | instid1(VALU_DEP_1)
	v_mul_hi_u32 v3, v8, v3
	v_mul_lo_u32 v5, v3, s36
	v_add_nc_u32_e32 v7, 1, v3
	s_delay_alu instid0(VALU_DEP_2) | instskip(NEXT) | instid1(VALU_DEP_1)
	v_sub_nc_u32_e32 v5, v8, v5
	v_cmp_le_u32_e32 vcc_lo, s36, v5
	v_subrev_nc_u32_e32 v9, s36, v5
	s_wait_alu 0xfffd
	v_cndmask_b32_e32 v3, v3, v7, vcc_lo
	s_delay_alu instid0(VALU_DEP_1) | instskip(NEXT) | instid1(VALU_DEP_3)
	v_add_nc_u32_e32 v7, 1, v3
	v_cndmask_b32_e32 v5, v5, v9, vcc_lo
	s_delay_alu instid0(VALU_DEP_1) | instskip(SKIP_1) | instid1(VALU_DEP_3)
	v_cmp_le_u32_e32 vcc_lo, s36, v5
	s_wait_alu 0xfffd
	v_cndmask_b32_e32 v10, v3, v7, vcc_lo
.LBB57_24:                              ;   in Loop: Header=BB57_20 Depth=2
	s_wait_alu 0xfffe
	s_or_b32 exec_lo, exec_lo, s2
	s_add_co_i32 s38, s16, -1
	s_mov_b32 s39, s17
	s_add_nc_u64 s[46:47], s[0:1], s[46:47]
	s_wait_alu 0xfffe
	s_lshl_b64 s[44:45], s[38:39], 2
                                        ; implicit-def: $vgpr12_vgpr13
	s_mov_b32 s2, exec_lo
	s_wait_alu 0xfffe
	s_add_nc_u64 s[42:43], s[12:13], s[44:45]
	s_clause 0x2
	s_load_b32 s38, s[42:43], 0x8
	s_load_b32 s35, s[40:41], 0x6c
	;; [unrolled: 1-line block ×3, first 2 shown]
	s_wait_kmcnt 0x0
	s_ashr_i32 s39, s38, 31
	s_wait_alu 0xfffe
	v_or_b32_e32 v3, s39, v11
	s_delay_alu instid0(VALU_DEP_1)
	v_cmpx_ne_u64_e32 0, v[2:3]
	s_xor_b32 s48, exec_lo, s2
	s_cbranch_execz .LBB57_26
; %bb.25:                               ;   in Loop: Header=BB57_20 Depth=2
	s_ashr_i32 s40, s39, 31
	s_mov_b32 s65, s17
	s_wait_alu 0xfffe
	s_mov_b32 s41, s40
	s_mov_b32 s69, s17
	s_wait_alu 0xfffe
	s_add_nc_u64 s[46:47], s[38:39], s[40:41]
	v_ashrrev_i32_e32 v3, 31, v11
	s_wait_alu 0xfffe
	s_xor_b64 s[46:47], s[46:47], s[40:41]
	s_wait_alu 0xfffe
	s_cvt_f32_u32 s2, s46
	s_cvt_f32_u32 s39, s47
	s_sub_nc_u64 s[62:63], 0, s[46:47]
	v_add_co_u32 v5, vcc_lo, v10, v3
	s_wait_alu 0xfffe
	s_fmamk_f32 s2, s39, 0x4f800000, s2
	s_wait_alu 0xfffd
	v_add_co_ci_u32_e64 v7, null, v11, v3, vcc_lo
	v_xor_b32_e32 v5, v5, v3
	s_wait_alu 0xfffe
	v_s_rcp_f32 s2, s2
	s_delay_alu instid0(VALU_DEP_2) | instskip(SKIP_1) | instid1(TRANS32_DEP_1)
	v_xor_b32_e32 v7, v7, v3
	v_xor_b32_e32 v3, s40, v3
	s_mul_f32 s2, s2, 0x5f7ffffc
	s_wait_alu 0xfffe
	s_delay_alu instid0(SALU_CYCLE_2) | instskip(SKIP_1) | instid1(SALU_CYCLE_2)
	s_mul_f32 s39, s2, 0x2f800000
	s_wait_alu 0xfffe
	s_trunc_f32 s39, s39
	s_wait_alu 0xfffe
	s_delay_alu instid0(SALU_CYCLE_2) | instskip(SKIP_2) | instid1(SALU_CYCLE_1)
	s_fmamk_f32 s2, s39, 0xcf800000, s2
	s_cvt_u32_f32 s51, s39
	s_wait_alu 0xfffe
	s_cvt_u32_f32 s50, s2
	s_wait_alu 0xfffe
	s_delay_alu instid0(SALU_CYCLE_2) | instskip(NEXT) | instid1(SALU_CYCLE_1)
	s_mul_u64 s[66:67], s[62:63], s[50:51]
	s_mul_hi_u32 s71, s50, s67
	s_mul_i32 s70, s50, s67
	s_mul_hi_u32 s64, s50, s66
	s_mul_i32 s39, s51, s66
	s_add_nc_u64 s[64:65], s[64:65], s[70:71]
	s_mul_hi_u32 s2, s51, s66
	s_mul_hi_u32 s41, s51, s67
	s_wait_alu 0xfffe
	s_add_co_u32 s39, s64, s39
	s_add_co_ci_u32 s68, s65, s2
	s_mul_i32 s66, s51, s67
	s_add_co_ci_u32 s67, s41, 0
	s_delay_alu instid0(SALU_CYCLE_1)
	s_add_nc_u64 s[64:65], s[68:69], s[66:67]
	s_mov_b32 s67, s17
	s_add_co_u32 s50, s50, s64
	s_cselect_b32 s2, -1, 0
	s_wait_alu 0xfffe
	s_cmp_lg_u32 s2, 0
	s_add_co_ci_u32 s51, s51, s65
	s_mov_b32 s65, s17
	s_wait_alu 0xfffe
	s_mul_u64 s[62:63], s[62:63], s[50:51]
	s_wait_alu 0xfffe
	s_mul_hi_u32 s69, s50, s63
	s_mul_i32 s68, s50, s63
	s_mul_hi_u32 s66, s50, s62
	s_mul_i32 s39, s51, s62
	s_add_nc_u64 s[66:67], s[66:67], s[68:69]
	s_mul_hi_u32 s2, s51, s62
	s_mul_hi_u32 s41, s51, s63
	s_wait_alu 0xfffe
	s_add_co_u32 s39, s66, s39
	s_add_co_ci_u32 s64, s67, s2
	s_mul_i32 s62, s51, s63
	s_add_co_ci_u32 s63, s41, 0
	s_wait_alu 0xfffe
	s_add_nc_u64 s[62:63], s[64:65], s[62:63]
	s_wait_alu 0xfffe
	s_add_co_u32 s2, s50, s62
	s_cselect_b32 s39, -1, 0
	s_wait_alu 0xfffe
	v_mul_hi_u32 v9, v5, s2
	s_cmp_lg_u32 s39, 0
	v_mad_co_u64_u32 v[13:14], null, v7, s2, 0
	s_add_co_ci_u32 s39, s51, s63
	s_wait_alu 0xfffe
	v_mad_co_u64_u32 v[11:12], null, v5, s39, 0
	v_mad_co_u64_u32 v[15:16], null, v7, s39, 0
	s_delay_alu instid0(VALU_DEP_2) | instskip(SKIP_1) | instid1(VALU_DEP_3)
	v_add_co_u32 v9, vcc_lo, v9, v11
	s_wait_alu 0xfffd
	v_add_co_ci_u32_e64 v11, null, 0, v12, vcc_lo
	s_delay_alu instid0(VALU_DEP_2) | instskip(SKIP_1) | instid1(VALU_DEP_2)
	v_add_co_u32 v9, vcc_lo, v9, v13
	s_wait_alu 0xfffd
	v_add_co_ci_u32_e32 v9, vcc_lo, v11, v14, vcc_lo
	s_wait_alu 0xfffd
	v_add_co_ci_u32_e32 v11, vcc_lo, 0, v16, vcc_lo
	s_delay_alu instid0(VALU_DEP_2) | instskip(SKIP_1) | instid1(VALU_DEP_2)
	v_add_co_u32 v9, vcc_lo, v9, v15
	s_wait_alu 0xfffd
	v_add_co_ci_u32_e64 v13, null, 0, v11, vcc_lo
	s_delay_alu instid0(VALU_DEP_2) | instskip(SKIP_1) | instid1(VALU_DEP_3)
	v_mul_lo_u32 v14, s47, v9
	v_mad_co_u64_u32 v[11:12], null, s46, v9, 0
	v_mul_lo_u32 v15, s46, v13
	s_delay_alu instid0(VALU_DEP_2) | instskip(NEXT) | instid1(VALU_DEP_2)
	v_sub_co_u32 v5, vcc_lo, v5, v11
	v_add3_u32 v12, v12, v15, v14
	s_delay_alu instid0(VALU_DEP_1) | instskip(SKIP_2) | instid1(VALU_DEP_2)
	v_sub_nc_u32_e32 v14, v7, v12
	s_wait_alu 0xfffd
	v_sub_co_ci_u32_e64 v7, null, v7, v12, vcc_lo
	v_subrev_co_ci_u32_e64 v11, null, s47, v14, vcc_lo
	v_add_co_u32 v14, s2, v9, 2
	s_wait_alu 0xf1ff
	v_add_co_ci_u32_e64 v15, null, 0, v13, s2
	v_sub_co_u32 v16, s2, v5, s46
	s_wait_alu 0xf1ff
	v_subrev_co_ci_u32_e64 v11, null, 0, v11, s2
	s_delay_alu instid0(VALU_DEP_2) | instskip(SKIP_2) | instid1(VALU_DEP_3)
	v_cmp_le_u32_e32 vcc_lo, s46, v16
	s_wait_alu 0xfffd
	v_cndmask_b32_e64 v12, 0, -1, vcc_lo
	v_cmp_le_u32_e32 vcc_lo, s47, v11
	s_wait_alu 0xfffd
	v_cndmask_b32_e64 v16, 0, -1, vcc_lo
	v_cmp_le_u32_e32 vcc_lo, s46, v5
	s_wait_alu 0xfffd
	v_cndmask_b32_e64 v5, 0, -1, vcc_lo
	v_cmp_le_u32_e32 vcc_lo, s47, v7
	s_wait_alu 0xfffd
	v_cndmask_b32_e64 v17, 0, -1, vcc_lo
	v_cmp_eq_u32_e32 vcc_lo, s47, v11
	s_wait_alu 0xfffd
	v_cndmask_b32_e32 v11, v16, v12, vcc_lo
	v_add_co_u32 v12, vcc_lo, v9, 1
	s_wait_alu 0xfffd
	v_add_co_ci_u32_e64 v16, null, 0, v13, vcc_lo
	v_cmp_eq_u32_e32 vcc_lo, s47, v7
	s_wait_alu 0xfffd
	v_cndmask_b32_e32 v5, v17, v5, vcc_lo
	v_cmp_ne_u32_e32 vcc_lo, 0, v11
	s_delay_alu instid0(VALU_DEP_2) | instskip(SKIP_4) | instid1(VALU_DEP_2)
	v_cmp_ne_u32_e64 s2, 0, v5
	s_wait_alu 0xfffd
	v_cndmask_b32_e32 v5, v12, v14, vcc_lo
	v_cndmask_b32_e32 v7, v16, v15, vcc_lo
	s_wait_alu 0xf1ff
	v_cndmask_b32_e64 v5, v9, v5, s2
	s_delay_alu instid0(VALU_DEP_2) | instskip(NEXT) | instid1(VALU_DEP_2)
	v_cndmask_b32_e64 v7, v13, v7, s2
	v_xor_b32_e32 v5, v5, v3
	s_delay_alu instid0(VALU_DEP_2) | instskip(NEXT) | instid1(VALU_DEP_2)
	v_xor_b32_e32 v7, v7, v3
	v_sub_co_u32 v12, vcc_lo, v5, v3
	s_wait_alu 0xfffd
	s_delay_alu instid0(VALU_DEP_2)
	v_sub_co_ci_u32_e64 v13, null, v7, v3, vcc_lo
.LBB57_26:                              ;   in Loop: Header=BB57_20 Depth=2
	s_wait_alu 0xfffe
	s_and_not1_saveexec_b32 s2, s48
	s_cbranch_execz .LBB57_28
; %bb.27:                               ;   in Loop: Header=BB57_20 Depth=2
	v_cvt_f32_u32_e32 v3, s38
	s_sub_co_i32 s39, 0, s38
	v_mov_b32_e32 v13, v2
	s_delay_alu instid0(VALU_DEP_2) | instskip(NEXT) | instid1(TRANS32_DEP_1)
	v_rcp_iflag_f32_e32 v3, v3
	v_mul_f32_e32 v3, 0x4f7ffffe, v3
	s_delay_alu instid0(VALU_DEP_1) | instskip(SKIP_1) | instid1(VALU_DEP_1)
	v_cvt_u32_f32_e32 v3, v3
	s_wait_alu 0xfffe
	v_mul_lo_u32 v5, s39, v3
	s_delay_alu instid0(VALU_DEP_1) | instskip(NEXT) | instid1(VALU_DEP_1)
	v_mul_hi_u32 v5, v3, v5
	v_add_nc_u32_e32 v3, v3, v5
	s_delay_alu instid0(VALU_DEP_1) | instskip(NEXT) | instid1(VALU_DEP_1)
	v_mul_hi_u32 v3, v10, v3
	v_mul_lo_u32 v5, v3, s38
	v_add_nc_u32_e32 v7, 1, v3
	s_delay_alu instid0(VALU_DEP_2) | instskip(NEXT) | instid1(VALU_DEP_1)
	v_sub_nc_u32_e32 v5, v10, v5
	v_cmp_le_u32_e32 vcc_lo, s38, v5
	v_subrev_nc_u32_e32 v9, s38, v5
	s_wait_alu 0xfffd
	v_cndmask_b32_e32 v3, v3, v7, vcc_lo
	s_delay_alu instid0(VALU_DEP_1) | instskip(NEXT) | instid1(VALU_DEP_3)
	v_add_nc_u32_e32 v7, 1, v3
	v_cndmask_b32_e32 v5, v5, v9, vcc_lo
	s_delay_alu instid0(VALU_DEP_1) | instskip(SKIP_1) | instid1(VALU_DEP_3)
	v_cmp_le_u32_e32 vcc_lo, s38, v5
	s_wait_alu 0xfffd
	v_cndmask_b32_e32 v12, v3, v7, vcc_lo
.LBB57_28:                              ;   in Loop: Header=BB57_20 Depth=2
	s_wait_alu 0xfffe
	s_or_b32 exec_lo, exec_lo, s2
	s_add_co_i32 s40, s16, -2
	s_mov_b32 s41, s17
	s_add_nc_u64 s[44:45], s[0:1], s[44:45]
	s_wait_alu 0xfffe
	s_lshl_b64 s[50:51], s[40:41], 2
                                        ; implicit-def: $vgpr14_vgpr15
	s_mov_b32 s2, exec_lo
	s_wait_alu 0xfffe
	s_add_nc_u64 s[48:49], s[12:13], s[50:51]
	s_clause 0x2
	s_load_b32 s40, s[48:49], 0x8
	s_load_b32 s39, s[42:43], 0x6c
	;; [unrolled: 1-line block ×3, first 2 shown]
	s_wait_kmcnt 0x0
	s_ashr_i32 s41, s40, 31
	s_wait_alu 0xfffe
	v_or_b32_e32 v3, s41, v13
	s_delay_alu instid0(VALU_DEP_1)
	v_cmpx_ne_u64_e32 0, v[2:3]
	s_xor_b32 s46, exec_lo, s2
	s_cbranch_execz .LBB57_30
; %bb.29:                               ;   in Loop: Header=BB57_20 Depth=2
	s_ashr_i32 s42, s41, 31
	s_mov_b32 s69, s17
	s_wait_alu 0xfffe
	s_mov_b32 s43, s42
	s_mov_b32 s73, s17
	s_wait_alu 0xfffe
	s_add_nc_u64 s[44:45], s[40:41], s[42:43]
	v_ashrrev_i32_e32 v3, 31, v13
	s_wait_alu 0xfffe
	s_xor_b64 s[44:45], s[44:45], s[42:43]
	s_wait_alu 0xfffe
	s_cvt_f32_u32 s2, s44
	s_cvt_f32_u32 s41, s45
	s_sub_nc_u64 s[66:67], 0, s[44:45]
	v_add_co_u32 v5, vcc_lo, v12, v3
	s_wait_alu 0xfffe
	s_fmamk_f32 s2, s41, 0x4f800000, s2
	s_wait_alu 0xfffd
	v_add_co_ci_u32_e64 v7, null, v13, v3, vcc_lo
	v_xor_b32_e32 v5, v5, v3
	s_wait_alu 0xfffe
	v_s_rcp_f32 s2, s2
	s_delay_alu instid0(VALU_DEP_2) | instskip(SKIP_1) | instid1(TRANS32_DEP_1)
	v_xor_b32_e32 v7, v7, v3
	v_xor_b32_e32 v3, s42, v3
	s_mul_f32 s2, s2, 0x5f7ffffc
	s_wait_alu 0xfffe
	s_delay_alu instid0(SALU_CYCLE_2) | instskip(SKIP_1) | instid1(SALU_CYCLE_2)
	s_mul_f32 s41, s2, 0x2f800000
	s_wait_alu 0xfffe
	s_trunc_f32 s41, s41
	s_wait_alu 0xfffe
	s_delay_alu instid0(SALU_CYCLE_2) | instskip(SKIP_2) | instid1(SALU_CYCLE_1)
	s_fmamk_f32 s2, s41, 0xcf800000, s2
	s_cvt_u32_f32 s65, s41
	s_wait_alu 0xfffe
	s_cvt_u32_f32 s64, s2
	s_delay_alu instid0(SALU_CYCLE_3) | instskip(NEXT) | instid1(SALU_CYCLE_1)
	s_mul_u64 s[70:71], s[66:67], s[64:65]
	s_mul_hi_u32 s75, s64, s71
	s_mul_i32 s74, s64, s71
	s_mul_hi_u32 s68, s64, s70
	s_mul_i32 s41, s65, s70
	s_add_nc_u64 s[68:69], s[68:69], s[74:75]
	s_mul_hi_u32 s2, s65, s70
	s_mul_hi_u32 s43, s65, s71
	s_wait_alu 0xfffe
	s_add_co_u32 s41, s68, s41
	s_add_co_ci_u32 s72, s69, s2
	s_mul_i32 s70, s65, s71
	s_add_co_ci_u32 s71, s43, 0
	s_delay_alu instid0(SALU_CYCLE_1)
	s_add_nc_u64 s[68:69], s[72:73], s[70:71]
	s_mov_b32 s71, s17
	s_add_co_u32 s64, s64, s68
	s_cselect_b32 s2, -1, 0
	s_wait_alu 0xfffe
	s_cmp_lg_u32 s2, 0
	s_add_co_ci_u32 s65, s65, s69
	s_mov_b32 s69, s17
	s_mul_u64 s[66:67], s[66:67], s[64:65]
	s_delay_alu instid0(SALU_CYCLE_1)
	s_mul_hi_u32 s73, s64, s67
	s_mul_i32 s72, s64, s67
	s_mul_hi_u32 s70, s64, s66
	s_mul_i32 s41, s65, s66
	s_add_nc_u64 s[70:71], s[70:71], s[72:73]
	s_mul_hi_u32 s2, s65, s66
	s_mul_hi_u32 s43, s65, s67
	s_wait_alu 0xfffe
	s_add_co_u32 s41, s70, s41
	s_add_co_ci_u32 s68, s71, s2
	s_mul_i32 s66, s65, s67
	s_add_co_ci_u32 s67, s43, 0
	s_delay_alu instid0(SALU_CYCLE_1) | instskip(NEXT) | instid1(SALU_CYCLE_1)
	s_add_nc_u64 s[66:67], s[68:69], s[66:67]
	s_add_co_u32 s2, s64, s66
	s_cselect_b32 s41, -1, 0
	s_wait_alu 0xfffe
	v_mul_hi_u32 v9, v5, s2
	s_cmp_lg_u32 s41, 0
	v_mad_co_u64_u32 v[15:16], null, v7, s2, 0
	s_add_co_ci_u32 s41, s65, s67
	s_wait_alu 0xfffe
	v_mad_co_u64_u32 v[13:14], null, v5, s41, 0
	v_mad_co_u64_u32 v[22:23], null, v7, s41, 0
	s_delay_alu instid0(VALU_DEP_2) | instskip(SKIP_1) | instid1(VALU_DEP_3)
	v_add_co_u32 v9, vcc_lo, v9, v13
	s_wait_alu 0xfffd
	v_add_co_ci_u32_e64 v11, null, 0, v14, vcc_lo
	s_delay_alu instid0(VALU_DEP_2) | instskip(SKIP_1) | instid1(VALU_DEP_2)
	v_add_co_u32 v9, vcc_lo, v9, v15
	s_wait_alu 0xfffd
	v_add_co_ci_u32_e32 v9, vcc_lo, v11, v16, vcc_lo
	s_wait_alu 0xfffd
	v_add_co_ci_u32_e32 v11, vcc_lo, 0, v23, vcc_lo
	s_delay_alu instid0(VALU_DEP_2) | instskip(SKIP_1) | instid1(VALU_DEP_2)
	v_add_co_u32 v9, vcc_lo, v9, v22
	s_wait_alu 0xfffd
	v_add_co_ci_u32_e64 v11, null, 0, v11, vcc_lo
	s_delay_alu instid0(VALU_DEP_2) | instskip(SKIP_1) | instid1(VALU_DEP_3)
	v_mul_lo_u32 v15, s45, v9
	v_mad_co_u64_u32 v[13:14], null, s44, v9, 0
	v_mul_lo_u32 v16, s44, v11
	s_delay_alu instid0(VALU_DEP_2) | instskip(NEXT) | instid1(VALU_DEP_2)
	v_sub_co_u32 v5, vcc_lo, v5, v13
	v_add3_u32 v14, v14, v16, v15
	s_delay_alu instid0(VALU_DEP_1) | instskip(SKIP_2) | instid1(VALU_DEP_2)
	v_sub_nc_u32_e32 v15, v7, v14
	s_wait_alu 0xfffd
	v_sub_co_ci_u32_e64 v7, null, v7, v14, vcc_lo
	v_subrev_co_ci_u32_e64 v13, null, s45, v15, vcc_lo
	v_add_co_u32 v15, s2, v9, 2
	s_wait_alu 0xf1ff
	v_add_co_ci_u32_e64 v16, null, 0, v11, s2
	v_sub_co_u32 v17, s2, v5, s44
	s_wait_alu 0xf1ff
	v_subrev_co_ci_u32_e64 v13, null, 0, v13, s2
	s_delay_alu instid0(VALU_DEP_2) | instskip(SKIP_2) | instid1(VALU_DEP_3)
	v_cmp_le_u32_e32 vcc_lo, s44, v17
	s_wait_alu 0xfffd
	v_cndmask_b32_e64 v14, 0, -1, vcc_lo
	v_cmp_le_u32_e32 vcc_lo, s45, v13
	s_wait_alu 0xfffd
	v_cndmask_b32_e64 v17, 0, -1, vcc_lo
	;; [unrolled: 3-line block ×4, first 2 shown]
	v_cmp_eq_u32_e32 vcc_lo, s45, v13
	s_wait_alu 0xfffd
	v_cndmask_b32_e32 v13, v17, v14, vcc_lo
	v_add_co_u32 v14, vcc_lo, v9, 1
	s_wait_alu 0xfffd
	v_add_co_ci_u32_e64 v17, null, 0, v11, vcc_lo
	v_cmp_eq_u32_e32 vcc_lo, s45, v7
	s_wait_alu 0xfffd
	v_cndmask_b32_e32 v5, v22, v5, vcc_lo
	v_cmp_ne_u32_e32 vcc_lo, 0, v13
	s_delay_alu instid0(VALU_DEP_2) | instskip(SKIP_4) | instid1(VALU_DEP_2)
	v_cmp_ne_u32_e64 s2, 0, v5
	s_wait_alu 0xfffd
	v_cndmask_b32_e32 v5, v14, v15, vcc_lo
	v_cndmask_b32_e32 v7, v17, v16, vcc_lo
	s_wait_alu 0xf1ff
	v_cndmask_b32_e64 v5, v9, v5, s2
	s_delay_alu instid0(VALU_DEP_2) | instskip(NEXT) | instid1(VALU_DEP_2)
	v_cndmask_b32_e64 v7, v11, v7, s2
	v_xor_b32_e32 v5, v5, v3
	s_delay_alu instid0(VALU_DEP_2) | instskip(NEXT) | instid1(VALU_DEP_2)
	v_xor_b32_e32 v7, v7, v3
	v_sub_co_u32 v14, vcc_lo, v5, v3
	s_wait_alu 0xfffd
	s_delay_alu instid0(VALU_DEP_2)
	v_sub_co_ci_u32_e64 v15, null, v7, v3, vcc_lo
.LBB57_30:                              ;   in Loop: Header=BB57_20 Depth=2
	s_wait_alu 0xfffe
	s_and_not1_saveexec_b32 s2, s46
	s_cbranch_execz .LBB57_32
; %bb.31:                               ;   in Loop: Header=BB57_20 Depth=2
	v_cvt_f32_u32_e32 v3, s40
	s_sub_co_i32 s41, 0, s40
	v_mov_b32_e32 v15, v2
	s_delay_alu instid0(VALU_DEP_2) | instskip(NEXT) | instid1(TRANS32_DEP_1)
	v_rcp_iflag_f32_e32 v3, v3
	v_mul_f32_e32 v3, 0x4f7ffffe, v3
	s_delay_alu instid0(VALU_DEP_1) | instskip(SKIP_1) | instid1(VALU_DEP_1)
	v_cvt_u32_f32_e32 v3, v3
	s_wait_alu 0xfffe
	v_mul_lo_u32 v5, s41, v3
	s_delay_alu instid0(VALU_DEP_1) | instskip(NEXT) | instid1(VALU_DEP_1)
	v_mul_hi_u32 v5, v3, v5
	v_add_nc_u32_e32 v3, v3, v5
	s_delay_alu instid0(VALU_DEP_1) | instskip(NEXT) | instid1(VALU_DEP_1)
	v_mul_hi_u32 v3, v12, v3
	v_mul_lo_u32 v5, v3, s40
	v_add_nc_u32_e32 v7, 1, v3
	s_delay_alu instid0(VALU_DEP_2) | instskip(NEXT) | instid1(VALU_DEP_1)
	v_sub_nc_u32_e32 v5, v12, v5
	v_cmp_le_u32_e32 vcc_lo, s40, v5
	v_subrev_nc_u32_e32 v9, s40, v5
	s_wait_alu 0xfffd
	v_cndmask_b32_e32 v3, v3, v7, vcc_lo
	s_delay_alu instid0(VALU_DEP_1) | instskip(NEXT) | instid1(VALU_DEP_3)
	v_add_nc_u32_e32 v7, 1, v3
	v_cndmask_b32_e32 v5, v5, v9, vcc_lo
	s_delay_alu instid0(VALU_DEP_1) | instskip(SKIP_1) | instid1(VALU_DEP_3)
	v_cmp_le_u32_e32 vcc_lo, s40, v5
	s_wait_alu 0xfffd
	v_cndmask_b32_e32 v14, v3, v7, vcc_lo
.LBB57_32:                              ;   in Loop: Header=BB57_20 Depth=2
	s_wait_alu 0xfffe
	s_or_b32 exec_lo, exec_lo, s2
	s_add_co_i32 s42, s16, -3
	s_mov_b32 s43, s17
	s_add_nc_u64 s[50:51], s[0:1], s[50:51]
	s_wait_alu 0xfffe
	s_lshl_b64 s[46:47], s[42:43], 2
                                        ; implicit-def: $vgpr16_vgpr17
	s_mov_b32 s2, exec_lo
	s_wait_alu 0xfffe
	s_add_nc_u64 s[44:45], s[12:13], s[46:47]
	s_clause 0x2
	s_load_b32 s42, s[44:45], 0x8
	s_load_b32 s41, s[48:49], 0x6c
	;; [unrolled: 1-line block ×3, first 2 shown]
	s_wait_kmcnt 0x0
	s_ashr_i32 s43, s42, 31
	s_wait_alu 0xfffe
	v_or_b32_e32 v3, s43, v15
	s_delay_alu instid0(VALU_DEP_1)
	v_cmpx_ne_u64_e32 0, v[2:3]
	s_xor_b32 s64, exec_lo, s2
	s_cbranch_execz .LBB57_34
; %bb.33:                               ;   in Loop: Header=BB57_20 Depth=2
	s_ashr_i32 s48, s43, 31
	s_mov_b32 s71, s17
	s_wait_alu 0xfffe
	s_mov_b32 s49, s48
	s_mov_b32 s75, s17
	s_wait_alu 0xfffe
	s_add_nc_u64 s[50:51], s[42:43], s[48:49]
	v_ashrrev_i32_e32 v3, 31, v15
	s_wait_alu 0xfffe
	s_xor_b64 s[50:51], s[50:51], s[48:49]
	s_wait_alu 0xfffe
	s_cvt_f32_u32 s2, s50
	s_cvt_f32_u32 s43, s51
	s_sub_nc_u64 s[68:69], 0, s[50:51]
	v_add_co_u32 v5, vcc_lo, v14, v3
	s_wait_alu 0xfffe
	s_fmamk_f32 s2, s43, 0x4f800000, s2
	s_wait_alu 0xfffd
	v_add_co_ci_u32_e64 v7, null, v15, v3, vcc_lo
	v_xor_b32_e32 v5, v5, v3
	s_wait_alu 0xfffe
	v_s_rcp_f32 s2, s2
	s_delay_alu instid0(VALU_DEP_2) | instskip(SKIP_1) | instid1(TRANS32_DEP_1)
	v_xor_b32_e32 v7, v7, v3
	v_xor_b32_e32 v3, s48, v3
	s_mul_f32 s2, s2, 0x5f7ffffc
	s_wait_alu 0xfffe
	s_delay_alu instid0(SALU_CYCLE_2) | instskip(SKIP_1) | instid1(SALU_CYCLE_2)
	s_mul_f32 s43, s2, 0x2f800000
	s_wait_alu 0xfffe
	s_trunc_f32 s43, s43
	s_wait_alu 0xfffe
	s_delay_alu instid0(SALU_CYCLE_2) | instskip(SKIP_2) | instid1(SALU_CYCLE_1)
	s_fmamk_f32 s2, s43, 0xcf800000, s2
	s_cvt_u32_f32 s67, s43
	s_wait_alu 0xfffe
	s_cvt_u32_f32 s66, s2
	s_delay_alu instid0(SALU_CYCLE_3) | instskip(NEXT) | instid1(SALU_CYCLE_1)
	s_mul_u64 s[72:73], s[68:69], s[66:67]
	s_mul_hi_u32 s77, s66, s73
	s_mul_i32 s76, s66, s73
	s_mul_hi_u32 s70, s66, s72
	s_mul_i32 s43, s67, s72
	s_add_nc_u64 s[70:71], s[70:71], s[76:77]
	s_mul_hi_u32 s2, s67, s72
	s_mul_hi_u32 s49, s67, s73
	s_wait_alu 0xfffe
	s_add_co_u32 s43, s70, s43
	s_add_co_ci_u32 s74, s71, s2
	s_mul_i32 s72, s67, s73
	s_add_co_ci_u32 s73, s49, 0
	s_delay_alu instid0(SALU_CYCLE_1)
	s_add_nc_u64 s[70:71], s[74:75], s[72:73]
	s_mov_b32 s73, s17
	s_add_co_u32 s66, s66, s70
	s_cselect_b32 s2, -1, 0
	s_wait_alu 0xfffe
	s_cmp_lg_u32 s2, 0
	s_add_co_ci_u32 s67, s67, s71
	s_mov_b32 s71, s17
	s_mul_u64 s[68:69], s[68:69], s[66:67]
	s_delay_alu instid0(SALU_CYCLE_1)
	s_mul_hi_u32 s75, s66, s69
	s_mul_i32 s74, s66, s69
	s_mul_hi_u32 s72, s66, s68
	s_mul_i32 s43, s67, s68
	s_add_nc_u64 s[72:73], s[72:73], s[74:75]
	s_mul_hi_u32 s2, s67, s68
	s_mul_hi_u32 s49, s67, s69
	s_wait_alu 0xfffe
	s_add_co_u32 s43, s72, s43
	s_add_co_ci_u32 s70, s73, s2
	s_mul_i32 s68, s67, s69
	s_add_co_ci_u32 s69, s49, 0
	s_delay_alu instid0(SALU_CYCLE_1) | instskip(NEXT) | instid1(SALU_CYCLE_1)
	s_add_nc_u64 s[68:69], s[70:71], s[68:69]
	s_add_co_u32 s2, s66, s68
	s_cselect_b32 s43, -1, 0
	s_wait_alu 0xfffe
	v_mul_hi_u32 v9, v5, s2
	s_cmp_lg_u32 s43, 0
	v_mad_co_u64_u32 v[22:23], null, v7, s2, 0
	s_add_co_ci_u32 s43, s67, s69
	s_wait_alu 0xfffe
	v_mad_co_u64_u32 v[15:16], null, v5, s43, 0
	v_mad_co_u64_u32 v[24:25], null, v7, s43, 0
	s_delay_alu instid0(VALU_DEP_2) | instskip(SKIP_1) | instid1(VALU_DEP_3)
	v_add_co_u32 v9, vcc_lo, v9, v15
	s_wait_alu 0xfffd
	v_add_co_ci_u32_e64 v11, null, 0, v16, vcc_lo
	s_delay_alu instid0(VALU_DEP_2) | instskip(SKIP_1) | instid1(VALU_DEP_2)
	v_add_co_u32 v9, vcc_lo, v9, v22
	s_wait_alu 0xfffd
	v_add_co_ci_u32_e32 v9, vcc_lo, v11, v23, vcc_lo
	s_wait_alu 0xfffd
	v_add_co_ci_u32_e32 v11, vcc_lo, 0, v25, vcc_lo
	s_delay_alu instid0(VALU_DEP_2) | instskip(SKIP_1) | instid1(VALU_DEP_2)
	v_add_co_u32 v9, vcc_lo, v9, v24
	s_wait_alu 0xfffd
	v_add_co_ci_u32_e64 v11, null, 0, v11, vcc_lo
	s_delay_alu instid0(VALU_DEP_2) | instskip(SKIP_1) | instid1(VALU_DEP_3)
	v_mul_lo_u32 v13, s51, v9
	v_mad_co_u64_u32 v[15:16], null, s50, v9, 0
	v_mul_lo_u32 v17, s50, v11
	s_delay_alu instid0(VALU_DEP_2) | instskip(NEXT) | instid1(VALU_DEP_2)
	v_sub_co_u32 v5, vcc_lo, v5, v15
	v_add3_u32 v13, v16, v17, v13
	s_delay_alu instid0(VALU_DEP_1) | instskip(SKIP_2) | instid1(VALU_DEP_2)
	v_sub_nc_u32_e32 v16, v7, v13
	s_wait_alu 0xfffd
	v_sub_co_ci_u32_e64 v7, null, v7, v13, vcc_lo
	v_subrev_co_ci_u32_e64 v15, null, s51, v16, vcc_lo
	v_add_co_u32 v16, s2, v9, 2
	s_wait_alu 0xf1ff
	v_add_co_ci_u32_e64 v17, null, 0, v11, s2
	v_sub_co_u32 v22, s2, v5, s50
	s_wait_alu 0xf1ff
	v_subrev_co_ci_u32_e64 v15, null, 0, v15, s2
	s_delay_alu instid0(VALU_DEP_2) | instskip(SKIP_2) | instid1(VALU_DEP_3)
	v_cmp_le_u32_e32 vcc_lo, s50, v22
	s_wait_alu 0xfffd
	v_cndmask_b32_e64 v13, 0, -1, vcc_lo
	v_cmp_le_u32_e32 vcc_lo, s51, v15
	s_wait_alu 0xfffd
	v_cndmask_b32_e64 v22, 0, -1, vcc_lo
	;; [unrolled: 3-line block ×4, first 2 shown]
	v_cmp_eq_u32_e32 vcc_lo, s51, v15
	s_wait_alu 0xfffd
	v_cndmask_b32_e32 v13, v22, v13, vcc_lo
	v_add_co_u32 v15, vcc_lo, v9, 1
	s_wait_alu 0xfffd
	v_add_co_ci_u32_e64 v22, null, 0, v11, vcc_lo
	v_cmp_eq_u32_e32 vcc_lo, s51, v7
	s_wait_alu 0xfffd
	v_cndmask_b32_e32 v5, v23, v5, vcc_lo
	v_cmp_ne_u32_e32 vcc_lo, 0, v13
	s_delay_alu instid0(VALU_DEP_2) | instskip(SKIP_4) | instid1(VALU_DEP_2)
	v_cmp_ne_u32_e64 s2, 0, v5
	s_wait_alu 0xfffd
	v_cndmask_b32_e32 v5, v15, v16, vcc_lo
	v_cndmask_b32_e32 v7, v22, v17, vcc_lo
	s_wait_alu 0xf1ff
	v_cndmask_b32_e64 v5, v9, v5, s2
	s_delay_alu instid0(VALU_DEP_2) | instskip(NEXT) | instid1(VALU_DEP_2)
	v_cndmask_b32_e64 v7, v11, v7, s2
	v_xor_b32_e32 v5, v5, v3
	s_delay_alu instid0(VALU_DEP_2) | instskip(NEXT) | instid1(VALU_DEP_2)
	v_xor_b32_e32 v7, v7, v3
	v_sub_co_u32 v16, vcc_lo, v5, v3
	s_wait_alu 0xfffd
	s_delay_alu instid0(VALU_DEP_2)
	v_sub_co_ci_u32_e64 v17, null, v7, v3, vcc_lo
.LBB57_34:                              ;   in Loop: Header=BB57_20 Depth=2
	s_and_not1_saveexec_b32 s2, s64
	s_cbranch_execz .LBB57_36
; %bb.35:                               ;   in Loop: Header=BB57_20 Depth=2
	v_cvt_f32_u32_e32 v3, s42
	s_sub_co_i32 s43, 0, s42
	v_mov_b32_e32 v17, v2
	s_delay_alu instid0(VALU_DEP_2) | instskip(NEXT) | instid1(TRANS32_DEP_1)
	v_rcp_iflag_f32_e32 v3, v3
	v_mul_f32_e32 v3, 0x4f7ffffe, v3
	s_delay_alu instid0(VALU_DEP_1) | instskip(SKIP_1) | instid1(VALU_DEP_1)
	v_cvt_u32_f32_e32 v3, v3
	s_wait_alu 0xfffe
	v_mul_lo_u32 v5, s43, v3
	s_delay_alu instid0(VALU_DEP_1) | instskip(NEXT) | instid1(VALU_DEP_1)
	v_mul_hi_u32 v5, v3, v5
	v_add_nc_u32_e32 v3, v3, v5
	s_delay_alu instid0(VALU_DEP_1) | instskip(NEXT) | instid1(VALU_DEP_1)
	v_mul_hi_u32 v3, v14, v3
	v_mul_lo_u32 v5, v3, s42
	v_add_nc_u32_e32 v7, 1, v3
	s_delay_alu instid0(VALU_DEP_2) | instskip(NEXT) | instid1(VALU_DEP_1)
	v_sub_nc_u32_e32 v5, v14, v5
	v_cmp_le_u32_e32 vcc_lo, s42, v5
	v_subrev_nc_u32_e32 v9, s42, v5
	s_wait_alu 0xfffd
	v_cndmask_b32_e32 v3, v3, v7, vcc_lo
	s_delay_alu instid0(VALU_DEP_1) | instskip(NEXT) | instid1(VALU_DEP_3)
	v_add_nc_u32_e32 v7, 1, v3
	v_cndmask_b32_e32 v5, v5, v9, vcc_lo
	s_delay_alu instid0(VALU_DEP_1) | instskip(SKIP_1) | instid1(VALU_DEP_3)
	v_cmp_le_u32_e32 vcc_lo, s42, v5
	s_wait_alu 0xfffd
	v_cndmask_b32_e32 v16, v3, v7, vcc_lo
.LBB57_36:                              ;   in Loop: Header=BB57_20 Depth=2
	s_wait_alu 0xfffe
	s_or_b32 exec_lo, exec_lo, s2
	s_add_nc_u64 s[46:47], s[0:1], s[46:47]
	v_mul_lo_u32 v3, v10, s36
	s_clause 0x1
	s_load_b32 s2, s[44:45], 0x6c
	s_load_b32 s36, s[46:47], 0x6c
	v_mul_lo_u32 v5, v12, s38
	v_mul_lo_u32 v7, v14, s40
	;; [unrolled: 1-line block ×3, first 2 shown]
	s_add_co_i32 s16, s16, -4
	s_wait_alu 0xfffe
	s_cmp_eq_u32 s16, -1
	v_sub_nc_u32_e32 v3, v8, v3
	s_delay_alu instid0(VALU_DEP_4) | instskip(NEXT) | instid1(VALU_DEP_4)
	v_sub_nc_u32_e32 v5, v10, v5
	v_sub_nc_u32_e32 v7, v12, v7
	s_delay_alu instid0(VALU_DEP_4) | instskip(NEXT) | instid1(VALU_DEP_4)
	v_sub_nc_u32_e32 v8, v14, v9
	v_mul_lo_u32 v9, s35, v3
	v_mul_lo_u32 v3, s37, v3
	;; [unrolled: 1-line block ×6, first 2 shown]
	s_wait_kmcnt 0x0
	v_mul_lo_u32 v12, s2, v8
	v_mul_lo_u32 v8, s36, v8
	v_add3_u32 v6, v9, v6, v10
	v_add3_u32 v3, v3, v4, v5
	s_delay_alu instid0(VALU_DEP_2) | instskip(NEXT) | instid1(VALU_DEP_2)
	v_add3_u32 v6, v11, v6, v12
	v_add3_u32 v4, v7, v3, v8
	s_cbranch_scc1 .LBB57_38
; %bb.37:                               ;   in Loop: Header=BB57_20 Depth=2
	v_dual_mov_b32 v8, v16 :: v_dual_mov_b32 v9, v17
	s_branch .LBB57_20
.LBB57_38:                              ;   in Loop: Header=BB57_3 Depth=1
	v_sub_nc_u32_e32 v5, v20, v21
	v_mov_b32_e32 v3, 0
	s_mov_b32 s2, exec_lo
	s_delay_alu instid0(VALU_DEP_2) | instskip(NEXT) | instid1(VALU_DEP_1)
	v_add_nc_u32_e32 v7, 4, v5
	v_ashrrev_i32_e32 v8, 31, v7
	s_delay_alu instid0(VALU_DEP_1)
	v_cmpx_le_i64_e64 s[4:5], v[7:8]
	s_cbranch_execz .LBB57_48
; %bb.39:                               ;   in Loop: Header=BB57_3 Depth=1
	v_dual_mov_b32 v3, 0 :: v_dual_mov_b32 v10, 0
	v_mov_b32_e32 v9, 0
	v_mov_b32_e32 v11, 0
	s_mov_b32 s16, exec_lo
	v_cmpx_gt_i32_e64 s3, v20
	s_cbranch_execz .LBB57_47
; %bb.40:                               ;   in Loop: Header=BB57_3 Depth=1
	v_ashrrev_i32_e32 v3, 31, v6
	v_add_co_u32 v7, vcc_lo, s10, v6
	v_dual_mov_b32 v9, 0 :: v_dual_add_nc_u32 v10, 1, v20
	s_wait_alu 0xfffd
	s_delay_alu instid0(VALU_DEP_3) | instskip(SKIP_1) | instid1(VALU_DEP_3)
	v_add_co_ci_u32_e64 v8, null, s11, v3, vcc_lo
	v_mov_b32_e32 v11, 0
	v_cmp_gt_i32_e32 vcc_lo, s3, v10
	v_mov_b32_e32 v10, 0
	global_load_u8 v3, v[7:8], off
	s_and_saveexec_b32 s35, vcc_lo
	s_wait_alu 0xfffe
	s_xor_b32 s35, exec_lo, s35
	s_cbranch_execz .LBB57_46
; %bb.41:                               ;   in Loop: Header=BB57_3 Depth=1
	v_add_co_u32 v7, vcc_lo, v7, s55
	s_wait_alu 0xfffd
	v_add_co_ci_u32_e64 v8, null, s59, v8, vcc_lo
	v_mov_b32_e32 v11, 0
	s_mov_b32 s36, exec_lo
	v_mov_b32_e32 v10, 0
	global_load_u8 v9, v[7:8], off
	v_add_nc_u32_e32 v7, 2, v20
	s_delay_alu instid0(VALU_DEP_1)
	v_cmpx_gt_i32_e64 s3, v7
	s_wait_alu 0xfffe
	s_xor_b32 s36, exec_lo, s36
	s_cbranch_execz .LBB57_45
; %bb.42:                               ;   in Loop: Header=BB57_3 Depth=1
	v_dual_mov_b32 v11, 0 :: v_dual_add_nc_u32 v6, s23, v6
	s_mov_b32 s37, exec_lo
	s_delay_alu instid0(VALU_DEP_1) | instskip(SKIP_2) | instid1(VALU_DEP_2)
	v_ashrrev_i32_e32 v8, 31, v6
	v_add_co_u32 v7, vcc_lo, s10, v6
	s_wait_alu 0xfffd
	v_add_co_ci_u32_e64 v8, null, s11, v8, vcc_lo
	global_load_u8 v10, v[7:8], off
	v_add_nc_u32_e32 v7, 3, v20
	s_delay_alu instid0(VALU_DEP_1)
	v_cmpx_gt_i32_e64 s3, v7
	s_wait_alu 0xfffe
	s_xor_b32 s37, exec_lo, s37
	s_cbranch_execz .LBB57_44
; %bb.43:                               ;   in Loop: Header=BB57_3 Depth=1
	v_add_nc_u32_e32 v6, s55, v6
	s_delay_alu instid0(VALU_DEP_1) | instskip(SKIP_2) | instid1(VALU_DEP_2)
	v_ashrrev_i32_e32 v7, 31, v6
	v_add_co_u32 v6, vcc_lo, s10, v6
	s_wait_alu 0xfffd
	v_add_co_ci_u32_e64 v7, null, s11, v7, vcc_lo
	global_load_u8 v11, v[6:7], off
.LBB57_44:                              ;   in Loop: Header=BB57_3 Depth=1
	s_wait_alu 0xfffe
	s_or_b32 exec_lo, exec_lo, s37
.LBB57_45:                              ;   in Loop: Header=BB57_3 Depth=1
	s_wait_alu 0xfffe
	s_or_b32 exec_lo, exec_lo, s36
.LBB57_46:                              ;   in Loop: Header=BB57_3 Depth=1
	s_wait_alu 0xfffe
	s_or_b32 exec_lo, exec_lo, s35
.LBB57_47:                              ;   in Loop: Header=BB57_3 Depth=1
	s_wait_alu 0xfffe
	s_or_b32 exec_lo, exec_lo, s16
	v_ashrrev_i32_e32 v6, 31, v5
	v_add_nc_u32_e32 v7, 1, v5
	v_add_nc_u32_e32 v14, 3, v5
	s_delay_alu instid0(VALU_DEP_3) | instskip(NEXT) | instid1(VALU_DEP_3)
	v_cmp_le_i64_e32 vcc_lo, s[18:19], v[5:6]
	v_ashrrev_i32_e32 v8, 31, v7
	v_add_nc_u32_e32 v12, 2, v5
	s_delay_alu instid0(VALU_DEP_4)
	v_ashrrev_i32_e32 v15, 31, v14
	s_wait_loadcnt 0x0
	s_wait_alu 0xfffd
	v_cndmask_b32_e32 v3, 0, v3, vcc_lo
	v_cmp_le_i64_e32 vcc_lo, s[20:21], v[7:8]
	v_ashrrev_i32_e32 v13, 31, v12
	s_delay_alu instid0(VALU_DEP_3) | instskip(SKIP_3) | instid1(VALU_DEP_2)
	v_and_b32_e32 v3, 0xff, v3
	s_wait_alu 0xfffd
	v_cndmask_b32_e32 v5, 0, v9, vcc_lo
	v_cmp_le_i64_e32 vcc_lo, s[28:29], v[14:15]
	v_lshlrev_b16 v5, 8, v5
	s_wait_alu 0xfffd
	v_cndmask_b32_e32 v6, 0, v11, vcc_lo
	v_cmp_le_i64_e32 vcc_lo, s[24:25], v[12:13]
	s_delay_alu instid0(VALU_DEP_3) | instskip(NEXT) | instid1(VALU_DEP_3)
	v_or_b32_e32 v3, v3, v5
	v_lshlrev_b16 v6, 8, v6
	s_wait_alu 0xfffd
	v_cndmask_b32_e32 v7, 0, v10, vcc_lo
	s_delay_alu instid0(VALU_DEP_3) | instskip(NEXT) | instid1(VALU_DEP_2)
	v_and_b32_e32 v3, 0xffff, v3
	v_and_b32_e32 v7, 0xff, v7
	s_delay_alu instid0(VALU_DEP_1) | instskip(NEXT) | instid1(VALU_DEP_1)
	v_or_b32_e32 v5, v7, v6
	v_lshlrev_b32_e32 v5, 16, v5
	s_delay_alu instid0(VALU_DEP_1)
	v_or_b32_e32 v3, v3, v5
.LBB57_48:                              ;   in Loop: Header=BB57_3 Depth=1
	s_wait_alu 0xfffe
	s_or_b32 exec_lo, exec_lo, s2
	s_delay_alu instid0(SALU_CYCLE_1)
	s_mov_b32 s2, exec_lo
	v_cmpx_gt_i32_e64 s3, v20
	s_cbranch_execz .LBB57_2
; %bb.49:                               ;   in Loop: Header=BB57_3 Depth=1
	v_ashrrev_i32_e32 v6, 31, v4
	v_add_co_u32 v5, vcc_lo, s14, v4
	v_add_nc_u32_e32 v7, 1, v20
	s_mov_b32 s16, exec_lo
	s_wait_alu 0xfffd
	v_add_co_ci_u32_e64 v6, null, s15, v6, vcc_lo
	global_store_b8 v[5:6], v3, off
	v_cmpx_gt_i32_e64 s3, v7
	s_wait_alu 0xfffe
	s_xor_b32 s16, exec_lo, s16
	s_cbranch_execz .LBB57_2
; %bb.50:                               ;   in Loop: Header=BB57_3 Depth=1
	v_add_co_u32 v5, vcc_lo, v5, s56
	v_lshrrev_b32_e32 v7, 8, v3
	v_add_nc_u32_e32 v8, 2, v20
	s_wait_alu 0xfffd
	v_add_co_ci_u32_e64 v6, null, s60, v6, vcc_lo
	s_mov_b32 s16, exec_lo
	global_store_b8 v[5:6], v7, off
	v_cmpx_gt_i32_e64 s3, v8
	s_wait_alu 0xfffe
	s_xor_b32 s16, exec_lo, s16
	s_cbranch_execz .LBB57_2
; %bb.51:                               ;   in Loop: Header=BB57_3 Depth=1
	v_add_nc_u32_e32 v4, s27, v4
	v_add_nc_u32_e32 v7, 3, v20
	s_mov_b32 s16, exec_lo
	s_delay_alu instid0(VALU_DEP_2) | instskip(SKIP_2) | instid1(VALU_DEP_2)
	v_ashrrev_i32_e32 v6, 31, v4
	v_add_co_u32 v5, vcc_lo, s14, v4
	s_wait_alu 0xfffd
	v_add_co_ci_u32_e64 v6, null, s15, v6, vcc_lo
	global_store_d16_hi_b8 v[5:6], v3, off
	v_cmpx_gt_i32_e64 s3, v7
	s_wait_alu 0xfffe
	s_xor_b32 s16, exec_lo, s16
	s_cbranch_execz .LBB57_2
; %bb.52:                               ;   in Loop: Header=BB57_3 Depth=1
	v_add_nc_u32_e32 v4, s56, v4
	v_lshrrev_b32_e32 v6, 24, v3
	s_delay_alu instid0(VALU_DEP_2) | instskip(SKIP_2) | instid1(VALU_DEP_2)
	v_ashrrev_i32_e32 v5, 31, v4
	v_add_co_u32 v3, vcc_lo, s14, v4
	s_wait_alu 0xfffd
	v_add_co_ci_u32_e64 v4, null, s15, v5, vcc_lo
	global_store_b8 v[3:4], v6, off
	s_branch .LBB57_2
.LBB57_53:
	s_endpgm
	.section	.rodata,"a",@progbits
	.p2align	6, 0x0
	.amdhsa_kernel _ZN2at6native16triu_tril_kernelIaiLb1ELi4ELb0EEEvNS_4cuda6detail10TensorInfoIT_T0_EENS4_IKS5_S6_EEllS6_
		.amdhsa_group_segment_fixed_size 0
		.amdhsa_private_segment_fixed_size 0
		.amdhsa_kernarg_size 712
		.amdhsa_user_sgpr_count 2
		.amdhsa_user_sgpr_dispatch_ptr 0
		.amdhsa_user_sgpr_queue_ptr 0
		.amdhsa_user_sgpr_kernarg_segment_ptr 1
		.amdhsa_user_sgpr_dispatch_id 0
		.amdhsa_user_sgpr_private_segment_size 0
		.amdhsa_wavefront_size32 1
		.amdhsa_uses_dynamic_stack 0
		.amdhsa_enable_private_segment 0
		.amdhsa_system_sgpr_workgroup_id_x 1
		.amdhsa_system_sgpr_workgroup_id_y 0
		.amdhsa_system_sgpr_workgroup_id_z 0
		.amdhsa_system_sgpr_workgroup_info 0
		.amdhsa_system_vgpr_workitem_id 0
		.amdhsa_next_free_vgpr 26
		.amdhsa_next_free_sgpr 78
		.amdhsa_reserve_vcc 1
		.amdhsa_float_round_mode_32 0
		.amdhsa_float_round_mode_16_64 0
		.amdhsa_float_denorm_mode_32 3
		.amdhsa_float_denorm_mode_16_64 3
		.amdhsa_fp16_overflow 0
		.amdhsa_workgroup_processor_mode 1
		.amdhsa_memory_ordered 1
		.amdhsa_forward_progress 1
		.amdhsa_inst_pref_size 69
		.amdhsa_round_robin_scheduling 0
		.amdhsa_exception_fp_ieee_invalid_op 0
		.amdhsa_exception_fp_denorm_src 0
		.amdhsa_exception_fp_ieee_div_zero 0
		.amdhsa_exception_fp_ieee_overflow 0
		.amdhsa_exception_fp_ieee_underflow 0
		.amdhsa_exception_fp_ieee_inexact 0
		.amdhsa_exception_int_div_zero 0
	.end_amdhsa_kernel
	.section	.text._ZN2at6native16triu_tril_kernelIaiLb1ELi4ELb0EEEvNS_4cuda6detail10TensorInfoIT_T0_EENS4_IKS5_S6_EEllS6_,"axG",@progbits,_ZN2at6native16triu_tril_kernelIaiLb1ELi4ELb0EEEvNS_4cuda6detail10TensorInfoIT_T0_EENS4_IKS5_S6_EEllS6_,comdat
.Lfunc_end57:
	.size	_ZN2at6native16triu_tril_kernelIaiLb1ELi4ELb0EEEvNS_4cuda6detail10TensorInfoIT_T0_EENS4_IKS5_S6_EEllS6_, .Lfunc_end57-_ZN2at6native16triu_tril_kernelIaiLb1ELi4ELb0EEEvNS_4cuda6detail10TensorInfoIT_T0_EENS4_IKS5_S6_EEllS6_
                                        ; -- End function
	.set _ZN2at6native16triu_tril_kernelIaiLb1ELi4ELb0EEEvNS_4cuda6detail10TensorInfoIT_T0_EENS4_IKS5_S6_EEllS6_.num_vgpr, 26
	.set _ZN2at6native16triu_tril_kernelIaiLb1ELi4ELb0EEEvNS_4cuda6detail10TensorInfoIT_T0_EENS4_IKS5_S6_EEllS6_.num_agpr, 0
	.set _ZN2at6native16triu_tril_kernelIaiLb1ELi4ELb0EEEvNS_4cuda6detail10TensorInfoIT_T0_EENS4_IKS5_S6_EEllS6_.numbered_sgpr, 78
	.set _ZN2at6native16triu_tril_kernelIaiLb1ELi4ELb0EEEvNS_4cuda6detail10TensorInfoIT_T0_EENS4_IKS5_S6_EEllS6_.num_named_barrier, 0
	.set _ZN2at6native16triu_tril_kernelIaiLb1ELi4ELb0EEEvNS_4cuda6detail10TensorInfoIT_T0_EENS4_IKS5_S6_EEllS6_.private_seg_size, 0
	.set _ZN2at6native16triu_tril_kernelIaiLb1ELi4ELb0EEEvNS_4cuda6detail10TensorInfoIT_T0_EENS4_IKS5_S6_EEllS6_.uses_vcc, 1
	.set _ZN2at6native16triu_tril_kernelIaiLb1ELi4ELb0EEEvNS_4cuda6detail10TensorInfoIT_T0_EENS4_IKS5_S6_EEllS6_.uses_flat_scratch, 0
	.set _ZN2at6native16triu_tril_kernelIaiLb1ELi4ELb0EEEvNS_4cuda6detail10TensorInfoIT_T0_EENS4_IKS5_S6_EEllS6_.has_dyn_sized_stack, 0
	.set _ZN2at6native16triu_tril_kernelIaiLb1ELi4ELb0EEEvNS_4cuda6detail10TensorInfoIT_T0_EENS4_IKS5_S6_EEllS6_.has_recursion, 0
	.set _ZN2at6native16triu_tril_kernelIaiLb1ELi4ELb0EEEvNS_4cuda6detail10TensorInfoIT_T0_EENS4_IKS5_S6_EEllS6_.has_indirect_call, 0
	.section	.AMDGPU.csdata,"",@progbits
; Kernel info:
; codeLenInByte = 8748
; TotalNumSgprs: 80
; NumVgprs: 26
; ScratchSize: 0
; MemoryBound: 0
; FloatMode: 240
; IeeeMode: 1
; LDSByteSize: 0 bytes/workgroup (compile time only)
; SGPRBlocks: 0
; VGPRBlocks: 3
; NumSGPRsForWavesPerEU: 80
; NumVGPRsForWavesPerEU: 26
; Occupancy: 16
; WaveLimiterHint : 1
; COMPUTE_PGM_RSRC2:SCRATCH_EN: 0
; COMPUTE_PGM_RSRC2:USER_SGPR: 2
; COMPUTE_PGM_RSRC2:TRAP_HANDLER: 0
; COMPUTE_PGM_RSRC2:TGID_X_EN: 1
; COMPUTE_PGM_RSRC2:TGID_Y_EN: 0
; COMPUTE_PGM_RSRC2:TGID_Z_EN: 0
; COMPUTE_PGM_RSRC2:TIDIG_COMP_CNT: 0
	.section	.text._ZN2at6native16triu_tril_kernelIalLb1ELi4ELb1EEEvNS_4cuda6detail10TensorInfoIT_T0_EENS4_IKS5_S6_EEllS6_,"axG",@progbits,_ZN2at6native16triu_tril_kernelIalLb1ELi4ELb1EEEvNS_4cuda6detail10TensorInfoIT_T0_EENS4_IKS5_S6_EEllS6_,comdat
	.protected	_ZN2at6native16triu_tril_kernelIalLb1ELi4ELb1EEEvNS_4cuda6detail10TensorInfoIT_T0_EENS4_IKS5_S6_EEllS6_ ; -- Begin function _ZN2at6native16triu_tril_kernelIalLb1ELi4ELb1EEEvNS_4cuda6detail10TensorInfoIT_T0_EENS4_IKS5_S6_EEllS6_
	.globl	_ZN2at6native16triu_tril_kernelIalLb1ELi4ELb1EEEvNS_4cuda6detail10TensorInfoIT_T0_EENS4_IKS5_S6_EEllS6_
	.p2align	8
	.type	_ZN2at6native16triu_tril_kernelIalLb1ELi4ELb1EEEvNS_4cuda6detail10TensorInfoIT_T0_EENS4_IKS5_S6_EEllS6_,@function
_ZN2at6native16triu_tril_kernelIalLb1ELi4ELb1EEEvNS_4cuda6detail10TensorInfoIT_T0_EENS4_IKS5_S6_EEllS6_: ; @_ZN2at6native16triu_tril_kernelIalLb1ELi4ELb1EEEvNS_4cuda6detail10TensorInfoIT_T0_EENS4_IKS5_S6_EEllS6_
; %bb.0:
	s_clause 0x1
	s_load_b32 s2, s[0:1], 0x364
	s_load_b128 s[4:7], s[0:1], 0x340
	v_mov_b32_e32 v2, 0
	s_mov_b32 s3, exec_lo
	s_delay_alu instid0(VALU_DEP_1)
	v_mov_b32_e32 v1, v2
	s_wait_kmcnt 0x0
	s_and_b32 s2, s2, 0xffff
	s_delay_alu instid0(VALU_DEP_1) | instid1(SALU_CYCLE_1)
	v_mad_co_u64_u32 v[0:1], null, s2, ttmp9, v[0:1]
	s_delay_alu instid0(VALU_DEP_1) | instskip(NEXT) | instid1(VALU_DEP_1)
	v_lshlrev_b64_e32 v[0:1], 2, v[0:1]
	v_cmpx_gt_i64_e64 s[6:7], v[0:1]
	s_cbranch_execz .LBB58_47
; %bb.1:
	s_load_b32 s22, s[0:1], 0x338
	s_add_nc_u64 s[12:13], s[0:1], 0x358
	s_clause 0x1
	s_load_b64 s[8:9], s[0:1], 0x350
	s_load_b64 s[10:11], s[0:1], 0x0
	s_add_nc_u64 s[28:29], s[0:1], 0x1a0
	s_load_b32 s3, s[12:13], 0x0
	s_movk_i32 s18, 0xffe0
	s_add_nc_u64 s[16:17], s[0:1], 0xb8
	s_mov_b32 s19, -1
	s_add_nc_u64 s[34:35], s[0:1], 0x190
	s_mov_b32 s65, 0
	s_wait_kmcnt 0x0
	s_add_co_i32 s14, s22, -2
	v_cvt_f32_u32_e32 v3, s8
	s_ashr_i32 s15, s14, 31
	s_add_co_i32 s20, s22, -3
	s_lshl_b64 s[12:13], s[14:15], 3
	s_ashr_i32 s23, s22, 31
	s_add_nc_u64 s[12:13], s[28:29], s[12:13]
	v_rcp_iflag_f32_e32 v3, v3
	s_load_b64 s[12:13], s[12:13], 0x8
	s_mul_i32 s24, s3, s2
	s_and_b32 s25, s20, 3
	s_lshl_b64 s[2:3], s[22:23], 3
	s_ashr_i32 s21, s20, 31
	s_and_b32 s14, s14, 3
	s_lshl_b32 s62, s24, 2
	s_cmp_lg_u32 s25, 3
	v_cmp_gt_i64_e64 s33, s[22:23], 2
	s_cselect_b32 s63, -1, 0
	s_cmp_gt_u32 s20, 2
	s_wait_alu 0xfffe
	s_add_nc_u64 s[22:23], s[0:1], s[2:3]
	s_add_nc_u64 s[24:25], s[28:29], s[2:3]
	s_cselect_b32 s64, -1, 0
	s_lshl_b64 s[2:3], s[20:21], 3
	s_mov_b32 s15, 0
	s_wait_alu 0xfffe
	s_add_nc_u64 s[30:31], s[0:1], s[2:3]
	s_add_nc_u64 s[2:3], s[28:29], s[2:3]
	s_mov_b64 s[26:27], s[14:15]
	s_add_nc_u64 s[28:29], s[30:31], 0xd0
	s_wait_kmcnt 0x0
	v_cvt_f32_u32_e32 v4, s12
	s_wait_alu 0xfffe
	s_add_nc_u64 s[30:31], s[2:3], 8
	s_ashr_i32 s36, s9, 31
	s_delay_alu instid0(VALU_DEP_1) | instskip(NEXT) | instid1(TRANS32_DEP_1)
	v_rcp_iflag_f32_e32 v4, v4
	v_dual_mul_f32 v3, 0x4f7ffffe, v3 :: v_dual_mul_f32 v4, 0x4f7ffffe, v4
	s_delay_alu instid0(VALU_DEP_1) | instskip(NEXT) | instid1(VALU_DEP_2)
	v_cvt_u32_f32_e32 v18, v3
	v_cvt_u32_f32_e32 v19, v4
	s_branch .LBB58_3
.LBB58_2:                               ;   in Loop: Header=BB58_3 Depth=1
	s_wait_alu 0xfffe
	s_or_b32 exec_lo, exec_lo, s37
	v_add_co_u32 v0, vcc_lo, v0, s62
	s_wait_alu 0xfffd
	v_add_co_ci_u32_e64 v1, null, 0, v1, vcc_lo
	s_delay_alu instid0(VALU_DEP_1) | instskip(SKIP_1) | instid1(SALU_CYCLE_1)
	v_cmp_le_i64_e32 vcc_lo, s[6:7], v[0:1]
	s_or_b32 s65, vcc_lo, s65
	s_and_not1_b32 exec_lo, exec_lo, s65
	s_cbranch_execz .LBB58_47
.LBB58_3:                               ; =>This Loop Header: Depth=1
                                        ;     Child Loop BB58_17 Depth 2
                                        ;     Child Loop BB58_22 Depth 2
	v_or_b32_e32 v3, s9, v1
                                        ; implicit-def: $vgpr6_vgpr7
	s_mov_b32 s0, exec_lo
	s_delay_alu instid0(VALU_DEP_1)
	v_cmpx_ne_u64_e32 0, v[2:3]
	s_wait_alu 0xfffe
	s_xor_b32 s1, exec_lo, s0
	s_cbranch_execz .LBB58_5
; %bb.4:                                ;   in Loop: Header=BB58_3 Depth=1
	s_mov_b32 s37, s36
	v_ashrrev_i32_e32 v9, 31, v1
	s_wait_alu 0xfffe
	s_add_nc_u64 s[2:3], s[8:9], s[36:37]
	s_wait_alu 0xfffe
	s_xor_b64 s[2:3], s[2:3], s[36:37]
	v_add_co_u32 v3, vcc_lo, v0, v9
	s_wait_alu 0xfffe
	s_cvt_f32_u32 s0, s2
	s_cvt_f32_u32 s14, s3
	s_sub_nc_u64 s[40:41], 0, s[2:3]
	s_wait_alu 0xfffd
	v_add_co_ci_u32_e64 v4, null, v1, v9, vcc_lo
	s_wait_alu 0xfffe
	s_fmamk_f32 s0, s14, 0x4f800000, s0
	v_xor_b32_e32 v10, v3, v9
	s_delay_alu instid0(VALU_DEP_2) | instskip(SKIP_2) | instid1(TRANS32_DEP_1)
	v_xor_b32_e32 v11, v4, v9
	s_wait_alu 0xfffe
	v_s_rcp_f32 s0, s0
	s_mul_f32 s0, s0, 0x5f7ffffc
	s_wait_alu 0xfffe
	s_delay_alu instid0(SALU_CYCLE_2) | instskip(SKIP_1) | instid1(SALU_CYCLE_2)
	s_mul_f32 s14, s0, 0x2f800000
	s_wait_alu 0xfffe
	s_trunc_f32 s14, s14
	s_wait_alu 0xfffe
	s_delay_alu instid0(SALU_CYCLE_2) | instskip(SKIP_2) | instid1(SALU_CYCLE_1)
	s_fmamk_f32 s0, s14, 0xcf800000, s0
	s_cvt_u32_f32 s39, s14
	s_wait_alu 0xfffe
	s_cvt_u32_f32 s38, s0
	s_wait_alu 0xfffe
	s_delay_alu instid0(SALU_CYCLE_2) | instskip(NEXT) | instid1(SALU_CYCLE_1)
	s_mul_u64 s[42:43], s[40:41], s[38:39]
	s_mul_hi_u32 s45, s38, s43
	s_mul_i32 s44, s38, s43
	s_mul_hi_u32 s14, s38, s42
	s_mul_i32 s37, s39, s42
	s_wait_alu 0xfffe
	s_add_nc_u64 s[44:45], s[14:15], s[44:45]
	s_mul_hi_u32 s0, s39, s42
	s_mul_hi_u32 s46, s39, s43
	s_wait_alu 0xfffe
	s_add_co_u32 s14, s44, s37
	s_add_co_ci_u32 s14, s45, s0
	s_mul_i32 s42, s39, s43
	s_add_co_ci_u32 s43, s46, 0
	s_wait_alu 0xfffe
	s_add_nc_u64 s[42:43], s[14:15], s[42:43]
	s_delay_alu instid0(SALU_CYCLE_1)
	s_add_co_u32 s38, s38, s42
	s_cselect_b32 s0, -1, 0
	s_wait_alu 0xfffe
	s_cmp_lg_u32 s0, 0
	s_add_co_ci_u32 s39, s39, s43
	s_wait_alu 0xfffe
	s_mul_u64 s[40:41], s[40:41], s[38:39]
	s_delay_alu instid0(SALU_CYCLE_1)
	s_mul_hi_u32 s43, s38, s41
	s_mul_i32 s42, s38, s41
	s_mul_hi_u32 s14, s38, s40
	s_mul_i32 s37, s39, s40
	s_wait_alu 0xfffe
	s_add_nc_u64 s[42:43], s[14:15], s[42:43]
	s_mul_hi_u32 s0, s39, s40
	s_mul_hi_u32 s44, s39, s41
	s_add_co_u32 s14, s42, s37
	s_wait_alu 0xfffe
	s_add_co_ci_u32 s14, s43, s0
	s_mul_i32 s40, s39, s41
	s_add_co_ci_u32 s41, s44, 0
	s_wait_alu 0xfffe
	s_add_nc_u64 s[40:41], s[14:15], s[40:41]
	s_delay_alu instid0(SALU_CYCLE_1)
	s_add_co_u32 s0, s38, s40
	s_cselect_b32 s14, -1, 0
	s_wait_alu 0xfffe
	v_mul_hi_u32 v12, v10, s0
	s_cmp_lg_u32 s14, 0
	v_mad_co_u64_u32 v[5:6], null, v11, s0, 0
	s_add_co_ci_u32 s14, s39, s41
	s_wait_alu 0xfffe
	v_mad_co_u64_u32 v[3:4], null, v10, s14, 0
	v_mad_co_u64_u32 v[7:8], null, v11, s14, 0
	s_delay_alu instid0(VALU_DEP_2) | instskip(SKIP_1) | instid1(VALU_DEP_3)
	v_add_co_u32 v3, vcc_lo, v12, v3
	s_wait_alu 0xfffd
	v_add_co_ci_u32_e64 v4, null, 0, v4, vcc_lo
	s_delay_alu instid0(VALU_DEP_2) | instskip(SKIP_1) | instid1(VALU_DEP_2)
	v_add_co_u32 v3, vcc_lo, v3, v5
	s_wait_alu 0xfffd
	v_add_co_ci_u32_e32 v3, vcc_lo, v4, v6, vcc_lo
	s_wait_alu 0xfffd
	v_add_co_ci_u32_e32 v4, vcc_lo, 0, v8, vcc_lo
	s_delay_alu instid0(VALU_DEP_2) | instskip(SKIP_1) | instid1(VALU_DEP_2)
	v_add_co_u32 v5, vcc_lo, v3, v7
	s_wait_alu 0xfffd
	v_add_co_ci_u32_e64 v6, null, 0, v4, vcc_lo
	s_delay_alu instid0(VALU_DEP_2) | instskip(SKIP_1) | instid1(VALU_DEP_3)
	v_mul_lo_u32 v7, s3, v5
	v_mad_co_u64_u32 v[3:4], null, s2, v5, 0
	v_mul_lo_u32 v8, s2, v6
	s_delay_alu instid0(VALU_DEP_2) | instskip(NEXT) | instid1(VALU_DEP_2)
	v_sub_co_u32 v3, vcc_lo, v10, v3
	v_add3_u32 v4, v4, v8, v7
	v_add_co_u32 v8, s0, v5, 2
	s_wait_alu 0xf1ff
	v_add_co_ci_u32_e64 v10, null, 0, v6, s0
	s_delay_alu instid0(VALU_DEP_3) | instskip(SKIP_3) | instid1(VALU_DEP_3)
	v_sub_nc_u32_e32 v7, v11, v4
	v_sub_co_u32 v12, s0, v3, s2
	s_wait_alu 0xfffd
	v_sub_co_ci_u32_e64 v4, null, v11, v4, vcc_lo
	v_subrev_co_ci_u32_e64 v7, null, s3, v7, vcc_lo
	s_delay_alu instid0(VALU_DEP_3) | instskip(SKIP_1) | instid1(VALU_DEP_2)
	v_cmp_le_u32_e32 vcc_lo, s2, v12
	s_wait_alu 0xf1ff
	v_subrev_co_ci_u32_e64 v7, null, 0, v7, s0
	s_wait_alu 0xfffd
	v_cndmask_b32_e64 v11, 0, -1, vcc_lo
	s_delay_alu instid0(VALU_DEP_2)
	v_cmp_le_u32_e32 vcc_lo, s3, v7
	s_wait_alu 0xfffd
	v_cndmask_b32_e64 v12, 0, -1, vcc_lo
	v_cmp_le_u32_e32 vcc_lo, s2, v3
	s_wait_alu 0xfffd
	v_cndmask_b32_e64 v3, 0, -1, vcc_lo
	;; [unrolled: 3-line block ×3, first 2 shown]
	v_cmp_eq_u32_e32 vcc_lo, s3, v7
	s_wait_alu 0xfffd
	v_cndmask_b32_e32 v7, v12, v11, vcc_lo
	v_add_co_u32 v11, vcc_lo, v5, 1
	s_wait_alu 0xfffd
	v_add_co_ci_u32_e64 v12, null, 0, v6, vcc_lo
	v_cmp_eq_u32_e32 vcc_lo, s3, v4
	s_wait_alu 0xfffd
	v_cndmask_b32_e32 v3, v13, v3, vcc_lo
	v_cmp_ne_u32_e32 vcc_lo, 0, v7
	v_xor_b32_e32 v7, s36, v9
	s_wait_alu 0xfffd
	v_cndmask_b32_e32 v4, v12, v10, vcc_lo
	v_cmp_ne_u32_e64 s0, 0, v3
	v_cndmask_b32_e32 v3, v11, v8, vcc_lo
	s_wait_alu 0xf1ff
	s_delay_alu instid0(VALU_DEP_2) | instskip(NEXT) | instid1(VALU_DEP_2)
	v_cndmask_b32_e64 v4, v6, v4, s0
	v_cndmask_b32_e64 v3, v5, v3, s0
	s_delay_alu instid0(VALU_DEP_2) | instskip(NEXT) | instid1(VALU_DEP_2)
	v_xor_b32_e32 v4, v4, v7
	v_xor_b32_e32 v3, v3, v7
	s_delay_alu instid0(VALU_DEP_1) | instskip(SKIP_1) | instid1(VALU_DEP_3)
	v_sub_co_u32 v6, vcc_lo, v3, v7
	s_wait_alu 0xfffd
	v_sub_co_ci_u32_e64 v7, null, v4, v7, vcc_lo
.LBB58_5:                               ;   in Loop: Header=BB58_3 Depth=1
	s_wait_alu 0xfffe
	s_and_not1_saveexec_b32 s0, s1
	s_cbranch_execz .LBB58_7
; %bb.6:                                ;   in Loop: Header=BB58_3 Depth=1
	s_sub_co_i32 s1, 0, s8
	v_mov_b32_e32 v7, v2
	s_wait_alu 0xfffe
	v_mul_lo_u32 v3, s1, v18
	s_delay_alu instid0(VALU_DEP_1) | instskip(NEXT) | instid1(VALU_DEP_1)
	v_mul_hi_u32 v3, v18, v3
	v_add_nc_u32_e32 v3, v18, v3
	s_delay_alu instid0(VALU_DEP_1) | instskip(NEXT) | instid1(VALU_DEP_1)
	v_mul_hi_u32 v3, v0, v3
	v_mul_lo_u32 v4, v3, s8
	v_add_nc_u32_e32 v5, 1, v3
	s_delay_alu instid0(VALU_DEP_2) | instskip(NEXT) | instid1(VALU_DEP_1)
	v_sub_nc_u32_e32 v4, v0, v4
	v_subrev_nc_u32_e32 v6, s8, v4
	v_cmp_le_u32_e32 vcc_lo, s8, v4
	s_wait_alu 0xfffd
	s_delay_alu instid0(VALU_DEP_2) | instskip(NEXT) | instid1(VALU_DEP_1)
	v_dual_cndmask_b32 v4, v4, v6 :: v_dual_cndmask_b32 v3, v3, v5
	v_cmp_le_u32_e32 vcc_lo, s8, v4
	s_delay_alu instid0(VALU_DEP_2) | instskip(SKIP_1) | instid1(VALU_DEP_1)
	v_add_nc_u32_e32 v5, 1, v3
	s_wait_alu 0xfffd
	v_cndmask_b32_e32 v6, v3, v5, vcc_lo
.LBB58_7:                               ;   in Loop: Header=BB58_3 Depth=1
	s_wait_alu 0xfffe
	s_or_b32 exec_lo, exec_lo, s0
	v_or_b32_e32 v3, s13, v7
                                        ; implicit-def: $vgpr8_vgpr9
	s_mov_b32 s0, exec_lo
	s_delay_alu instid0(VALU_DEP_1)
	v_cmpx_ne_u64_e32 0, v[2:3]
	s_wait_alu 0xfffe
	s_xor_b32 s1, exec_lo, s0
	s_cbranch_execz .LBB58_9
; %bb.8:                                ;   in Loop: Header=BB58_3 Depth=1
	s_ashr_i32 s2, s13, 31
	v_ashrrev_i32_e32 v5, 31, v7
	s_wait_alu 0xfffe
	s_mov_b32 s3, s2
	s_wait_alu 0xfffe
	s_add_nc_u64 s[38:39], s[12:13], s[2:3]
	v_add_co_u32 v3, vcc_lo, v6, v5
	s_wait_alu 0xfffe
	s_xor_b64 s[38:39], s[38:39], s[2:3]
	s_wait_alu 0xfffd
	v_add_co_ci_u32_e64 v4, null, v7, v5, vcc_lo
	s_wait_alu 0xfffe
	s_cvt_f32_u32 s0, s38
	s_cvt_f32_u32 s3, s39
	s_sub_nc_u64 s[42:43], 0, s[38:39]
	v_xor_b32_e32 v12, v3, v5
	v_xor_b32_e32 v13, v4, v5
	s_wait_alu 0xfffe
	s_fmamk_f32 s0, s3, 0x4f800000, s0
	v_xor_b32_e32 v5, s2, v5
	s_wait_alu 0xfffe
	s_delay_alu instid0(SALU_CYCLE_1) | instskip(NEXT) | instid1(TRANS32_DEP_1)
	v_s_rcp_f32 s0, s0
	s_mul_f32 s0, s0, 0x5f7ffffc
	s_wait_alu 0xfffe
	s_delay_alu instid0(SALU_CYCLE_2) | instskip(SKIP_1) | instid1(SALU_CYCLE_2)
	s_mul_f32 s3, s0, 0x2f800000
	s_wait_alu 0xfffe
	s_trunc_f32 s3, s3
	s_wait_alu 0xfffe
	s_delay_alu instid0(SALU_CYCLE_2) | instskip(SKIP_2) | instid1(SALU_CYCLE_1)
	s_fmamk_f32 s0, s3, 0xcf800000, s0
	s_cvt_u32_f32 s41, s3
	s_wait_alu 0xfffe
	s_cvt_u32_f32 s40, s0
	s_delay_alu instid0(SALU_CYCLE_3)
	s_mul_u64 s[44:45], s[42:43], s[40:41]
	s_wait_alu 0xfffe
	s_mul_hi_u32 s47, s40, s45
	s_mul_i32 s46, s40, s45
	s_mul_hi_u32 s14, s40, s44
	s_mul_i32 s3, s41, s44
	s_wait_alu 0xfffe
	s_add_nc_u64 s[46:47], s[14:15], s[46:47]
	s_mul_hi_u32 s0, s41, s44
	s_mul_hi_u32 s37, s41, s45
	s_wait_alu 0xfffe
	s_add_co_u32 s3, s46, s3
	s_add_co_ci_u32 s14, s47, s0
	s_mul_i32 s44, s41, s45
	s_add_co_ci_u32 s45, s37, 0
	s_wait_alu 0xfffe
	s_add_nc_u64 s[44:45], s[14:15], s[44:45]
	s_wait_alu 0xfffe
	s_add_co_u32 s40, s40, s44
	s_cselect_b32 s0, -1, 0
	s_wait_alu 0xfffe
	s_cmp_lg_u32 s0, 0
	s_add_co_ci_u32 s41, s41, s45
	s_delay_alu instid0(SALU_CYCLE_1) | instskip(NEXT) | instid1(SALU_CYCLE_1)
	s_mul_u64 s[42:43], s[42:43], s[40:41]
	s_mul_hi_u32 s45, s40, s43
	s_mul_i32 s44, s40, s43
	s_mul_hi_u32 s14, s40, s42
	s_mul_i32 s3, s41, s42
	s_wait_alu 0xfffe
	s_add_nc_u64 s[44:45], s[14:15], s[44:45]
	s_mul_hi_u32 s0, s41, s42
	s_mul_hi_u32 s37, s41, s43
	s_wait_alu 0xfffe
	s_add_co_u32 s3, s44, s3
	s_add_co_ci_u32 s14, s45, s0
	s_mul_i32 s42, s41, s43
	s_add_co_ci_u32 s43, s37, 0
	s_wait_alu 0xfffe
	s_add_nc_u64 s[42:43], s[14:15], s[42:43]
	s_delay_alu instid0(SALU_CYCLE_1)
	s_add_co_u32 s0, s40, s42
	s_cselect_b32 s3, -1, 0
	s_wait_alu 0xfffe
	v_mul_hi_u32 v14, v12, s0
	s_cmp_lg_u32 s3, 0
	v_mad_co_u64_u32 v[8:9], null, v13, s0, 0
	s_add_co_ci_u32 s3, s41, s43
	s_wait_alu 0xfffe
	v_mad_co_u64_u32 v[3:4], null, v12, s3, 0
	v_mad_co_u64_u32 v[10:11], null, v13, s3, 0
	s_delay_alu instid0(VALU_DEP_2) | instskip(SKIP_1) | instid1(VALU_DEP_3)
	v_add_co_u32 v3, vcc_lo, v14, v3
	s_wait_alu 0xfffd
	v_add_co_ci_u32_e64 v4, null, 0, v4, vcc_lo
	s_delay_alu instid0(VALU_DEP_2) | instskip(SKIP_1) | instid1(VALU_DEP_2)
	v_add_co_u32 v3, vcc_lo, v3, v8
	s_wait_alu 0xfffd
	v_add_co_ci_u32_e32 v3, vcc_lo, v4, v9, vcc_lo
	s_wait_alu 0xfffd
	v_add_co_ci_u32_e32 v4, vcc_lo, 0, v11, vcc_lo
	s_delay_alu instid0(VALU_DEP_2) | instskip(SKIP_1) | instid1(VALU_DEP_2)
	v_add_co_u32 v8, vcc_lo, v3, v10
	s_wait_alu 0xfffd
	v_add_co_ci_u32_e64 v9, null, 0, v4, vcc_lo
	s_delay_alu instid0(VALU_DEP_2) | instskip(SKIP_1) | instid1(VALU_DEP_3)
	v_mul_lo_u32 v10, s39, v8
	v_mad_co_u64_u32 v[3:4], null, s38, v8, 0
	v_mul_lo_u32 v11, s38, v9
	s_delay_alu instid0(VALU_DEP_2) | instskip(NEXT) | instid1(VALU_DEP_2)
	v_sub_co_u32 v3, vcc_lo, v12, v3
	v_add3_u32 v4, v4, v11, v10
	v_add_co_u32 v11, s0, v8, 2
	s_wait_alu 0xf1ff
	v_add_co_ci_u32_e64 v12, null, 0, v9, s0
	s_delay_alu instid0(VALU_DEP_3) | instskip(SKIP_3) | instid1(VALU_DEP_3)
	v_sub_nc_u32_e32 v10, v13, v4
	v_sub_co_u32 v14, s0, v3, s38
	s_wait_alu 0xfffd
	v_sub_co_ci_u32_e64 v4, null, v13, v4, vcc_lo
	v_subrev_co_ci_u32_e64 v10, null, s39, v10, vcc_lo
	s_delay_alu instid0(VALU_DEP_3) | instskip(SKIP_1) | instid1(VALU_DEP_2)
	v_cmp_le_u32_e32 vcc_lo, s38, v14
	s_wait_alu 0xf1ff
	v_subrev_co_ci_u32_e64 v10, null, 0, v10, s0
	s_wait_alu 0xfffd
	v_cndmask_b32_e64 v13, 0, -1, vcc_lo
	s_delay_alu instid0(VALU_DEP_2)
	v_cmp_le_u32_e32 vcc_lo, s39, v10
	s_wait_alu 0xfffd
	v_cndmask_b32_e64 v14, 0, -1, vcc_lo
	v_cmp_le_u32_e32 vcc_lo, s38, v3
	s_wait_alu 0xfffd
	v_cndmask_b32_e64 v3, 0, -1, vcc_lo
	v_cmp_le_u32_e32 vcc_lo, s39, v4
	s_wait_alu 0xfffd
	v_cndmask_b32_e64 v15, 0, -1, vcc_lo
	v_cmp_eq_u32_e32 vcc_lo, s39, v10
	s_wait_alu 0xfffd
	v_cndmask_b32_e32 v10, v14, v13, vcc_lo
	v_add_co_u32 v13, vcc_lo, v8, 1
	s_wait_alu 0xfffd
	v_add_co_ci_u32_e64 v14, null, 0, v9, vcc_lo
	v_cmp_eq_u32_e32 vcc_lo, s39, v4
	s_wait_alu 0xfffd
	v_cndmask_b32_e32 v3, v15, v3, vcc_lo
	v_cmp_ne_u32_e32 vcc_lo, 0, v10
	s_delay_alu instid0(VALU_DEP_2) | instskip(SKIP_3) | instid1(VALU_DEP_1)
	v_cmp_ne_u32_e64 s0, 0, v3
	s_wait_alu 0xfffd
	v_dual_cndmask_b32 v4, v14, v12 :: v_dual_cndmask_b32 v3, v13, v11
	s_wait_alu 0xf1ff
	v_cndmask_b32_e64 v4, v9, v4, s0
	s_delay_alu instid0(VALU_DEP_2) | instskip(NEXT) | instid1(VALU_DEP_2)
	v_cndmask_b32_e64 v3, v8, v3, s0
	v_xor_b32_e32 v4, v4, v5
	s_delay_alu instid0(VALU_DEP_2) | instskip(NEXT) | instid1(VALU_DEP_1)
	v_xor_b32_e32 v3, v3, v5
	v_sub_co_u32 v8, vcc_lo, v3, v5
	s_wait_alu 0xfffd
	s_delay_alu instid0(VALU_DEP_3)
	v_sub_co_ci_u32_e64 v9, null, v4, v5, vcc_lo
.LBB58_9:                               ;   in Loop: Header=BB58_3 Depth=1
	s_wait_alu 0xfffe
	s_and_not1_saveexec_b32 s0, s1
	s_cbranch_execz .LBB58_11
; %bb.10:                               ;   in Loop: Header=BB58_3 Depth=1
	s_sub_co_i32 s1, 0, s12
	v_mov_b32_e32 v9, v2
	s_wait_alu 0xfffe
	v_mul_lo_u32 v3, s1, v19
	s_delay_alu instid0(VALU_DEP_1) | instskip(NEXT) | instid1(VALU_DEP_1)
	v_mul_hi_u32 v3, v19, v3
	v_add_nc_u32_e32 v3, v19, v3
	s_delay_alu instid0(VALU_DEP_1) | instskip(NEXT) | instid1(VALU_DEP_1)
	v_mul_hi_u32 v3, v6, v3
	v_mul_lo_u32 v4, v3, s12
	v_add_nc_u32_e32 v5, 1, v3
	s_delay_alu instid0(VALU_DEP_2) | instskip(NEXT) | instid1(VALU_DEP_1)
	v_sub_nc_u32_e32 v4, v6, v4
	v_subrev_nc_u32_e32 v8, s12, v4
	v_cmp_le_u32_e32 vcc_lo, s12, v4
	s_wait_alu 0xfffd
	s_delay_alu instid0(VALU_DEP_2) | instskip(NEXT) | instid1(VALU_DEP_1)
	v_dual_cndmask_b32 v4, v4, v8 :: v_dual_cndmask_b32 v3, v3, v5
	v_cmp_le_u32_e32 vcc_lo, s12, v4
	s_delay_alu instid0(VALU_DEP_2) | instskip(SKIP_1) | instid1(VALU_DEP_1)
	v_add_nc_u32_e32 v5, 1, v3
	s_wait_alu 0xfffd
	v_cndmask_b32_e32 v8, v3, v5, vcc_lo
.LBB58_11:                              ;   in Loop: Header=BB58_3 Depth=1
	s_wait_alu 0xfffe
	s_or_b32 exec_lo, exec_lo, s0
	v_mul_lo_u32 v5, v7, s8
	v_mul_lo_u32 v12, v6, s9
	v_mad_co_u64_u32 v[3:4], null, v6, s8, 0
	v_mul_lo_u32 v13, v9, s12
	v_mul_lo_u32 v14, v8, s13
	v_mad_co_u64_u32 v[10:11], null, v8, s12, 0
	s_mov_b32 s37, exec_lo
	v_add3_u32 v5, v4, v12, v5
	v_sub_co_u32 v4, vcc_lo, v0, v3
	v_add3_u32 v11, v11, v14, v13
	s_wait_alu 0xfffd
	s_delay_alu instid0(VALU_DEP_3) | instskip(SKIP_3) | instid1(VALU_DEP_2)
	v_sub_co_ci_u32_e64 v5, null, v1, v5, vcc_lo
	v_sub_co_u32 v20, vcc_lo, v6, v10
	s_wait_alu 0xfffd
	v_sub_co_ci_u32_e64 v21, null, v7, v11, vcc_lo
	v_sub_co_u32 v6, vcc_lo, v4, v20
	s_wait_alu 0xfffd
	s_delay_alu instid0(VALU_DEP_2) | instskip(NEXT) | instid1(VALU_DEP_1)
	v_sub_co_ci_u32_e64 v7, null, v5, v21, vcc_lo
	v_cmpx_gt_i64_e64 s[4:5], v[6:7]
	s_cbranch_execz .LBB58_2
; %bb.12:                               ;   in Loop: Header=BB58_3 Depth=1
	s_load_b128 s[0:3], s[22:23], 0xc0
	s_and_not1_b32 vcc_lo, exec_lo, s33
	s_wait_kmcnt 0x0
	v_mul_lo_u32 v3, s3, v4
	v_mul_lo_u32 v10, s2, v5
	v_mad_co_u64_u32 v[6:7], null, s2, v4, 0
	s_delay_alu instid0(VALU_DEP_1) | instskip(SKIP_2) | instid1(VALU_DEP_3)
	v_add3_u32 v7, v7, v10, v3
	v_mul_lo_u32 v3, s0, v21
	v_mul_lo_u32 v10, s1, v20
	v_mad_co_u64_u32 v[6:7], null, s0, v20, v[6:7]
	s_delay_alu instid0(VALU_DEP_1)
	v_add3_u32 v7, v10, v7, v3
	s_wait_alu 0xfffe
	s_cbranch_vccnz .LBB58_38
; %bb.13:                               ;   in Loop: Header=BB58_3 Depth=1
	s_mov_b64 s[38:39], s[26:27]
	s_mov_b64 s[40:41], s[30:31]
	s_and_not1_b32 vcc_lo, exec_lo, s63
	s_mov_b64 s[44:45], s[28:29]
	s_mov_b64 s[42:43], s[20:21]
	s_wait_alu 0xfffe
	s_cbranch_vccz .LBB58_17
.LBB58_14:                              ;   in Loop: Header=BB58_3 Depth=1
	s_and_not1_b32 vcc_lo, exec_lo, s64
	s_wait_alu 0xfffe
	s_cbranch_vccnz .LBB58_38
; %bb.15:                               ;   in Loop: Header=BB58_3 Depth=1
	s_lshl_b64 s[0:1], s[42:43], 3
	s_add_nc_u64 s[42:43], s[42:43], 1
	s_wait_alu 0xfffe
	s_add_nc_u64 s[38:39], s[16:17], s[0:1]
	s_add_nc_u64 s[40:41], s[34:35], s[0:1]
	s_branch .LBB58_22
.LBB58_16:                              ;   in Loop: Header=BB58_17 Depth=2
	s_wait_alu 0xfffe
	s_or_b32 exec_lo, exec_lo, s0
	s_load_b64 s[0:1], s[44:45], 0x0
	v_mul_lo_u32 v3, v11, s46
	v_mul_lo_u32 v14, v10, s47
	v_mad_co_u64_u32 v[12:13], null, v10, s46, 0
	s_add_nc_u64 s[38:39], s[38:39], -1
	s_add_nc_u64 s[42:43], s[42:43], -1
	;; [unrolled: 1-line block ×3, first 2 shown]
	s_wait_alu 0xfffe
	s_cmp_lg_u64 s[38:39], 0
	s_add_nc_u64 s[40:41], s[40:41], -8
	v_add3_u32 v3, v13, v14, v3
	v_sub_co_u32 v8, vcc_lo, v8, v12
	s_wait_alu 0xfffd
	s_delay_alu instid0(VALU_DEP_2) | instskip(SKIP_1) | instid1(VALU_DEP_2)
	v_sub_co_ci_u32_e64 v3, null, v9, v3, vcc_lo
	s_wait_kmcnt 0x0
	v_mul_lo_u32 v9, s1, v8
	s_delay_alu instid0(VALU_DEP_2) | instskip(SKIP_1) | instid1(VALU_DEP_1)
	v_mul_lo_u32 v3, s0, v3
	v_mad_co_u64_u32 v[6:7], null, s0, v8, v[6:7]
	v_add3_u32 v7, v9, v7, v3
	v_dual_mov_b32 v8, v10 :: v_dual_mov_b32 v9, v11
	s_cbranch_scc0 .LBB58_14
.LBB58_17:                              ;   Parent Loop BB58_3 Depth=1
                                        ; =>  This Inner Loop Header: Depth=2
	s_load_b64 s[46:47], s[40:41], 0x0
                                        ; implicit-def: $vgpr10_vgpr11
	s_mov_b32 s0, exec_lo
	s_wait_kmcnt 0x0
	v_or_b32_e32 v3, s47, v9
	s_delay_alu instid0(VALU_DEP_1)
	v_cmpx_ne_u64_e32 0, v[2:3]
	s_wait_alu 0xfffe
	s_xor_b32 s1, exec_lo, s0
	s_cbranch_execz .LBB58_19
; %bb.18:                               ;   in Loop: Header=BB58_17 Depth=2
	s_ashr_i32 s48, s47, 31
	v_ashrrev_i32_e32 v3, 31, v9
	s_wait_alu 0xfffe
	s_mov_b32 s49, s48
	s_wait_alu 0xfffe
	s_add_nc_u64 s[50:51], s[46:47], s[48:49]
	v_add_co_u32 v10, vcc_lo, v8, v3
	s_wait_alu 0xfffe
	s_xor_b64 s[50:51], s[50:51], s[48:49]
	s_wait_alu 0xfffd
	v_add_co_ci_u32_e64 v11, null, v9, v3, vcc_lo
	s_wait_alu 0xfffe
	s_cvt_f32_u32 s0, s50
	s_cvt_f32_u32 s14, s51
	s_sub_nc_u64 s[54:55], 0, s[50:51]
	v_xor_b32_e32 v16, v10, v3
	v_xor_b32_e32 v17, v11, v3
	s_wait_alu 0xfffe
	s_fmamk_f32 s0, s14, 0x4f800000, s0
	v_xor_b32_e32 v3, s48, v3
	s_wait_alu 0xfffe
	s_delay_alu instid0(SALU_CYCLE_1) | instskip(NEXT) | instid1(TRANS32_DEP_1)
	v_s_rcp_f32 s0, s0
	s_mul_f32 s0, s0, 0x5f7ffffc
	s_wait_alu 0xfffe
	s_delay_alu instid0(SALU_CYCLE_2) | instskip(SKIP_1) | instid1(SALU_CYCLE_2)
	s_mul_f32 s14, s0, 0x2f800000
	s_wait_alu 0xfffe
	s_trunc_f32 s14, s14
	s_wait_alu 0xfffe
	s_delay_alu instid0(SALU_CYCLE_2) | instskip(SKIP_2) | instid1(SALU_CYCLE_1)
	s_fmamk_f32 s0, s14, 0xcf800000, s0
	s_cvt_u32_f32 s53, s14
	s_wait_alu 0xfffe
	s_cvt_u32_f32 s52, s0
	s_wait_alu 0xfffe
	s_delay_alu instid0(SALU_CYCLE_2)
	s_mul_u64 s[56:57], s[54:55], s[52:53]
	s_wait_alu 0xfffe
	s_mul_hi_u32 s59, s52, s57
	s_mul_i32 s58, s52, s57
	s_mul_hi_u32 s14, s52, s56
	s_mul_i32 s49, s53, s56
	s_wait_alu 0xfffe
	s_add_nc_u64 s[58:59], s[14:15], s[58:59]
	s_mul_hi_u32 s0, s53, s56
	s_mul_hi_u32 s60, s53, s57
	s_wait_alu 0xfffe
	s_add_co_u32 s14, s58, s49
	s_add_co_ci_u32 s14, s59, s0
	s_mul_i32 s56, s53, s57
	s_add_co_ci_u32 s57, s60, 0
	s_wait_alu 0xfffe
	s_add_nc_u64 s[56:57], s[14:15], s[56:57]
	s_wait_alu 0xfffe
	s_add_co_u32 s52, s52, s56
	s_cselect_b32 s0, -1, 0
	s_wait_alu 0xfffe
	s_cmp_lg_u32 s0, 0
	s_add_co_ci_u32 s53, s53, s57
	s_wait_alu 0xfffe
	s_mul_u64 s[54:55], s[54:55], s[52:53]
	s_wait_alu 0xfffe
	s_mul_hi_u32 s57, s52, s55
	s_mul_i32 s56, s52, s55
	s_mul_hi_u32 s14, s52, s54
	s_mul_i32 s49, s53, s54
	s_wait_alu 0xfffe
	s_add_nc_u64 s[56:57], s[14:15], s[56:57]
	s_mul_hi_u32 s0, s53, s54
	s_mul_hi_u32 s58, s53, s55
	s_wait_alu 0xfffe
	s_add_co_u32 s14, s56, s49
	s_add_co_ci_u32 s14, s57, s0
	s_mul_i32 s54, s53, s55
	s_add_co_ci_u32 s55, s58, 0
	s_wait_alu 0xfffe
	s_add_nc_u64 s[54:55], s[14:15], s[54:55]
	s_wait_alu 0xfffe
	s_add_co_u32 s0, s52, s54
	s_cselect_b32 s14, -1, 0
	s_wait_alu 0xfffe
	v_mul_hi_u32 v22, v16, s0
	s_cmp_lg_u32 s14, 0
	v_mad_co_u64_u32 v[12:13], null, v17, s0, 0
	s_add_co_ci_u32 s14, s53, s55
	s_wait_alu 0xfffe
	v_mad_co_u64_u32 v[10:11], null, v16, s14, 0
	v_mad_co_u64_u32 v[14:15], null, v17, s14, 0
	s_delay_alu instid0(VALU_DEP_2) | instskip(SKIP_1) | instid1(VALU_DEP_3)
	v_add_co_u32 v10, vcc_lo, v22, v10
	s_wait_alu 0xfffd
	v_add_co_ci_u32_e64 v11, null, 0, v11, vcc_lo
	s_delay_alu instid0(VALU_DEP_2) | instskip(SKIP_1) | instid1(VALU_DEP_2)
	v_add_co_u32 v10, vcc_lo, v10, v12
	s_wait_alu 0xfffd
	v_add_co_ci_u32_e32 v10, vcc_lo, v11, v13, vcc_lo
	s_wait_alu 0xfffd
	v_add_co_ci_u32_e32 v11, vcc_lo, 0, v15, vcc_lo
	s_delay_alu instid0(VALU_DEP_2) | instskip(SKIP_1) | instid1(VALU_DEP_2)
	v_add_co_u32 v12, vcc_lo, v10, v14
	s_wait_alu 0xfffd
	v_add_co_ci_u32_e64 v13, null, 0, v11, vcc_lo
	s_delay_alu instid0(VALU_DEP_2) | instskip(SKIP_1) | instid1(VALU_DEP_3)
	v_mul_lo_u32 v14, s51, v12
	v_mad_co_u64_u32 v[10:11], null, s50, v12, 0
	v_mul_lo_u32 v15, s50, v13
	s_delay_alu instid0(VALU_DEP_2) | instskip(NEXT) | instid1(VALU_DEP_2)
	v_sub_co_u32 v10, vcc_lo, v16, v10
	v_add3_u32 v11, v11, v15, v14
	v_add_co_u32 v15, s0, v12, 2
	s_wait_alu 0xf1ff
	v_add_co_ci_u32_e64 v16, null, 0, v13, s0
	s_delay_alu instid0(VALU_DEP_3) | instskip(SKIP_3) | instid1(VALU_DEP_3)
	v_sub_nc_u32_e32 v14, v17, v11
	v_sub_co_u32 v22, s0, v10, s50
	s_wait_alu 0xfffd
	v_sub_co_ci_u32_e64 v11, null, v17, v11, vcc_lo
	v_subrev_co_ci_u32_e64 v14, null, s51, v14, vcc_lo
	s_delay_alu instid0(VALU_DEP_3) | instskip(SKIP_1) | instid1(VALU_DEP_2)
	v_cmp_le_u32_e32 vcc_lo, s50, v22
	s_wait_alu 0xf1ff
	v_subrev_co_ci_u32_e64 v14, null, 0, v14, s0
	s_wait_alu 0xfffd
	v_cndmask_b32_e64 v17, 0, -1, vcc_lo
	s_delay_alu instid0(VALU_DEP_2)
	v_cmp_le_u32_e32 vcc_lo, s51, v14
	s_wait_alu 0xfffd
	v_cndmask_b32_e64 v22, 0, -1, vcc_lo
	v_cmp_le_u32_e32 vcc_lo, s50, v10
	s_wait_alu 0xfffd
	v_cndmask_b32_e64 v10, 0, -1, vcc_lo
	;; [unrolled: 3-line block ×3, first 2 shown]
	v_cmp_eq_u32_e32 vcc_lo, s51, v14
	s_wait_alu 0xfffd
	v_cndmask_b32_e32 v14, v22, v17, vcc_lo
	v_add_co_u32 v17, vcc_lo, v12, 1
	s_wait_alu 0xfffd
	v_add_co_ci_u32_e64 v22, null, 0, v13, vcc_lo
	v_cmp_eq_u32_e32 vcc_lo, s51, v11
	s_wait_alu 0xfffd
	v_cndmask_b32_e32 v10, v23, v10, vcc_lo
	v_cmp_ne_u32_e32 vcc_lo, 0, v14
	s_wait_alu 0xfffd
	v_cndmask_b32_e32 v11, v22, v16, vcc_lo
	s_delay_alu instid0(VALU_DEP_3) | instskip(SKIP_2) | instid1(VALU_DEP_2)
	v_cmp_ne_u32_e64 s0, 0, v10
	v_cndmask_b32_e32 v10, v17, v15, vcc_lo
	s_wait_alu 0xf1ff
	v_cndmask_b32_e64 v11, v13, v11, s0
	s_delay_alu instid0(VALU_DEP_2) | instskip(NEXT) | instid1(VALU_DEP_2)
	v_cndmask_b32_e64 v10, v12, v10, s0
	v_xor_b32_e32 v11, v11, v3
	s_delay_alu instid0(VALU_DEP_2) | instskip(NEXT) | instid1(VALU_DEP_1)
	v_xor_b32_e32 v10, v10, v3
	v_sub_co_u32 v10, vcc_lo, v10, v3
	s_wait_alu 0xfffd
	s_delay_alu instid0(VALU_DEP_3)
	v_sub_co_ci_u32_e64 v11, null, v11, v3, vcc_lo
.LBB58_19:                              ;   in Loop: Header=BB58_17 Depth=2
	s_wait_alu 0xfffe
	s_and_not1_saveexec_b32 s0, s1
	s_cbranch_execz .LBB58_16
; %bb.20:                               ;   in Loop: Header=BB58_17 Depth=2
	v_cvt_f32_u32_e32 v3, s46
	s_sub_co_i32 s1, 0, s46
	s_delay_alu instid0(VALU_DEP_1) | instskip(NEXT) | instid1(TRANS32_DEP_1)
	v_rcp_iflag_f32_e32 v3, v3
	v_mul_f32_e32 v3, 0x4f7ffffe, v3
	s_delay_alu instid0(VALU_DEP_1) | instskip(SKIP_1) | instid1(VALU_DEP_1)
	v_cvt_u32_f32_e32 v3, v3
	s_wait_alu 0xfffe
	v_mul_lo_u32 v10, s1, v3
	s_delay_alu instid0(VALU_DEP_1) | instskip(NEXT) | instid1(VALU_DEP_1)
	v_mul_hi_u32 v10, v3, v10
	v_add_nc_u32_e32 v3, v3, v10
	s_delay_alu instid0(VALU_DEP_1) | instskip(NEXT) | instid1(VALU_DEP_1)
	v_mul_hi_u32 v3, v8, v3
	v_mul_lo_u32 v10, v3, s46
	v_add_nc_u32_e32 v11, 1, v3
	s_delay_alu instid0(VALU_DEP_2) | instskip(NEXT) | instid1(VALU_DEP_1)
	v_sub_nc_u32_e32 v10, v8, v10
	v_subrev_nc_u32_e32 v12, s46, v10
	v_cmp_le_u32_e32 vcc_lo, s46, v10
	s_wait_alu 0xfffd
	s_delay_alu instid0(VALU_DEP_2) | instskip(NEXT) | instid1(VALU_DEP_1)
	v_dual_cndmask_b32 v10, v10, v12 :: v_dual_cndmask_b32 v3, v3, v11
	v_cmp_le_u32_e32 vcc_lo, s46, v10
	s_delay_alu instid0(VALU_DEP_2) | instskip(SKIP_1) | instid1(VALU_DEP_1)
	v_add_nc_u32_e32 v11, 1, v3
	s_wait_alu 0xfffd
	v_dual_cndmask_b32 v10, v3, v11 :: v_dual_mov_b32 v11, v2
	s_branch .LBB58_16
.LBB58_21:                              ;   in Loop: Header=BB58_22 Depth=2
	s_wait_alu 0xfffe
	s_or_b32 exec_lo, exec_lo, s0
	v_mul_lo_u32 v3, v11, s44
	v_mul_lo_u32 v26, v10, s45
	v_mad_co_u64_u32 v[22:23], null, v10, s44, 0
	v_mul_lo_u32 v27, v13, s48
	v_mul_lo_u32 v28, v12, s49
	v_mad_co_u64_u32 v[24:25], null, v12, s48, 0
	s_load_b64 s[0:1], s[38:39], 0x0
	s_add_nc_u64 s[42:43], s[42:43], -4
	v_add3_u32 v3, v23, v26, v3
	v_sub_co_u32 v8, vcc_lo, v8, v22
	v_mul_lo_u32 v22, v15, s52
	v_add3_u32 v23, v25, v28, v27
	s_wait_alu 0xfffd
	v_sub_co_ci_u32_e64 v3, null, v9, v3, vcc_lo
	v_mul_lo_u32 v25, s47, v8
	v_mad_co_u64_u32 v[6:7], null, s46, v8, v[6:7]
	s_delay_alu instid0(VALU_DEP_3)
	v_mul_lo_u32 v3, s46, v3
	v_mul_lo_u32 v26, v14, s53
	v_mad_co_u64_u32 v[8:9], null, v14, s52, 0
	v_sub_co_u32 v10, vcc_lo, v10, v24
	s_wait_alu 0xfffd
	v_sub_co_ci_u32_e64 v11, null, v11, v23, vcc_lo
	v_add3_u32 v7, v25, v7, v3
	s_add_nc_u64 s[38:39], s[38:39], s[18:19]
	s_delay_alu instid0(VALU_DEP_4)
	v_add3_u32 v3, v9, v26, v22
	v_mul_lo_u32 v22, s51, v10
	v_mul_lo_u32 v11, s50, v11
	v_mad_co_u64_u32 v[6:7], null, s50, v10, v[6:7]
	v_sub_co_u32 v10, vcc_lo, v12, v8
	s_wait_alu 0xfffd
	v_sub_co_ci_u32_e64 v3, null, v13, v3, vcc_lo
	v_mul_lo_u32 v12, v17, s56
	v_mul_lo_u32 v13, v16, s57
	v_mad_co_u64_u32 v[8:9], null, v16, s56, 0
	v_add3_u32 v7, v22, v7, v11
	v_mul_lo_u32 v3, s54, v3
	s_cmp_eq_u64 s[42:43], 0
	s_add_nc_u64 s[40:41], s[40:41], s[18:19]
	s_delay_alu instid0(VALU_DEP_2) | instskip(SKIP_4) | instid1(VALU_DEP_2)
	v_mad_co_u64_u32 v[6:7], null, s54, v10, v[6:7]
	v_mul_lo_u32 v10, s55, v10
	v_add3_u32 v9, v9, v13, v12
	v_sub_co_u32 v8, vcc_lo, v14, v8
	s_wait_alu 0xfffd
	v_sub_co_ci_u32_e64 v9, null, v15, v9, vcc_lo
	s_delay_alu instid0(VALU_DEP_4) | instskip(SKIP_1) | instid1(VALU_DEP_2)
	v_add3_u32 v7, v10, v7, v3
	s_wait_kmcnt 0x0
	v_mul_lo_u32 v3, s0, v9
	v_mul_lo_u32 v9, s1, v8
	s_delay_alu instid0(VALU_DEP_3) | instskip(NEXT) | instid1(VALU_DEP_1)
	v_mad_co_u64_u32 v[6:7], null, s0, v8, v[6:7]
	v_add3_u32 v7, v9, v7, v3
	v_dual_mov_b32 v8, v16 :: v_dual_mov_b32 v9, v17
	s_cbranch_scc1 .LBB58_38
.LBB58_22:                              ;   Parent Loop BB58_3 Depth=1
                                        ; =>  This Inner Loop Header: Depth=2
	s_load_b64 s[44:45], s[40:41], 0x18
                                        ; implicit-def: $vgpr10_vgpr11
	s_mov_b32 s0, exec_lo
	s_wait_kmcnt 0x0
	v_or_b32_e32 v3, s45, v9
	s_delay_alu instid0(VALU_DEP_1)
	v_cmpx_ne_u64_e32 0, v[2:3]
	s_wait_alu 0xfffe
	s_xor_b32 s1, exec_lo, s0
	s_cbranch_execz .LBB58_24
; %bb.23:                               ;   in Loop: Header=BB58_22 Depth=2
	s_ashr_i32 s46, s45, 31
	v_ashrrev_i32_e32 v3, 31, v9
	s_wait_alu 0xfffe
	s_mov_b32 s47, s46
	s_wait_alu 0xfffe
	s_add_nc_u64 s[48:49], s[44:45], s[46:47]
	v_add_co_u32 v10, vcc_lo, v8, v3
	s_wait_alu 0xfffe
	s_xor_b64 s[48:49], s[48:49], s[46:47]
	s_wait_alu 0xfffd
	v_add_co_ci_u32_e64 v11, null, v9, v3, vcc_lo
	s_wait_alu 0xfffe
	s_cvt_f32_u32 s0, s48
	s_cvt_f32_u32 s14, s49
	s_sub_nc_u64 s[52:53], 0, s[48:49]
	v_xor_b32_e32 v16, v10, v3
	v_xor_b32_e32 v17, v11, v3
	s_wait_alu 0xfffe
	s_fmamk_f32 s0, s14, 0x4f800000, s0
	v_xor_b32_e32 v3, s46, v3
	s_wait_alu 0xfffe
	s_delay_alu instid0(SALU_CYCLE_1) | instskip(NEXT) | instid1(TRANS32_DEP_1)
	v_s_rcp_f32 s0, s0
	s_mul_f32 s0, s0, 0x5f7ffffc
	s_wait_alu 0xfffe
	s_delay_alu instid0(SALU_CYCLE_2) | instskip(SKIP_1) | instid1(SALU_CYCLE_2)
	s_mul_f32 s14, s0, 0x2f800000
	s_wait_alu 0xfffe
	s_trunc_f32 s14, s14
	s_wait_alu 0xfffe
	s_delay_alu instid0(SALU_CYCLE_2) | instskip(SKIP_2) | instid1(SALU_CYCLE_1)
	s_fmamk_f32 s0, s14, 0xcf800000, s0
	s_cvt_u32_f32 s51, s14
	s_wait_alu 0xfffe
	s_cvt_u32_f32 s50, s0
	s_wait_alu 0xfffe
	s_delay_alu instid0(SALU_CYCLE_2)
	s_mul_u64 s[54:55], s[52:53], s[50:51]
	s_wait_alu 0xfffe
	s_mul_hi_u32 s57, s50, s55
	s_mul_i32 s56, s50, s55
	s_mul_hi_u32 s14, s50, s54
	s_mul_i32 s47, s51, s54
	s_wait_alu 0xfffe
	s_add_nc_u64 s[56:57], s[14:15], s[56:57]
	s_mul_hi_u32 s0, s51, s54
	s_mul_hi_u32 s58, s51, s55
	s_wait_alu 0xfffe
	s_add_co_u32 s14, s56, s47
	s_add_co_ci_u32 s14, s57, s0
	s_mul_i32 s54, s51, s55
	s_add_co_ci_u32 s55, s58, 0
	s_wait_alu 0xfffe
	s_add_nc_u64 s[54:55], s[14:15], s[54:55]
	s_wait_alu 0xfffe
	s_add_co_u32 s50, s50, s54
	s_cselect_b32 s0, -1, 0
	s_wait_alu 0xfffe
	s_cmp_lg_u32 s0, 0
	s_add_co_ci_u32 s51, s51, s55
	s_wait_alu 0xfffe
	s_mul_u64 s[52:53], s[52:53], s[50:51]
	s_wait_alu 0xfffe
	s_mul_hi_u32 s55, s50, s53
	s_mul_i32 s54, s50, s53
	s_mul_hi_u32 s14, s50, s52
	s_mul_i32 s47, s51, s52
	s_wait_alu 0xfffe
	s_add_nc_u64 s[54:55], s[14:15], s[54:55]
	s_mul_hi_u32 s0, s51, s52
	s_mul_hi_u32 s56, s51, s53
	s_wait_alu 0xfffe
	s_add_co_u32 s14, s54, s47
	s_add_co_ci_u32 s14, s55, s0
	s_mul_i32 s52, s51, s53
	s_add_co_ci_u32 s53, s56, 0
	s_wait_alu 0xfffe
	s_add_nc_u64 s[52:53], s[14:15], s[52:53]
	s_wait_alu 0xfffe
	s_add_co_u32 s0, s50, s52
	s_cselect_b32 s14, -1, 0
	s_wait_alu 0xfffe
	v_mul_hi_u32 v22, v16, s0
	s_cmp_lg_u32 s14, 0
	v_mad_co_u64_u32 v[12:13], null, v17, s0, 0
	s_add_co_ci_u32 s14, s51, s53
	s_wait_alu 0xfffe
	v_mad_co_u64_u32 v[10:11], null, v16, s14, 0
	v_mad_co_u64_u32 v[14:15], null, v17, s14, 0
	s_delay_alu instid0(VALU_DEP_2) | instskip(SKIP_1) | instid1(VALU_DEP_3)
	v_add_co_u32 v10, vcc_lo, v22, v10
	s_wait_alu 0xfffd
	v_add_co_ci_u32_e64 v11, null, 0, v11, vcc_lo
	s_delay_alu instid0(VALU_DEP_2) | instskip(SKIP_1) | instid1(VALU_DEP_2)
	v_add_co_u32 v10, vcc_lo, v10, v12
	s_wait_alu 0xfffd
	v_add_co_ci_u32_e32 v10, vcc_lo, v11, v13, vcc_lo
	s_wait_alu 0xfffd
	v_add_co_ci_u32_e32 v11, vcc_lo, 0, v15, vcc_lo
	s_delay_alu instid0(VALU_DEP_2) | instskip(SKIP_1) | instid1(VALU_DEP_2)
	v_add_co_u32 v12, vcc_lo, v10, v14
	s_wait_alu 0xfffd
	v_add_co_ci_u32_e64 v13, null, 0, v11, vcc_lo
	s_delay_alu instid0(VALU_DEP_2) | instskip(SKIP_1) | instid1(VALU_DEP_3)
	v_mul_lo_u32 v14, s49, v12
	v_mad_co_u64_u32 v[10:11], null, s48, v12, 0
	v_mul_lo_u32 v15, s48, v13
	s_delay_alu instid0(VALU_DEP_2) | instskip(NEXT) | instid1(VALU_DEP_2)
	v_sub_co_u32 v10, vcc_lo, v16, v10
	v_add3_u32 v11, v11, v15, v14
	v_add_co_u32 v15, s0, v12, 2
	s_wait_alu 0xf1ff
	v_add_co_ci_u32_e64 v16, null, 0, v13, s0
	s_delay_alu instid0(VALU_DEP_3) | instskip(SKIP_3) | instid1(VALU_DEP_3)
	v_sub_nc_u32_e32 v14, v17, v11
	v_sub_co_u32 v22, s0, v10, s48
	s_wait_alu 0xfffd
	v_sub_co_ci_u32_e64 v11, null, v17, v11, vcc_lo
	v_subrev_co_ci_u32_e64 v14, null, s49, v14, vcc_lo
	s_delay_alu instid0(VALU_DEP_3) | instskip(SKIP_1) | instid1(VALU_DEP_2)
	v_cmp_le_u32_e32 vcc_lo, s48, v22
	s_wait_alu 0xf1ff
	v_subrev_co_ci_u32_e64 v14, null, 0, v14, s0
	s_wait_alu 0xfffd
	v_cndmask_b32_e64 v17, 0, -1, vcc_lo
	s_delay_alu instid0(VALU_DEP_2)
	v_cmp_le_u32_e32 vcc_lo, s49, v14
	s_wait_alu 0xfffd
	v_cndmask_b32_e64 v22, 0, -1, vcc_lo
	v_cmp_le_u32_e32 vcc_lo, s48, v10
	s_wait_alu 0xfffd
	v_cndmask_b32_e64 v10, 0, -1, vcc_lo
	v_cmp_le_u32_e32 vcc_lo, s49, v11
	s_wait_alu 0xfffd
	v_cndmask_b32_e64 v23, 0, -1, vcc_lo
	v_cmp_eq_u32_e32 vcc_lo, s49, v14
	s_wait_alu 0xfffd
	v_cndmask_b32_e32 v14, v22, v17, vcc_lo
	v_add_co_u32 v17, vcc_lo, v12, 1
	s_wait_alu 0xfffd
	v_add_co_ci_u32_e64 v22, null, 0, v13, vcc_lo
	v_cmp_eq_u32_e32 vcc_lo, s49, v11
	s_wait_alu 0xfffd
	v_cndmask_b32_e32 v10, v23, v10, vcc_lo
	v_cmp_ne_u32_e32 vcc_lo, 0, v14
	s_wait_alu 0xfffd
	v_cndmask_b32_e32 v11, v22, v16, vcc_lo
	s_delay_alu instid0(VALU_DEP_3) | instskip(SKIP_2) | instid1(VALU_DEP_2)
	v_cmp_ne_u32_e64 s0, 0, v10
	v_cndmask_b32_e32 v10, v17, v15, vcc_lo
	s_wait_alu 0xf1ff
	v_cndmask_b32_e64 v11, v13, v11, s0
	s_delay_alu instid0(VALU_DEP_2) | instskip(NEXT) | instid1(VALU_DEP_2)
	v_cndmask_b32_e64 v10, v12, v10, s0
	v_xor_b32_e32 v11, v11, v3
	s_delay_alu instid0(VALU_DEP_2) | instskip(NEXT) | instid1(VALU_DEP_1)
	v_xor_b32_e32 v10, v10, v3
	v_sub_co_u32 v10, vcc_lo, v10, v3
	s_wait_alu 0xfffd
	s_delay_alu instid0(VALU_DEP_3)
	v_sub_co_ci_u32_e64 v11, null, v11, v3, vcc_lo
.LBB58_24:                              ;   in Loop: Header=BB58_22 Depth=2
	s_wait_alu 0xfffe
	s_and_not1_saveexec_b32 s0, s1
	s_cbranch_execz .LBB58_26
; %bb.25:                               ;   in Loop: Header=BB58_22 Depth=2
	v_cvt_f32_u32_e32 v3, s44
	s_sub_co_i32 s1, 0, s44
	s_delay_alu instid0(VALU_DEP_1) | instskip(NEXT) | instid1(TRANS32_DEP_1)
	v_rcp_iflag_f32_e32 v3, v3
	v_mul_f32_e32 v3, 0x4f7ffffe, v3
	s_delay_alu instid0(VALU_DEP_1) | instskip(SKIP_1) | instid1(VALU_DEP_1)
	v_cvt_u32_f32_e32 v3, v3
	s_wait_alu 0xfffe
	v_mul_lo_u32 v10, s1, v3
	s_delay_alu instid0(VALU_DEP_1) | instskip(NEXT) | instid1(VALU_DEP_1)
	v_mul_hi_u32 v10, v3, v10
	v_add_nc_u32_e32 v3, v3, v10
	s_delay_alu instid0(VALU_DEP_1) | instskip(NEXT) | instid1(VALU_DEP_1)
	v_mul_hi_u32 v3, v8, v3
	v_mul_lo_u32 v10, v3, s44
	v_add_nc_u32_e32 v11, 1, v3
	s_delay_alu instid0(VALU_DEP_2) | instskip(NEXT) | instid1(VALU_DEP_1)
	v_sub_nc_u32_e32 v10, v8, v10
	v_subrev_nc_u32_e32 v12, s44, v10
	v_cmp_le_u32_e32 vcc_lo, s44, v10
	s_wait_alu 0xfffd
	s_delay_alu instid0(VALU_DEP_2) | instskip(NEXT) | instid1(VALU_DEP_1)
	v_dual_cndmask_b32 v10, v10, v12 :: v_dual_cndmask_b32 v3, v3, v11
	v_cmp_le_u32_e32 vcc_lo, s44, v10
	s_delay_alu instid0(VALU_DEP_2) | instskip(SKIP_1) | instid1(VALU_DEP_1)
	v_add_nc_u32_e32 v11, 1, v3
	s_wait_alu 0xfffd
	v_dual_cndmask_b32 v10, v3, v11 :: v_dual_mov_b32 v11, v2
.LBB58_26:                              ;   in Loop: Header=BB58_22 Depth=2
	s_wait_alu 0xfffe
	s_or_b32 exec_lo, exec_lo, s0
	s_load_b64 s[48:49], s[40:41], 0x10
	s_load_b64 s[46:47], s[38:39], 0x18
                                        ; implicit-def: $vgpr12_vgpr13
	s_mov_b32 s0, exec_lo
	s_wait_kmcnt 0x0
	v_or_b32_e32 v3, s49, v11
	s_delay_alu instid0(VALU_DEP_1)
	v_cmpx_ne_u64_e32 0, v[2:3]
	s_wait_alu 0xfffe
	s_xor_b32 s1, exec_lo, s0
	s_cbranch_execz .LBB58_28
; %bb.27:                               ;   in Loop: Header=BB58_22 Depth=2
	s_ashr_i32 s50, s49, 31
	v_ashrrev_i32_e32 v3, 31, v11
	s_wait_alu 0xfffe
	s_mov_b32 s51, s50
	s_wait_alu 0xfffe
	s_add_nc_u64 s[52:53], s[48:49], s[50:51]
	v_add_co_u32 v12, vcc_lo, v10, v3
	s_wait_alu 0xfffe
	s_xor_b64 s[52:53], s[52:53], s[50:51]
	s_wait_alu 0xfffd
	v_add_co_ci_u32_e64 v13, null, v11, v3, vcc_lo
	s_wait_alu 0xfffe
	s_cvt_f32_u32 s0, s52
	s_cvt_f32_u32 s14, s53
	s_sub_nc_u64 s[56:57], 0, s[52:53]
	v_xor_b32_e32 v22, v12, v3
	v_xor_b32_e32 v23, v13, v3
	s_wait_alu 0xfffe
	s_fmamk_f32 s0, s14, 0x4f800000, s0
	v_xor_b32_e32 v3, s50, v3
	s_wait_alu 0xfffe
	s_delay_alu instid0(SALU_CYCLE_1) | instskip(NEXT) | instid1(TRANS32_DEP_1)
	v_s_rcp_f32 s0, s0
	s_mul_f32 s0, s0, 0x5f7ffffc
	s_wait_alu 0xfffe
	s_delay_alu instid0(SALU_CYCLE_2) | instskip(SKIP_1) | instid1(SALU_CYCLE_2)
	s_mul_f32 s14, s0, 0x2f800000
	s_wait_alu 0xfffe
	s_trunc_f32 s14, s14
	s_wait_alu 0xfffe
	s_delay_alu instid0(SALU_CYCLE_2) | instskip(SKIP_2) | instid1(SALU_CYCLE_1)
	s_fmamk_f32 s0, s14, 0xcf800000, s0
	s_cvt_u32_f32 s55, s14
	s_wait_alu 0xfffe
	s_cvt_u32_f32 s54, s0
	s_wait_alu 0xfffe
	s_delay_alu instid0(SALU_CYCLE_2)
	s_mul_u64 s[58:59], s[56:57], s[54:55]
	s_wait_alu 0xfffe
	s_mul_hi_u32 s61, s54, s59
	s_mul_i32 s60, s54, s59
	s_mul_hi_u32 s14, s54, s58
	s_mul_i32 s51, s55, s58
	s_wait_alu 0xfffe
	s_add_nc_u64 s[60:61], s[14:15], s[60:61]
	s_mul_hi_u32 s0, s55, s58
	s_mul_hi_u32 s66, s55, s59
	s_wait_alu 0xfffe
	s_add_co_u32 s14, s60, s51
	s_add_co_ci_u32 s14, s61, s0
	s_mul_i32 s58, s55, s59
	s_add_co_ci_u32 s59, s66, 0
	s_wait_alu 0xfffe
	s_add_nc_u64 s[58:59], s[14:15], s[58:59]
	s_wait_alu 0xfffe
	s_add_co_u32 s54, s54, s58
	s_cselect_b32 s0, -1, 0
	s_wait_alu 0xfffe
	s_cmp_lg_u32 s0, 0
	s_add_co_ci_u32 s55, s55, s59
	s_wait_alu 0xfffe
	s_mul_u64 s[56:57], s[56:57], s[54:55]
	s_wait_alu 0xfffe
	s_mul_hi_u32 s59, s54, s57
	s_mul_i32 s58, s54, s57
	s_mul_hi_u32 s14, s54, s56
	s_mul_i32 s51, s55, s56
	s_wait_alu 0xfffe
	s_add_nc_u64 s[58:59], s[14:15], s[58:59]
	s_mul_hi_u32 s0, s55, s56
	s_mul_hi_u32 s60, s55, s57
	s_wait_alu 0xfffe
	s_add_co_u32 s14, s58, s51
	s_add_co_ci_u32 s14, s59, s0
	s_mul_i32 s56, s55, s57
	s_add_co_ci_u32 s57, s60, 0
	s_wait_alu 0xfffe
	s_add_nc_u64 s[56:57], s[14:15], s[56:57]
	s_wait_alu 0xfffe
	s_add_co_u32 s0, s54, s56
	s_cselect_b32 s14, -1, 0
	s_wait_alu 0xfffe
	v_mul_hi_u32 v24, v22, s0
	s_cmp_lg_u32 s14, 0
	v_mad_co_u64_u32 v[14:15], null, v23, s0, 0
	s_add_co_ci_u32 s14, s55, s57
	s_wait_alu 0xfffe
	v_mad_co_u64_u32 v[12:13], null, v22, s14, 0
	v_mad_co_u64_u32 v[16:17], null, v23, s14, 0
	s_delay_alu instid0(VALU_DEP_2) | instskip(SKIP_1) | instid1(VALU_DEP_3)
	v_add_co_u32 v12, vcc_lo, v24, v12
	s_wait_alu 0xfffd
	v_add_co_ci_u32_e64 v13, null, 0, v13, vcc_lo
	s_delay_alu instid0(VALU_DEP_2) | instskip(SKIP_1) | instid1(VALU_DEP_2)
	v_add_co_u32 v12, vcc_lo, v12, v14
	s_wait_alu 0xfffd
	v_add_co_ci_u32_e32 v12, vcc_lo, v13, v15, vcc_lo
	s_wait_alu 0xfffd
	v_add_co_ci_u32_e32 v13, vcc_lo, 0, v17, vcc_lo
	s_delay_alu instid0(VALU_DEP_2) | instskip(SKIP_1) | instid1(VALU_DEP_2)
	v_add_co_u32 v14, vcc_lo, v12, v16
	s_wait_alu 0xfffd
	v_add_co_ci_u32_e64 v15, null, 0, v13, vcc_lo
	s_delay_alu instid0(VALU_DEP_2) | instskip(SKIP_1) | instid1(VALU_DEP_3)
	v_mul_lo_u32 v16, s53, v14
	v_mad_co_u64_u32 v[12:13], null, s52, v14, 0
	v_mul_lo_u32 v17, s52, v15
	s_delay_alu instid0(VALU_DEP_2) | instskip(NEXT) | instid1(VALU_DEP_2)
	v_sub_co_u32 v12, vcc_lo, v22, v12
	v_add3_u32 v13, v13, v17, v16
	v_add_co_u32 v17, s0, v14, 2
	s_wait_alu 0xf1ff
	v_add_co_ci_u32_e64 v22, null, 0, v15, s0
	s_delay_alu instid0(VALU_DEP_3) | instskip(SKIP_3) | instid1(VALU_DEP_3)
	v_sub_nc_u32_e32 v16, v23, v13
	v_sub_co_u32 v24, s0, v12, s52
	s_wait_alu 0xfffd
	v_sub_co_ci_u32_e64 v13, null, v23, v13, vcc_lo
	v_subrev_co_ci_u32_e64 v16, null, s53, v16, vcc_lo
	s_delay_alu instid0(VALU_DEP_3) | instskip(SKIP_1) | instid1(VALU_DEP_2)
	v_cmp_le_u32_e32 vcc_lo, s52, v24
	s_wait_alu 0xf1ff
	v_subrev_co_ci_u32_e64 v16, null, 0, v16, s0
	s_wait_alu 0xfffd
	v_cndmask_b32_e64 v23, 0, -1, vcc_lo
	s_delay_alu instid0(VALU_DEP_2)
	v_cmp_le_u32_e32 vcc_lo, s53, v16
	s_wait_alu 0xfffd
	v_cndmask_b32_e64 v24, 0, -1, vcc_lo
	v_cmp_le_u32_e32 vcc_lo, s52, v12
	s_wait_alu 0xfffd
	v_cndmask_b32_e64 v12, 0, -1, vcc_lo
	v_cmp_le_u32_e32 vcc_lo, s53, v13
	s_wait_alu 0xfffd
	v_cndmask_b32_e64 v25, 0, -1, vcc_lo
	v_cmp_eq_u32_e32 vcc_lo, s53, v16
	s_wait_alu 0xfffd
	v_cndmask_b32_e32 v16, v24, v23, vcc_lo
	v_add_co_u32 v23, vcc_lo, v14, 1
	s_wait_alu 0xfffd
	v_add_co_ci_u32_e64 v24, null, 0, v15, vcc_lo
	v_cmp_eq_u32_e32 vcc_lo, s53, v13
	s_wait_alu 0xfffd
	v_cndmask_b32_e32 v12, v25, v12, vcc_lo
	v_cmp_ne_u32_e32 vcc_lo, 0, v16
	s_wait_alu 0xfffd
	v_cndmask_b32_e32 v13, v24, v22, vcc_lo
	s_delay_alu instid0(VALU_DEP_3) | instskip(SKIP_2) | instid1(VALU_DEP_2)
	v_cmp_ne_u32_e64 s0, 0, v12
	v_cndmask_b32_e32 v12, v23, v17, vcc_lo
	s_wait_alu 0xf1ff
	v_cndmask_b32_e64 v13, v15, v13, s0
	s_delay_alu instid0(VALU_DEP_2) | instskip(NEXT) | instid1(VALU_DEP_2)
	v_cndmask_b32_e64 v12, v14, v12, s0
	v_xor_b32_e32 v13, v13, v3
	s_delay_alu instid0(VALU_DEP_2) | instskip(NEXT) | instid1(VALU_DEP_1)
	v_xor_b32_e32 v12, v12, v3
	v_sub_co_u32 v12, vcc_lo, v12, v3
	s_wait_alu 0xfffd
	s_delay_alu instid0(VALU_DEP_3)
	v_sub_co_ci_u32_e64 v13, null, v13, v3, vcc_lo
.LBB58_28:                              ;   in Loop: Header=BB58_22 Depth=2
	s_wait_alu 0xfffe
	s_and_not1_saveexec_b32 s0, s1
	s_cbranch_execz .LBB58_30
; %bb.29:                               ;   in Loop: Header=BB58_22 Depth=2
	v_cvt_f32_u32_e32 v3, s48
	s_sub_co_i32 s1, 0, s48
	s_delay_alu instid0(VALU_DEP_1) | instskip(NEXT) | instid1(TRANS32_DEP_1)
	v_rcp_iflag_f32_e32 v3, v3
	v_mul_f32_e32 v3, 0x4f7ffffe, v3
	s_delay_alu instid0(VALU_DEP_1) | instskip(SKIP_1) | instid1(VALU_DEP_1)
	v_cvt_u32_f32_e32 v3, v3
	s_wait_alu 0xfffe
	v_mul_lo_u32 v12, s1, v3
	s_delay_alu instid0(VALU_DEP_1) | instskip(NEXT) | instid1(VALU_DEP_1)
	v_mul_hi_u32 v12, v3, v12
	v_add_nc_u32_e32 v3, v3, v12
	s_delay_alu instid0(VALU_DEP_1) | instskip(NEXT) | instid1(VALU_DEP_1)
	v_mul_hi_u32 v3, v10, v3
	v_mul_lo_u32 v12, v3, s48
	v_add_nc_u32_e32 v13, 1, v3
	s_delay_alu instid0(VALU_DEP_2) | instskip(NEXT) | instid1(VALU_DEP_1)
	v_sub_nc_u32_e32 v12, v10, v12
	v_subrev_nc_u32_e32 v14, s48, v12
	v_cmp_le_u32_e32 vcc_lo, s48, v12
	s_wait_alu 0xfffd
	s_delay_alu instid0(VALU_DEP_2) | instskip(NEXT) | instid1(VALU_DEP_1)
	v_dual_cndmask_b32 v12, v12, v14 :: v_dual_cndmask_b32 v3, v3, v13
	v_cmp_le_u32_e32 vcc_lo, s48, v12
	s_delay_alu instid0(VALU_DEP_2) | instskip(SKIP_1) | instid1(VALU_DEP_1)
	v_add_nc_u32_e32 v13, 1, v3
	s_wait_alu 0xfffd
	v_dual_cndmask_b32 v12, v3, v13 :: v_dual_mov_b32 v13, v2
.LBB58_30:                              ;   in Loop: Header=BB58_22 Depth=2
	s_wait_alu 0xfffe
	s_or_b32 exec_lo, exec_lo, s0
	s_load_b64 s[52:53], s[40:41], 0x8
	s_load_b64 s[50:51], s[38:39], 0x10
                                        ; implicit-def: $vgpr14_vgpr15
	s_mov_b32 s0, exec_lo
	s_wait_kmcnt 0x0
	v_or_b32_e32 v3, s53, v13
	s_delay_alu instid0(VALU_DEP_1)
	v_cmpx_ne_u64_e32 0, v[2:3]
	s_wait_alu 0xfffe
	s_xor_b32 s1, exec_lo, s0
	s_cbranch_execz .LBB58_32
; %bb.31:                               ;   in Loop: Header=BB58_22 Depth=2
	s_ashr_i32 s54, s53, 31
	v_ashrrev_i32_e32 v3, 31, v13
	s_wait_alu 0xfffe
	s_mov_b32 s55, s54
	s_wait_alu 0xfffe
	s_add_nc_u64 s[56:57], s[52:53], s[54:55]
	v_add_co_u32 v14, vcc_lo, v12, v3
	s_wait_alu 0xfffe
	s_xor_b64 s[56:57], s[56:57], s[54:55]
	s_wait_alu 0xfffd
	v_add_co_ci_u32_e64 v15, null, v13, v3, vcc_lo
	s_wait_alu 0xfffe
	s_cvt_f32_u32 s0, s56
	s_cvt_f32_u32 s14, s57
	s_sub_nc_u64 s[60:61], 0, s[56:57]
	v_xor_b32_e32 v24, v14, v3
	v_xor_b32_e32 v25, v15, v3
	s_wait_alu 0xfffe
	s_fmamk_f32 s0, s14, 0x4f800000, s0
	v_xor_b32_e32 v3, s54, v3
	s_wait_alu 0xfffe
	s_delay_alu instid0(SALU_CYCLE_1) | instskip(NEXT) | instid1(TRANS32_DEP_1)
	v_s_rcp_f32 s0, s0
	s_mul_f32 s0, s0, 0x5f7ffffc
	s_wait_alu 0xfffe
	s_delay_alu instid0(SALU_CYCLE_2) | instskip(SKIP_1) | instid1(SALU_CYCLE_2)
	s_mul_f32 s14, s0, 0x2f800000
	s_wait_alu 0xfffe
	s_trunc_f32 s14, s14
	s_wait_alu 0xfffe
	s_delay_alu instid0(SALU_CYCLE_2) | instskip(SKIP_2) | instid1(SALU_CYCLE_1)
	s_fmamk_f32 s0, s14, 0xcf800000, s0
	s_cvt_u32_f32 s59, s14
	s_wait_alu 0xfffe
	s_cvt_u32_f32 s58, s0
	s_wait_alu 0xfffe
	s_delay_alu instid0(SALU_CYCLE_2) | instskip(NEXT) | instid1(SALU_CYCLE_1)
	s_mul_u64 s[66:67], s[60:61], s[58:59]
	s_mul_hi_u32 s69, s58, s67
	s_mul_i32 s68, s58, s67
	s_mul_hi_u32 s14, s58, s66
	s_mul_i32 s55, s59, s66
	s_wait_alu 0xfffe
	s_add_nc_u64 s[68:69], s[14:15], s[68:69]
	s_mul_hi_u32 s0, s59, s66
	s_mul_hi_u32 s70, s59, s67
	s_add_co_u32 s14, s68, s55
	s_wait_alu 0xfffe
	s_add_co_ci_u32 s14, s69, s0
	s_mul_i32 s66, s59, s67
	s_add_co_ci_u32 s67, s70, 0
	s_wait_alu 0xfffe
	s_add_nc_u64 s[66:67], s[14:15], s[66:67]
	s_delay_alu instid0(SALU_CYCLE_1)
	s_add_co_u32 s58, s58, s66
	s_cselect_b32 s0, -1, 0
	s_wait_alu 0xfffe
	s_cmp_lg_u32 s0, 0
	s_add_co_ci_u32 s59, s59, s67
	s_wait_alu 0xfffe
	s_mul_u64 s[60:61], s[60:61], s[58:59]
	s_wait_alu 0xfffe
	s_mul_hi_u32 s67, s58, s61
	s_mul_i32 s66, s58, s61
	s_mul_hi_u32 s14, s58, s60
	s_mul_i32 s55, s59, s60
	s_wait_alu 0xfffe
	s_add_nc_u64 s[66:67], s[14:15], s[66:67]
	s_mul_hi_u32 s0, s59, s60
	s_mul_hi_u32 s68, s59, s61
	s_add_co_u32 s14, s66, s55
	s_wait_alu 0xfffe
	s_add_co_ci_u32 s14, s67, s0
	s_mul_i32 s60, s59, s61
	s_add_co_ci_u32 s61, s68, 0
	s_wait_alu 0xfffe
	s_add_nc_u64 s[60:61], s[14:15], s[60:61]
	s_wait_alu 0xfffe
	s_add_co_u32 s0, s58, s60
	s_cselect_b32 s14, -1, 0
	s_wait_alu 0xfffe
	v_mul_hi_u32 v26, v24, s0
	s_cmp_lg_u32 s14, 0
	v_mad_co_u64_u32 v[16:17], null, v25, s0, 0
	s_add_co_ci_u32 s14, s59, s61
	s_wait_alu 0xfffe
	v_mad_co_u64_u32 v[14:15], null, v24, s14, 0
	v_mad_co_u64_u32 v[22:23], null, v25, s14, 0
	s_delay_alu instid0(VALU_DEP_2) | instskip(SKIP_1) | instid1(VALU_DEP_3)
	v_add_co_u32 v14, vcc_lo, v26, v14
	s_wait_alu 0xfffd
	v_add_co_ci_u32_e64 v15, null, 0, v15, vcc_lo
	s_delay_alu instid0(VALU_DEP_2) | instskip(SKIP_1) | instid1(VALU_DEP_2)
	v_add_co_u32 v14, vcc_lo, v14, v16
	s_wait_alu 0xfffd
	v_add_co_ci_u32_e32 v14, vcc_lo, v15, v17, vcc_lo
	s_wait_alu 0xfffd
	v_add_co_ci_u32_e32 v15, vcc_lo, 0, v23, vcc_lo
	s_delay_alu instid0(VALU_DEP_2) | instskip(SKIP_1) | instid1(VALU_DEP_2)
	v_add_co_u32 v16, vcc_lo, v14, v22
	s_wait_alu 0xfffd
	v_add_co_ci_u32_e64 v17, null, 0, v15, vcc_lo
	s_delay_alu instid0(VALU_DEP_2) | instskip(SKIP_1) | instid1(VALU_DEP_3)
	v_mul_lo_u32 v22, s57, v16
	v_mad_co_u64_u32 v[14:15], null, s56, v16, 0
	v_mul_lo_u32 v23, s56, v17
	s_delay_alu instid0(VALU_DEP_2) | instskip(NEXT) | instid1(VALU_DEP_2)
	v_sub_co_u32 v14, vcc_lo, v24, v14
	v_add3_u32 v15, v15, v23, v22
	v_add_co_u32 v23, s0, v16, 2
	s_wait_alu 0xf1ff
	v_add_co_ci_u32_e64 v24, null, 0, v17, s0
	s_delay_alu instid0(VALU_DEP_3) | instskip(SKIP_3) | instid1(VALU_DEP_3)
	v_sub_nc_u32_e32 v22, v25, v15
	v_sub_co_u32 v26, s0, v14, s56
	s_wait_alu 0xfffd
	v_sub_co_ci_u32_e64 v15, null, v25, v15, vcc_lo
	v_subrev_co_ci_u32_e64 v22, null, s57, v22, vcc_lo
	s_delay_alu instid0(VALU_DEP_3) | instskip(SKIP_1) | instid1(VALU_DEP_2)
	v_cmp_le_u32_e32 vcc_lo, s56, v26
	s_wait_alu 0xf1ff
	v_subrev_co_ci_u32_e64 v22, null, 0, v22, s0
	s_wait_alu 0xfffd
	v_cndmask_b32_e64 v25, 0, -1, vcc_lo
	s_delay_alu instid0(VALU_DEP_2)
	v_cmp_le_u32_e32 vcc_lo, s57, v22
	s_wait_alu 0xfffd
	v_cndmask_b32_e64 v26, 0, -1, vcc_lo
	v_cmp_le_u32_e32 vcc_lo, s56, v14
	s_wait_alu 0xfffd
	v_cndmask_b32_e64 v14, 0, -1, vcc_lo
	v_cmp_le_u32_e32 vcc_lo, s57, v15
	s_wait_alu 0xfffd
	v_cndmask_b32_e64 v27, 0, -1, vcc_lo
	v_cmp_eq_u32_e32 vcc_lo, s57, v22
	s_wait_alu 0xfffd
	v_cndmask_b32_e32 v22, v26, v25, vcc_lo
	v_add_co_u32 v25, vcc_lo, v16, 1
	s_wait_alu 0xfffd
	v_add_co_ci_u32_e64 v26, null, 0, v17, vcc_lo
	v_cmp_eq_u32_e32 vcc_lo, s57, v15
	s_wait_alu 0xfffd
	v_cndmask_b32_e32 v14, v27, v14, vcc_lo
	v_cmp_ne_u32_e32 vcc_lo, 0, v22
	s_wait_alu 0xfffd
	v_cndmask_b32_e32 v15, v26, v24, vcc_lo
	s_delay_alu instid0(VALU_DEP_3) | instskip(SKIP_2) | instid1(VALU_DEP_2)
	v_cmp_ne_u32_e64 s0, 0, v14
	v_cndmask_b32_e32 v14, v25, v23, vcc_lo
	s_wait_alu 0xf1ff
	v_cndmask_b32_e64 v15, v17, v15, s0
	s_delay_alu instid0(VALU_DEP_2) | instskip(NEXT) | instid1(VALU_DEP_2)
	v_cndmask_b32_e64 v14, v16, v14, s0
	v_xor_b32_e32 v15, v15, v3
	s_delay_alu instid0(VALU_DEP_2) | instskip(NEXT) | instid1(VALU_DEP_1)
	v_xor_b32_e32 v14, v14, v3
	v_sub_co_u32 v14, vcc_lo, v14, v3
	s_wait_alu 0xfffd
	s_delay_alu instid0(VALU_DEP_3)
	v_sub_co_ci_u32_e64 v15, null, v15, v3, vcc_lo
.LBB58_32:                              ;   in Loop: Header=BB58_22 Depth=2
	s_wait_alu 0xfffe
	s_and_not1_saveexec_b32 s0, s1
	s_cbranch_execz .LBB58_34
; %bb.33:                               ;   in Loop: Header=BB58_22 Depth=2
	v_cvt_f32_u32_e32 v3, s52
	s_sub_co_i32 s1, 0, s52
	s_delay_alu instid0(VALU_DEP_1) | instskip(NEXT) | instid1(TRANS32_DEP_1)
	v_rcp_iflag_f32_e32 v3, v3
	v_mul_f32_e32 v3, 0x4f7ffffe, v3
	s_delay_alu instid0(VALU_DEP_1) | instskip(SKIP_1) | instid1(VALU_DEP_1)
	v_cvt_u32_f32_e32 v3, v3
	s_wait_alu 0xfffe
	v_mul_lo_u32 v14, s1, v3
	s_delay_alu instid0(VALU_DEP_1) | instskip(NEXT) | instid1(VALU_DEP_1)
	v_mul_hi_u32 v14, v3, v14
	v_add_nc_u32_e32 v3, v3, v14
	s_delay_alu instid0(VALU_DEP_1) | instskip(NEXT) | instid1(VALU_DEP_1)
	v_mul_hi_u32 v3, v12, v3
	v_mul_lo_u32 v14, v3, s52
	v_add_nc_u32_e32 v15, 1, v3
	s_delay_alu instid0(VALU_DEP_2) | instskip(NEXT) | instid1(VALU_DEP_1)
	v_sub_nc_u32_e32 v14, v12, v14
	v_subrev_nc_u32_e32 v16, s52, v14
	v_cmp_le_u32_e32 vcc_lo, s52, v14
	s_wait_alu 0xfffd
	s_delay_alu instid0(VALU_DEP_2) | instskip(NEXT) | instid1(VALU_DEP_1)
	v_dual_cndmask_b32 v14, v14, v16 :: v_dual_cndmask_b32 v3, v3, v15
	v_cmp_le_u32_e32 vcc_lo, s52, v14
	s_delay_alu instid0(VALU_DEP_2) | instskip(SKIP_1) | instid1(VALU_DEP_1)
	v_add_nc_u32_e32 v15, 1, v3
	s_wait_alu 0xfffd
	v_dual_cndmask_b32 v14, v3, v15 :: v_dual_mov_b32 v15, v2
.LBB58_34:                              ;   in Loop: Header=BB58_22 Depth=2
	s_wait_alu 0xfffe
	s_or_b32 exec_lo, exec_lo, s0
	s_load_b64 s[56:57], s[40:41], 0x0
	s_load_b64 s[54:55], s[38:39], 0x8
                                        ; implicit-def: $vgpr16_vgpr17
	s_mov_b32 s0, exec_lo
	s_wait_kmcnt 0x0
	v_or_b32_e32 v3, s57, v15
	s_delay_alu instid0(VALU_DEP_1)
	v_cmpx_ne_u64_e32 0, v[2:3]
	s_wait_alu 0xfffe
	s_xor_b32 s1, exec_lo, s0
	s_cbranch_execz .LBB58_36
; %bb.35:                               ;   in Loop: Header=BB58_22 Depth=2
	s_ashr_i32 s58, s57, 31
	v_ashrrev_i32_e32 v3, 31, v15
	s_wait_alu 0xfffe
	s_mov_b32 s59, s58
	s_wait_alu 0xfffe
	s_add_nc_u64 s[60:61], s[56:57], s[58:59]
	v_add_co_u32 v16, vcc_lo, v14, v3
	s_wait_alu 0xfffe
	s_xor_b64 s[60:61], s[60:61], s[58:59]
	s_wait_alu 0xfffd
	v_add_co_ci_u32_e64 v17, null, v15, v3, vcc_lo
	s_wait_alu 0xfffe
	s_cvt_f32_u32 s0, s60
	s_cvt_f32_u32 s14, s61
	s_sub_nc_u64 s[68:69], 0, s[60:61]
	v_xor_b32_e32 v26, v16, v3
	v_xor_b32_e32 v27, v17, v3
	s_wait_alu 0xfffe
	s_fmamk_f32 s0, s14, 0x4f800000, s0
	v_xor_b32_e32 v3, s58, v3
	s_wait_alu 0xfffe
	s_delay_alu instid0(SALU_CYCLE_1) | instskip(NEXT) | instid1(TRANS32_DEP_1)
	v_s_rcp_f32 s0, s0
	s_mul_f32 s0, s0, 0x5f7ffffc
	s_wait_alu 0xfffe
	s_delay_alu instid0(SALU_CYCLE_2) | instskip(SKIP_1) | instid1(SALU_CYCLE_2)
	s_mul_f32 s14, s0, 0x2f800000
	s_wait_alu 0xfffe
	s_trunc_f32 s14, s14
	s_wait_alu 0xfffe
	s_delay_alu instid0(SALU_CYCLE_2) | instskip(SKIP_2) | instid1(SALU_CYCLE_1)
	s_fmamk_f32 s0, s14, 0xcf800000, s0
	s_cvt_u32_f32 s67, s14
	s_wait_alu 0xfffe
	s_cvt_u32_f32 s66, s0
	s_delay_alu instid0(SALU_CYCLE_3) | instskip(NEXT) | instid1(SALU_CYCLE_1)
	s_mul_u64 s[70:71], s[68:69], s[66:67]
	s_mul_hi_u32 s73, s66, s71
	s_mul_i32 s72, s66, s71
	s_mul_hi_u32 s14, s66, s70
	s_mul_i32 s59, s67, s70
	s_wait_alu 0xfffe
	s_add_nc_u64 s[72:73], s[14:15], s[72:73]
	s_mul_hi_u32 s0, s67, s70
	s_mul_hi_u32 s74, s67, s71
	s_add_co_u32 s14, s72, s59
	s_wait_alu 0xfffe
	s_add_co_ci_u32 s14, s73, s0
	s_mul_i32 s70, s67, s71
	s_add_co_ci_u32 s71, s74, 0
	s_wait_alu 0xfffe
	s_add_nc_u64 s[70:71], s[14:15], s[70:71]
	s_delay_alu instid0(SALU_CYCLE_1) | instskip(SKIP_4) | instid1(SALU_CYCLE_1)
	s_add_co_u32 s66, s66, s70
	s_cselect_b32 s0, -1, 0
	s_wait_alu 0xfffe
	s_cmp_lg_u32 s0, 0
	s_add_co_ci_u32 s67, s67, s71
	s_mul_u64 s[68:69], s[68:69], s[66:67]
	s_delay_alu instid0(SALU_CYCLE_1)
	s_mul_hi_u32 s71, s66, s69
	s_mul_i32 s70, s66, s69
	s_mul_hi_u32 s14, s66, s68
	s_mul_i32 s59, s67, s68
	s_wait_alu 0xfffe
	s_add_nc_u64 s[70:71], s[14:15], s[70:71]
	s_mul_hi_u32 s0, s67, s68
	s_mul_hi_u32 s72, s67, s69
	s_add_co_u32 s14, s70, s59
	s_wait_alu 0xfffe
	s_add_co_ci_u32 s14, s71, s0
	s_mul_i32 s68, s67, s69
	s_add_co_ci_u32 s69, s72, 0
	s_wait_alu 0xfffe
	s_add_nc_u64 s[68:69], s[14:15], s[68:69]
	s_delay_alu instid0(SALU_CYCLE_1)
	s_add_co_u32 s0, s66, s68
	s_cselect_b32 s14, -1, 0
	s_wait_alu 0xfffe
	v_mul_hi_u32 v28, v26, s0
	s_cmp_lg_u32 s14, 0
	v_mad_co_u64_u32 v[22:23], null, v27, s0, 0
	s_add_co_ci_u32 s14, s67, s69
	s_wait_alu 0xfffe
	v_mad_co_u64_u32 v[16:17], null, v26, s14, 0
	v_mad_co_u64_u32 v[24:25], null, v27, s14, 0
	s_delay_alu instid0(VALU_DEP_2) | instskip(SKIP_1) | instid1(VALU_DEP_3)
	v_add_co_u32 v16, vcc_lo, v28, v16
	s_wait_alu 0xfffd
	v_add_co_ci_u32_e64 v17, null, 0, v17, vcc_lo
	s_delay_alu instid0(VALU_DEP_2) | instskip(SKIP_1) | instid1(VALU_DEP_2)
	v_add_co_u32 v16, vcc_lo, v16, v22
	s_wait_alu 0xfffd
	v_add_co_ci_u32_e32 v16, vcc_lo, v17, v23, vcc_lo
	s_wait_alu 0xfffd
	v_add_co_ci_u32_e32 v17, vcc_lo, 0, v25, vcc_lo
	s_delay_alu instid0(VALU_DEP_2) | instskip(SKIP_1) | instid1(VALU_DEP_2)
	v_add_co_u32 v22, vcc_lo, v16, v24
	s_wait_alu 0xfffd
	v_add_co_ci_u32_e64 v23, null, 0, v17, vcc_lo
	s_delay_alu instid0(VALU_DEP_2) | instskip(SKIP_1) | instid1(VALU_DEP_3)
	v_mul_lo_u32 v24, s61, v22
	v_mad_co_u64_u32 v[16:17], null, s60, v22, 0
	v_mul_lo_u32 v25, s60, v23
	s_delay_alu instid0(VALU_DEP_2) | instskip(NEXT) | instid1(VALU_DEP_2)
	v_sub_co_u32 v16, vcc_lo, v26, v16
	v_add3_u32 v17, v17, v25, v24
	v_add_co_u32 v25, s0, v22, 2
	s_wait_alu 0xf1ff
	v_add_co_ci_u32_e64 v26, null, 0, v23, s0
	s_delay_alu instid0(VALU_DEP_3) | instskip(SKIP_3) | instid1(VALU_DEP_3)
	v_sub_nc_u32_e32 v24, v27, v17
	v_sub_co_u32 v28, s0, v16, s60
	s_wait_alu 0xfffd
	v_sub_co_ci_u32_e64 v17, null, v27, v17, vcc_lo
	v_subrev_co_ci_u32_e64 v24, null, s61, v24, vcc_lo
	s_delay_alu instid0(VALU_DEP_3) | instskip(SKIP_1) | instid1(VALU_DEP_2)
	v_cmp_le_u32_e32 vcc_lo, s60, v28
	s_wait_alu 0xf1ff
	v_subrev_co_ci_u32_e64 v24, null, 0, v24, s0
	s_wait_alu 0xfffd
	v_cndmask_b32_e64 v27, 0, -1, vcc_lo
	s_delay_alu instid0(VALU_DEP_2)
	v_cmp_le_u32_e32 vcc_lo, s61, v24
	s_wait_alu 0xfffd
	v_cndmask_b32_e64 v28, 0, -1, vcc_lo
	v_cmp_le_u32_e32 vcc_lo, s60, v16
	s_wait_alu 0xfffd
	v_cndmask_b32_e64 v16, 0, -1, vcc_lo
	;; [unrolled: 3-line block ×3, first 2 shown]
	v_cmp_eq_u32_e32 vcc_lo, s61, v24
	s_wait_alu 0xfffd
	v_cndmask_b32_e32 v24, v28, v27, vcc_lo
	v_add_co_u32 v27, vcc_lo, v22, 1
	s_wait_alu 0xfffd
	v_add_co_ci_u32_e64 v28, null, 0, v23, vcc_lo
	v_cmp_eq_u32_e32 vcc_lo, s61, v17
	s_wait_alu 0xfffd
	v_cndmask_b32_e32 v16, v29, v16, vcc_lo
	v_cmp_ne_u32_e32 vcc_lo, 0, v24
	s_wait_alu 0xfffd
	v_cndmask_b32_e32 v17, v28, v26, vcc_lo
	s_delay_alu instid0(VALU_DEP_3) | instskip(SKIP_2) | instid1(VALU_DEP_2)
	v_cmp_ne_u32_e64 s0, 0, v16
	v_cndmask_b32_e32 v16, v27, v25, vcc_lo
	s_wait_alu 0xf1ff
	v_cndmask_b32_e64 v17, v23, v17, s0
	s_delay_alu instid0(VALU_DEP_2) | instskip(NEXT) | instid1(VALU_DEP_2)
	v_cndmask_b32_e64 v16, v22, v16, s0
	v_xor_b32_e32 v17, v17, v3
	s_delay_alu instid0(VALU_DEP_2) | instskip(NEXT) | instid1(VALU_DEP_1)
	v_xor_b32_e32 v16, v16, v3
	v_sub_co_u32 v16, vcc_lo, v16, v3
	s_wait_alu 0xfffd
	s_delay_alu instid0(VALU_DEP_3)
	v_sub_co_ci_u32_e64 v17, null, v17, v3, vcc_lo
.LBB58_36:                              ;   in Loop: Header=BB58_22 Depth=2
	s_wait_alu 0xfffe
	s_and_not1_saveexec_b32 s0, s1
	s_cbranch_execz .LBB58_21
; %bb.37:                               ;   in Loop: Header=BB58_22 Depth=2
	v_cvt_f32_u32_e32 v3, s56
	s_sub_co_i32 s1, 0, s56
	s_delay_alu instid0(VALU_DEP_1) | instskip(NEXT) | instid1(TRANS32_DEP_1)
	v_rcp_iflag_f32_e32 v3, v3
	v_mul_f32_e32 v3, 0x4f7ffffe, v3
	s_delay_alu instid0(VALU_DEP_1) | instskip(SKIP_1) | instid1(VALU_DEP_1)
	v_cvt_u32_f32_e32 v3, v3
	s_wait_alu 0xfffe
	v_mul_lo_u32 v16, s1, v3
	s_delay_alu instid0(VALU_DEP_1) | instskip(NEXT) | instid1(VALU_DEP_1)
	v_mul_hi_u32 v16, v3, v16
	v_add_nc_u32_e32 v3, v3, v16
	s_delay_alu instid0(VALU_DEP_1) | instskip(NEXT) | instid1(VALU_DEP_1)
	v_mul_hi_u32 v3, v14, v3
	v_mul_lo_u32 v16, v3, s56
	v_add_nc_u32_e32 v17, 1, v3
	s_delay_alu instid0(VALU_DEP_2) | instskip(NEXT) | instid1(VALU_DEP_1)
	v_sub_nc_u32_e32 v16, v14, v16
	v_subrev_nc_u32_e32 v22, s56, v16
	v_cmp_le_u32_e32 vcc_lo, s56, v16
	s_wait_alu 0xfffd
	s_delay_alu instid0(VALU_DEP_2) | instskip(NEXT) | instid1(VALU_DEP_1)
	v_dual_cndmask_b32 v16, v16, v22 :: v_dual_cndmask_b32 v3, v3, v17
	v_cmp_le_u32_e32 vcc_lo, s56, v16
	s_delay_alu instid0(VALU_DEP_2) | instskip(SKIP_1) | instid1(VALU_DEP_1)
	v_add_nc_u32_e32 v17, 1, v3
	s_wait_alu 0xfffd
	v_dual_cndmask_b32 v16, v3, v17 :: v_dual_mov_b32 v17, v2
	s_branch .LBB58_21
.LBB58_38:                              ;   in Loop: Header=BB58_3 Depth=1
	s_load_b64 s[0:1], s[24:25], 0x0
	s_wait_kmcnt 0x0
	v_cmp_gt_i64_e32 vcc_lo, s[0:1], v[4:5]
	s_and_b32 exec_lo, exec_lo, vcc_lo
	s_cbranch_execz .LBB58_2
; %bb.39:                               ;   in Loop: Header=BB58_3 Depth=1
	v_add_co_u32 v8, vcc_lo, v4, 1
	s_wait_alu 0xfffd
	v_add_co_ci_u32_e64 v9, null, 0, v5, vcc_lo
	v_add_co_u32 v6, vcc_lo, s10, v6
	s_wait_alu 0xfffd
	v_add_co_ci_u32_e64 v7, null, s11, v7, vcc_lo
	s_delay_alu instid0(VALU_DEP_3)
	v_cmp_gt_i64_e32 vcc_lo, s[0:1], v[8:9]
	global_store_b8 v[6:7], v2, off
	s_and_b32 exec_lo, exec_lo, vcc_lo
	s_cbranch_execz .LBB58_2
; %bb.40:                               ;   in Loop: Header=BB58_3 Depth=1
	v_sub_co_u32 v8, vcc_lo, v8, v20
	s_wait_alu 0xfffd
	v_sub_co_ci_u32_e64 v9, null, v9, v21, vcc_lo
	s_mov_b32 s14, exec_lo
	v_cmpx_gt_i64_e64 s[4:5], v[8:9]
	s_cbranch_execz .LBB58_42
; %bb.41:                               ;   in Loop: Header=BB58_3 Depth=1
	v_add_co_u32 v8, vcc_lo, v6, s2
	s_wait_alu 0xfffd
	v_add_co_ci_u32_e64 v9, null, s3, v7, vcc_lo
	global_store_b8 v[8:9], v2, off
.LBB58_42:                              ;   in Loop: Header=BB58_3 Depth=1
	s_wait_alu 0xfffe
	s_or_b32 exec_lo, exec_lo, s14
	v_add_co_u32 v8, vcc_lo, v4, 2
	s_wait_alu 0xfffd
	v_add_co_ci_u32_e64 v9, null, 0, v5, vcc_lo
	s_delay_alu instid0(VALU_DEP_1)
	v_cmp_gt_i64_e32 vcc_lo, s[0:1], v[8:9]
	s_and_b32 exec_lo, exec_lo, vcc_lo
	s_cbranch_execz .LBB58_2
; %bb.43:                               ;   in Loop: Header=BB58_3 Depth=1
	v_sub_co_u32 v8, vcc_lo, v8, v20
	s_wait_alu 0xfffd
	v_sub_co_ci_u32_e64 v9, null, v9, v21, vcc_lo
	s_mov_b32 s14, exec_lo
	v_cmpx_gt_i64_e64 s[4:5], v[8:9]
	s_cbranch_execz .LBB58_45
; %bb.44:                               ;   in Loop: Header=BB58_3 Depth=1
	s_lshl_b64 s[38:39], s[2:3], 1
	s_wait_alu 0xfffe
	v_add_co_u32 v8, vcc_lo, v6, s38
	s_wait_alu 0xfffd
	v_add_co_ci_u32_e64 v9, null, s39, v7, vcc_lo
	global_store_b8 v[8:9], v2, off
.LBB58_45:                              ;   in Loop: Header=BB58_3 Depth=1
	s_wait_alu 0xfffe
	s_or_b32 exec_lo, exec_lo, s14
	v_add_co_u32 v3, vcc_lo, v4, 3
	s_wait_alu 0xfffd
	v_add_co_ci_u32_e64 v4, null, 0, v5, vcc_lo
	s_delay_alu instid0(VALU_DEP_2) | instskip(SKIP_1) | instid1(VALU_DEP_2)
	v_sub_co_u32 v8, vcc_lo, v3, v20
	s_wait_alu 0xfffd
	v_sub_co_ci_u32_e64 v9, null, v4, v21, vcc_lo
	v_cmp_gt_i64_e32 vcc_lo, s[0:1], v[3:4]
	s_delay_alu instid0(VALU_DEP_2)
	v_cmp_gt_i64_e64 s0, s[4:5], v[8:9]
	s_and_b32 s0, vcc_lo, s0
	s_wait_alu 0xfffe
	s_and_b32 exec_lo, exec_lo, s0
	s_cbranch_execz .LBB58_2
; %bb.46:                               ;   in Loop: Header=BB58_3 Depth=1
	v_mad_co_u64_u32 v[3:4], null, s2, 3, v[6:7]
	s_delay_alu instid0(VALU_DEP_1)
	v_mad_co_u64_u32 v[4:5], null, s3, 3, v[4:5]
	global_store_b8 v[3:4], v2, off
	s_branch .LBB58_2
.LBB58_47:
	s_endpgm
	.section	.rodata,"a",@progbits
	.p2align	6, 0x0
	.amdhsa_kernel _ZN2at6native16triu_tril_kernelIalLb1ELi4ELb1EEEvNS_4cuda6detail10TensorInfoIT_T0_EENS4_IKS5_S6_EEllS6_
		.amdhsa_group_segment_fixed_size 0
		.amdhsa_private_segment_fixed_size 0
		.amdhsa_kernarg_size 1112
		.amdhsa_user_sgpr_count 2
		.amdhsa_user_sgpr_dispatch_ptr 0
		.amdhsa_user_sgpr_queue_ptr 0
		.amdhsa_user_sgpr_kernarg_segment_ptr 1
		.amdhsa_user_sgpr_dispatch_id 0
		.amdhsa_user_sgpr_private_segment_size 0
		.amdhsa_wavefront_size32 1
		.amdhsa_uses_dynamic_stack 0
		.amdhsa_enable_private_segment 0
		.amdhsa_system_sgpr_workgroup_id_x 1
		.amdhsa_system_sgpr_workgroup_id_y 0
		.amdhsa_system_sgpr_workgroup_id_z 0
		.amdhsa_system_sgpr_workgroup_info 0
		.amdhsa_system_vgpr_workitem_id 0
		.amdhsa_next_free_vgpr 30
		.amdhsa_next_free_sgpr 75
		.amdhsa_reserve_vcc 1
		.amdhsa_float_round_mode_32 0
		.amdhsa_float_round_mode_16_64 0
		.amdhsa_float_denorm_mode_32 3
		.amdhsa_float_denorm_mode_16_64 3
		.amdhsa_fp16_overflow 0
		.amdhsa_workgroup_processor_mode 1
		.amdhsa_memory_ordered 1
		.amdhsa_forward_progress 1
		.amdhsa_inst_pref_size 67
		.amdhsa_round_robin_scheduling 0
		.amdhsa_exception_fp_ieee_invalid_op 0
		.amdhsa_exception_fp_denorm_src 0
		.amdhsa_exception_fp_ieee_div_zero 0
		.amdhsa_exception_fp_ieee_overflow 0
		.amdhsa_exception_fp_ieee_underflow 0
		.amdhsa_exception_fp_ieee_inexact 0
		.amdhsa_exception_int_div_zero 0
	.end_amdhsa_kernel
	.section	.text._ZN2at6native16triu_tril_kernelIalLb1ELi4ELb1EEEvNS_4cuda6detail10TensorInfoIT_T0_EENS4_IKS5_S6_EEllS6_,"axG",@progbits,_ZN2at6native16triu_tril_kernelIalLb1ELi4ELb1EEEvNS_4cuda6detail10TensorInfoIT_T0_EENS4_IKS5_S6_EEllS6_,comdat
.Lfunc_end58:
	.size	_ZN2at6native16triu_tril_kernelIalLb1ELi4ELb1EEEvNS_4cuda6detail10TensorInfoIT_T0_EENS4_IKS5_S6_EEllS6_, .Lfunc_end58-_ZN2at6native16triu_tril_kernelIalLb1ELi4ELb1EEEvNS_4cuda6detail10TensorInfoIT_T0_EENS4_IKS5_S6_EEllS6_
                                        ; -- End function
	.set _ZN2at6native16triu_tril_kernelIalLb1ELi4ELb1EEEvNS_4cuda6detail10TensorInfoIT_T0_EENS4_IKS5_S6_EEllS6_.num_vgpr, 30
	.set _ZN2at6native16triu_tril_kernelIalLb1ELi4ELb1EEEvNS_4cuda6detail10TensorInfoIT_T0_EENS4_IKS5_S6_EEllS6_.num_agpr, 0
	.set _ZN2at6native16triu_tril_kernelIalLb1ELi4ELb1EEEvNS_4cuda6detail10TensorInfoIT_T0_EENS4_IKS5_S6_EEllS6_.numbered_sgpr, 75
	.set _ZN2at6native16triu_tril_kernelIalLb1ELi4ELb1EEEvNS_4cuda6detail10TensorInfoIT_T0_EENS4_IKS5_S6_EEllS6_.num_named_barrier, 0
	.set _ZN2at6native16triu_tril_kernelIalLb1ELi4ELb1EEEvNS_4cuda6detail10TensorInfoIT_T0_EENS4_IKS5_S6_EEllS6_.private_seg_size, 0
	.set _ZN2at6native16triu_tril_kernelIalLb1ELi4ELb1EEEvNS_4cuda6detail10TensorInfoIT_T0_EENS4_IKS5_S6_EEllS6_.uses_vcc, 1
	.set _ZN2at6native16triu_tril_kernelIalLb1ELi4ELb1EEEvNS_4cuda6detail10TensorInfoIT_T0_EENS4_IKS5_S6_EEllS6_.uses_flat_scratch, 0
	.set _ZN2at6native16triu_tril_kernelIalLb1ELi4ELb1EEEvNS_4cuda6detail10TensorInfoIT_T0_EENS4_IKS5_S6_EEllS6_.has_dyn_sized_stack, 0
	.set _ZN2at6native16triu_tril_kernelIalLb1ELi4ELb1EEEvNS_4cuda6detail10TensorInfoIT_T0_EENS4_IKS5_S6_EEllS6_.has_recursion, 0
	.set _ZN2at6native16triu_tril_kernelIalLb1ELi4ELb1EEEvNS_4cuda6detail10TensorInfoIT_T0_EENS4_IKS5_S6_EEllS6_.has_indirect_call, 0
	.section	.AMDGPU.csdata,"",@progbits
; Kernel info:
; codeLenInByte = 8532
; TotalNumSgprs: 77
; NumVgprs: 30
; ScratchSize: 0
; MemoryBound: 0
; FloatMode: 240
; IeeeMode: 1
; LDSByteSize: 0 bytes/workgroup (compile time only)
; SGPRBlocks: 0
; VGPRBlocks: 3
; NumSGPRsForWavesPerEU: 77
; NumVGPRsForWavesPerEU: 30
; Occupancy: 16
; WaveLimiterHint : 0
; COMPUTE_PGM_RSRC2:SCRATCH_EN: 0
; COMPUTE_PGM_RSRC2:USER_SGPR: 2
; COMPUTE_PGM_RSRC2:TRAP_HANDLER: 0
; COMPUTE_PGM_RSRC2:TGID_X_EN: 1
; COMPUTE_PGM_RSRC2:TGID_Y_EN: 0
; COMPUTE_PGM_RSRC2:TGID_Z_EN: 0
; COMPUTE_PGM_RSRC2:TIDIG_COMP_CNT: 0
	.section	.text._ZN2at6native16triu_tril_kernelIalLb1ELi4ELb0EEEvNS_4cuda6detail10TensorInfoIT_T0_EENS4_IKS5_S6_EEllS6_,"axG",@progbits,_ZN2at6native16triu_tril_kernelIalLb1ELi4ELb0EEEvNS_4cuda6detail10TensorInfoIT_T0_EENS4_IKS5_S6_EEllS6_,comdat
	.protected	_ZN2at6native16triu_tril_kernelIalLb1ELi4ELb0EEEvNS_4cuda6detail10TensorInfoIT_T0_EENS4_IKS5_S6_EEllS6_ ; -- Begin function _ZN2at6native16triu_tril_kernelIalLb1ELi4ELb0EEEvNS_4cuda6detail10TensorInfoIT_T0_EENS4_IKS5_S6_EEllS6_
	.globl	_ZN2at6native16triu_tril_kernelIalLb1ELi4ELb0EEEvNS_4cuda6detail10TensorInfoIT_T0_EENS4_IKS5_S6_EEllS6_
	.p2align	8
	.type	_ZN2at6native16triu_tril_kernelIalLb1ELi4ELb0EEEvNS_4cuda6detail10TensorInfoIT_T0_EENS4_IKS5_S6_EEllS6_,@function
_ZN2at6native16triu_tril_kernelIalLb1ELi4ELb0EEEvNS_4cuda6detail10TensorInfoIT_T0_EENS4_IKS5_S6_EEllS6_: ; @_ZN2at6native16triu_tril_kernelIalLb1ELi4ELb0EEEvNS_4cuda6detail10TensorInfoIT_T0_EENS4_IKS5_S6_EEllS6_
; %bb.0:
	s_clause 0x1
	s_load_b32 s2, s[0:1], 0x364
	s_load_b128 s[4:7], s[0:1], 0x340
	v_mov_b32_e32 v2, 0
	s_delay_alu instid0(VALU_DEP_1) | instskip(SKIP_3) | instid1(VALU_DEP_1)
	v_mov_b32_e32 v1, v2
	s_wait_kmcnt 0x0
	s_and_b32 s16, s2, 0xffff
	s_mov_b32 s2, exec_lo
	v_mad_co_u64_u32 v[0:1], null, s16, ttmp9, v[0:1]
	s_delay_alu instid0(VALU_DEP_1) | instskip(NEXT) | instid1(VALU_DEP_1)
	v_lshlrev_b64_e32 v[0:1], 2, v[0:1]
	v_cmpx_gt_i64_e64 s[6:7], v[0:1]
	s_cbranch_execz .LBB59_44
; %bb.1:
	s_clause 0x1
	s_load_b32 s46, s[0:1], 0x338
	s_load_b64 s[2:3], s[0:1], 0x1a0
	s_add_nc_u64 s[20:21], s[0:1], 0x1a0
	s_load_b64 s[22:23], s[0:1], 0x350
	s_add_nc_u64 s[14:15], s[0:1], 0x358
	s_mov_b32 s27, 0
	s_mov_b32 s28, s4
	;; [unrolled: 1-line block ×10, first 2 shown]
	s_wait_kmcnt 0x0
	s_ashr_i32 s47, s46, 31
	s_add_co_i32 s38, s46, -3
	s_lshl_b64 s[18:19], s[46:47], 3
	s_ashr_i32 s39, s38, 31
	s_add_nc_u64 s[12:13], s[20:21], s[18:19]
	v_cmp_gt_i64_e64 s70, s[46:47], 2
	s_add_nc_u64 s[8:9], s[12:13], -8
	s_add_nc_u64 s[40:41], s[38:39], -1
	s_load_b128 s[8:11], s[8:9], 0x0
	s_load_b32 s17, s[14:15], 0x0
	s_clause 0x1
	s_load_b64 s[24:25], s[0:1], 0x0
	s_load_b128 s[12:15], s[12:13], 0xc0
	v_cvt_f32_u32_e32 v3, s22
	s_add_nc_u64 s[46:47], s[0:1], 0xc8
	s_delay_alu instid0(VALU_DEP_1)
	v_rcp_iflag_f32_e32 v3, v3
	s_wait_kmcnt 0x0
	v_cvt_f32_u32_e32 v4, s8
	s_mul_i32 s26, s17, s16
	s_add_nc_u64 s[16:17], s[0:1], s[18:19]
	s_lshl_b32 s33, s26, 2
	s_load_b128 s[16:19], s[16:17], 0xc0
	v_rcp_iflag_f32_e32 v4, v4
	s_delay_alu instid0(TRANS32_DEP_2)
	v_mul_f32_e32 v3, 0x4f7ffffe, v3
	s_bitcmp0_b32 s38, 0
	s_cselect_b32 s68, -1, 0
	s_lshl_b64 s[44:45], s[38:39], 3
	s_cmp_lg_u32 s38, 0
	s_add_nc_u64 s[42:43], s[20:21], s[44:45]
	s_add_nc_u64 s[44:45], s[0:1], s[44:45]
	s_cselect_b32 s69, -1, 0
	s_delay_alu instid0(TRANS32_DEP_1) | instskip(SKIP_2) | instid1(VALU_DEP_2)
	v_mul_f32_e32 v4, 0x4f7ffffe, v4
	v_cvt_u32_f32_e32 v16, v3
	s_ashr_i32 s48, s23, 31
	v_cvt_u32_f32_e32 v17, v4
	s_branch .LBB59_3
.LBB59_2:                               ;   in Loop: Header=BB59_3 Depth=1
	s_wait_alu 0xfffe
	s_or_b32 exec_lo, exec_lo, s0
	v_add_co_u32 v0, vcc_lo, v0, s33
	s_wait_alu 0xfffd
	v_add_co_ci_u32_e64 v1, null, 0, v1, vcc_lo
	s_delay_alu instid0(VALU_DEP_1) | instskip(SKIP_1) | instid1(SALU_CYCLE_1)
	v_cmp_le_i64_e32 vcc_lo, s[6:7], v[0:1]
	s_or_b32 s71, vcc_lo, s71
	s_and_not1_b32 exec_lo, exec_lo, s71
	s_cbranch_execz .LBB59_44
.LBB59_3:                               ; =>This Loop Header: Depth=1
                                        ;     Child Loop BB59_21 Depth 2
	v_or_b32_e32 v3, s23, v1
                                        ; implicit-def: $vgpr6_vgpr7
	s_mov_b32 s0, exec_lo
	s_delay_alu instid0(VALU_DEP_1)
	v_cmpx_ne_u64_e32 0, v[2:3]
	s_wait_alu 0xfffe
	s_xor_b32 s1, exec_lo, s0
	s_cbranch_execz .LBB59_5
; %bb.4:                                ;   in Loop: Header=BB59_3 Depth=1
	s_mov_b32 s49, s48
	v_ashrrev_i32_e32 v9, 31, v1
	s_wait_alu 0xfffe
	s_add_nc_u64 s[50:51], s[22:23], s[48:49]
	s_wait_alu 0xfffe
	s_xor_b64 s[50:51], s[50:51], s[48:49]
	v_add_co_u32 v3, vcc_lo, v0, v9
	s_wait_alu 0xfffe
	s_cvt_f32_u32 s0, s50
	s_cvt_f32_u32 s26, s51
	s_sub_nc_u64 s[54:55], 0, s[50:51]
	s_wait_alu 0xfffd
	v_add_co_ci_u32_e64 v4, null, v1, v9, vcc_lo
	s_wait_alu 0xfffe
	s_fmamk_f32 s0, s26, 0x4f800000, s0
	v_xor_b32_e32 v10, v3, v9
	s_delay_alu instid0(VALU_DEP_2) | instskip(SKIP_2) | instid1(TRANS32_DEP_1)
	v_xor_b32_e32 v11, v4, v9
	s_wait_alu 0xfffe
	v_s_rcp_f32 s0, s0
	s_mul_f32 s0, s0, 0x5f7ffffc
	s_wait_alu 0xfffe
	s_delay_alu instid0(SALU_CYCLE_2) | instskip(SKIP_1) | instid1(SALU_CYCLE_2)
	s_mul_f32 s26, s0, 0x2f800000
	s_wait_alu 0xfffe
	s_trunc_f32 s26, s26
	s_wait_alu 0xfffe
	s_delay_alu instid0(SALU_CYCLE_2) | instskip(SKIP_2) | instid1(SALU_CYCLE_1)
	s_fmamk_f32 s0, s26, 0xcf800000, s0
	s_cvt_u32_f32 s53, s26
	s_wait_alu 0xfffe
	s_cvt_u32_f32 s52, s0
	s_wait_alu 0xfffe
	s_delay_alu instid0(SALU_CYCLE_2)
	s_mul_u64 s[56:57], s[54:55], s[52:53]
	s_wait_alu 0xfffe
	s_mul_hi_u32 s59, s52, s57
	s_mul_i32 s58, s52, s57
	s_mul_hi_u32 s26, s52, s56
	s_mul_i32 s49, s53, s56
	s_wait_alu 0xfffe
	s_add_nc_u64 s[58:59], s[26:27], s[58:59]
	s_mul_hi_u32 s0, s53, s56
	s_mul_hi_u32 s60, s53, s57
	s_wait_alu 0xfffe
	s_add_co_u32 s26, s58, s49
	s_add_co_ci_u32 s26, s59, s0
	s_mul_i32 s56, s53, s57
	s_add_co_ci_u32 s57, s60, 0
	s_wait_alu 0xfffe
	s_add_nc_u64 s[56:57], s[26:27], s[56:57]
	s_wait_alu 0xfffe
	s_add_co_u32 s52, s52, s56
	s_cselect_b32 s0, -1, 0
	s_wait_alu 0xfffe
	s_cmp_lg_u32 s0, 0
	s_add_co_ci_u32 s53, s53, s57
	s_wait_alu 0xfffe
	s_mul_u64 s[54:55], s[54:55], s[52:53]
	s_wait_alu 0xfffe
	s_mul_hi_u32 s57, s52, s55
	s_mul_i32 s56, s52, s55
	s_mul_hi_u32 s26, s52, s54
	s_mul_i32 s49, s53, s54
	s_wait_alu 0xfffe
	s_add_nc_u64 s[56:57], s[26:27], s[56:57]
	s_mul_hi_u32 s0, s53, s54
	s_mul_hi_u32 s58, s53, s55
	s_wait_alu 0xfffe
	s_add_co_u32 s26, s56, s49
	s_add_co_ci_u32 s26, s57, s0
	s_mul_i32 s54, s53, s55
	s_add_co_ci_u32 s55, s58, 0
	s_wait_alu 0xfffe
	s_add_nc_u64 s[54:55], s[26:27], s[54:55]
	s_wait_alu 0xfffe
	s_add_co_u32 s0, s52, s54
	s_cselect_b32 s26, -1, 0
	s_wait_alu 0xfffe
	v_mul_hi_u32 v12, v10, s0
	s_cmp_lg_u32 s26, 0
	v_mad_co_u64_u32 v[5:6], null, v11, s0, 0
	s_add_co_ci_u32 s26, s53, s55
	s_wait_alu 0xfffe
	v_mad_co_u64_u32 v[3:4], null, v10, s26, 0
	v_mad_co_u64_u32 v[7:8], null, v11, s26, 0
	s_delay_alu instid0(VALU_DEP_2) | instskip(SKIP_1) | instid1(VALU_DEP_3)
	v_add_co_u32 v3, vcc_lo, v12, v3
	s_wait_alu 0xfffd
	v_add_co_ci_u32_e64 v4, null, 0, v4, vcc_lo
	s_delay_alu instid0(VALU_DEP_2) | instskip(SKIP_1) | instid1(VALU_DEP_2)
	v_add_co_u32 v3, vcc_lo, v3, v5
	s_wait_alu 0xfffd
	v_add_co_ci_u32_e32 v3, vcc_lo, v4, v6, vcc_lo
	s_wait_alu 0xfffd
	v_add_co_ci_u32_e32 v4, vcc_lo, 0, v8, vcc_lo
	s_delay_alu instid0(VALU_DEP_2) | instskip(SKIP_1) | instid1(VALU_DEP_2)
	v_add_co_u32 v5, vcc_lo, v3, v7
	s_wait_alu 0xfffd
	v_add_co_ci_u32_e64 v6, null, 0, v4, vcc_lo
	s_delay_alu instid0(VALU_DEP_2) | instskip(SKIP_1) | instid1(VALU_DEP_3)
	v_mul_lo_u32 v7, s51, v5
	v_mad_co_u64_u32 v[3:4], null, s50, v5, 0
	v_mul_lo_u32 v8, s50, v6
	s_delay_alu instid0(VALU_DEP_2) | instskip(NEXT) | instid1(VALU_DEP_2)
	v_sub_co_u32 v3, vcc_lo, v10, v3
	v_add3_u32 v4, v4, v8, v7
	v_add_co_u32 v8, s0, v5, 2
	s_wait_alu 0xf1ff
	v_add_co_ci_u32_e64 v10, null, 0, v6, s0
	s_delay_alu instid0(VALU_DEP_3) | instskip(SKIP_3) | instid1(VALU_DEP_3)
	v_sub_nc_u32_e32 v7, v11, v4
	v_sub_co_u32 v12, s0, v3, s50
	s_wait_alu 0xfffd
	v_sub_co_ci_u32_e64 v4, null, v11, v4, vcc_lo
	v_subrev_co_ci_u32_e64 v7, null, s51, v7, vcc_lo
	s_delay_alu instid0(VALU_DEP_3) | instskip(SKIP_1) | instid1(VALU_DEP_2)
	v_cmp_le_u32_e32 vcc_lo, s50, v12
	s_wait_alu 0xf1ff
	v_subrev_co_ci_u32_e64 v7, null, 0, v7, s0
	s_wait_alu 0xfffd
	v_cndmask_b32_e64 v11, 0, -1, vcc_lo
	s_delay_alu instid0(VALU_DEP_2)
	v_cmp_le_u32_e32 vcc_lo, s51, v7
	s_wait_alu 0xfffd
	v_cndmask_b32_e64 v12, 0, -1, vcc_lo
	v_cmp_le_u32_e32 vcc_lo, s50, v3
	s_wait_alu 0xfffd
	v_cndmask_b32_e64 v3, 0, -1, vcc_lo
	;; [unrolled: 3-line block ×3, first 2 shown]
	v_cmp_eq_u32_e32 vcc_lo, s51, v7
	s_wait_alu 0xfffd
	v_cndmask_b32_e32 v7, v12, v11, vcc_lo
	v_add_co_u32 v11, vcc_lo, v5, 1
	s_wait_alu 0xfffd
	v_add_co_ci_u32_e64 v12, null, 0, v6, vcc_lo
	v_cmp_eq_u32_e32 vcc_lo, s51, v4
	s_wait_alu 0xfffd
	v_cndmask_b32_e32 v3, v13, v3, vcc_lo
	v_cmp_ne_u32_e32 vcc_lo, 0, v7
	v_xor_b32_e32 v7, s48, v9
	s_wait_alu 0xfffd
	v_cndmask_b32_e32 v4, v12, v10, vcc_lo
	v_cmp_ne_u32_e64 s0, 0, v3
	v_cndmask_b32_e32 v3, v11, v8, vcc_lo
	s_wait_alu 0xf1ff
	s_delay_alu instid0(VALU_DEP_2) | instskip(NEXT) | instid1(VALU_DEP_2)
	v_cndmask_b32_e64 v4, v6, v4, s0
	v_cndmask_b32_e64 v3, v5, v3, s0
	s_delay_alu instid0(VALU_DEP_2) | instskip(NEXT) | instid1(VALU_DEP_2)
	v_xor_b32_e32 v4, v4, v7
	v_xor_b32_e32 v3, v3, v7
	s_delay_alu instid0(VALU_DEP_1) | instskip(SKIP_1) | instid1(VALU_DEP_3)
	v_sub_co_u32 v6, vcc_lo, v3, v7
	s_wait_alu 0xfffd
	v_sub_co_ci_u32_e64 v7, null, v4, v7, vcc_lo
.LBB59_5:                               ;   in Loop: Header=BB59_3 Depth=1
	s_wait_alu 0xfffe
	s_and_not1_saveexec_b32 s0, s1
	s_cbranch_execz .LBB59_7
; %bb.6:                                ;   in Loop: Header=BB59_3 Depth=1
	s_sub_co_i32 s1, 0, s22
	v_mov_b32_e32 v7, v2
	s_wait_alu 0xfffe
	v_mul_lo_u32 v3, s1, v16
	s_delay_alu instid0(VALU_DEP_1) | instskip(NEXT) | instid1(VALU_DEP_1)
	v_mul_hi_u32 v3, v16, v3
	v_add_nc_u32_e32 v3, v16, v3
	s_delay_alu instid0(VALU_DEP_1) | instskip(NEXT) | instid1(VALU_DEP_1)
	v_mul_hi_u32 v3, v0, v3
	v_mul_lo_u32 v4, v3, s22
	s_delay_alu instid0(VALU_DEP_1) | instskip(NEXT) | instid1(VALU_DEP_1)
	v_sub_nc_u32_e32 v4, v0, v4
	v_subrev_nc_u32_e32 v6, s22, v4
	v_cmp_le_u32_e32 vcc_lo, s22, v4
	s_wait_alu 0xfffd
	s_delay_alu instid0(VALU_DEP_2) | instskip(NEXT) | instid1(VALU_DEP_1)
	v_dual_cndmask_b32 v4, v4, v6 :: v_dual_add_nc_u32 v5, 1, v3
	v_cndmask_b32_e32 v3, v3, v5, vcc_lo
	s_delay_alu instid0(VALU_DEP_2) | instskip(NEXT) | instid1(VALU_DEP_2)
	v_cmp_le_u32_e32 vcc_lo, s22, v4
	v_add_nc_u32_e32 v5, 1, v3
	s_wait_alu 0xfffd
	s_delay_alu instid0(VALU_DEP_1)
	v_cndmask_b32_e32 v6, v3, v5, vcc_lo
.LBB59_7:                               ;   in Loop: Header=BB59_3 Depth=1
	s_wait_alu 0xfffe
	s_or_b32 exec_lo, exec_lo, s0
	v_or_b32_e32 v3, s9, v7
                                        ; implicit-def: $vgpr10_vgpr11
	s_mov_b32 s0, exec_lo
	s_delay_alu instid0(VALU_DEP_1)
	v_cmpx_ne_u64_e32 0, v[2:3]
	s_wait_alu 0xfffe
	s_xor_b32 s1, exec_lo, s0
	s_cbranch_execz .LBB59_9
; %bb.8:                                ;   in Loop: Header=BB59_3 Depth=1
	s_ashr_i32 s50, s9, 31
	v_ashrrev_i32_e32 v5, 31, v7
	s_wait_alu 0xfffe
	s_mov_b32 s51, s50
	s_wait_alu 0xfffe
	s_add_nc_u64 s[52:53], s[8:9], s[50:51]
	v_add_co_u32 v3, vcc_lo, v6, v5
	s_wait_alu 0xfffe
	s_xor_b64 s[52:53], s[52:53], s[50:51]
	s_wait_alu 0xfffd
	v_add_co_ci_u32_e64 v4, null, v7, v5, vcc_lo
	s_wait_alu 0xfffe
	s_cvt_f32_u32 s0, s52
	s_cvt_f32_u32 s26, s53
	s_sub_nc_u64 s[56:57], 0, s[52:53]
	v_xor_b32_e32 v12, v3, v5
	v_xor_b32_e32 v13, v4, v5
	s_wait_alu 0xfffe
	s_fmamk_f32 s0, s26, 0x4f800000, s0
	v_xor_b32_e32 v5, s50, v5
	s_wait_alu 0xfffe
	s_delay_alu instid0(SALU_CYCLE_1) | instskip(NEXT) | instid1(TRANS32_DEP_1)
	v_s_rcp_f32 s0, s0
	s_mul_f32 s0, s0, 0x5f7ffffc
	s_wait_alu 0xfffe
	s_delay_alu instid0(SALU_CYCLE_2) | instskip(SKIP_1) | instid1(SALU_CYCLE_2)
	s_mul_f32 s26, s0, 0x2f800000
	s_wait_alu 0xfffe
	s_trunc_f32 s26, s26
	s_wait_alu 0xfffe
	s_delay_alu instid0(SALU_CYCLE_2) | instskip(SKIP_2) | instid1(SALU_CYCLE_1)
	s_fmamk_f32 s0, s26, 0xcf800000, s0
	s_cvt_u32_f32 s55, s26
	s_wait_alu 0xfffe
	s_cvt_u32_f32 s54, s0
	s_wait_alu 0xfffe
	s_delay_alu instid0(SALU_CYCLE_2)
	s_mul_u64 s[58:59], s[56:57], s[54:55]
	s_wait_alu 0xfffe
	s_mul_hi_u32 s61, s54, s59
	s_mul_i32 s60, s54, s59
	s_mul_hi_u32 s26, s54, s58
	s_mul_i32 s49, s55, s58
	s_wait_alu 0xfffe
	s_add_nc_u64 s[60:61], s[26:27], s[60:61]
	s_mul_hi_u32 s0, s55, s58
	s_mul_hi_u32 s51, s55, s59
	s_wait_alu 0xfffe
	s_add_co_u32 s26, s60, s49
	s_add_co_ci_u32 s26, s61, s0
	s_mul_i32 s58, s55, s59
	s_add_co_ci_u32 s59, s51, 0
	s_wait_alu 0xfffe
	s_add_nc_u64 s[58:59], s[26:27], s[58:59]
	s_wait_alu 0xfffe
	s_add_co_u32 s54, s54, s58
	s_cselect_b32 s0, -1, 0
	s_wait_alu 0xfffe
	s_cmp_lg_u32 s0, 0
	s_add_co_ci_u32 s55, s55, s59
	s_wait_alu 0xfffe
	s_mul_u64 s[56:57], s[56:57], s[54:55]
	s_wait_alu 0xfffe
	s_mul_hi_u32 s59, s54, s57
	s_mul_i32 s58, s54, s57
	s_mul_hi_u32 s26, s54, s56
	s_mul_i32 s49, s55, s56
	s_wait_alu 0xfffe
	s_add_nc_u64 s[58:59], s[26:27], s[58:59]
	s_mul_hi_u32 s0, s55, s56
	s_mul_hi_u32 s51, s55, s57
	s_wait_alu 0xfffe
	s_add_co_u32 s26, s58, s49
	s_add_co_ci_u32 s26, s59, s0
	s_mul_i32 s56, s55, s57
	s_add_co_ci_u32 s57, s51, 0
	s_wait_alu 0xfffe
	s_add_nc_u64 s[56:57], s[26:27], s[56:57]
	s_wait_alu 0xfffe
	s_add_co_u32 s0, s54, s56
	s_cselect_b32 s26, -1, 0
	s_wait_alu 0xfffe
	v_mul_hi_u32 v14, v12, s0
	s_cmp_lg_u32 s26, 0
	v_mad_co_u64_u32 v[8:9], null, v13, s0, 0
	s_add_co_ci_u32 s26, s55, s57
	s_wait_alu 0xfffe
	v_mad_co_u64_u32 v[3:4], null, v12, s26, 0
	v_mad_co_u64_u32 v[10:11], null, v13, s26, 0
	s_delay_alu instid0(VALU_DEP_2) | instskip(SKIP_1) | instid1(VALU_DEP_3)
	v_add_co_u32 v3, vcc_lo, v14, v3
	s_wait_alu 0xfffd
	v_add_co_ci_u32_e64 v4, null, 0, v4, vcc_lo
	s_delay_alu instid0(VALU_DEP_2) | instskip(SKIP_1) | instid1(VALU_DEP_2)
	v_add_co_u32 v3, vcc_lo, v3, v8
	s_wait_alu 0xfffd
	v_add_co_ci_u32_e32 v3, vcc_lo, v4, v9, vcc_lo
	s_wait_alu 0xfffd
	v_add_co_ci_u32_e32 v4, vcc_lo, 0, v11, vcc_lo
	s_delay_alu instid0(VALU_DEP_2) | instskip(SKIP_1) | instid1(VALU_DEP_2)
	v_add_co_u32 v8, vcc_lo, v3, v10
	s_wait_alu 0xfffd
	v_add_co_ci_u32_e64 v9, null, 0, v4, vcc_lo
	s_delay_alu instid0(VALU_DEP_2) | instskip(SKIP_1) | instid1(VALU_DEP_3)
	v_mul_lo_u32 v10, s53, v8
	v_mad_co_u64_u32 v[3:4], null, s52, v8, 0
	v_mul_lo_u32 v11, s52, v9
	s_delay_alu instid0(VALU_DEP_2) | instskip(NEXT) | instid1(VALU_DEP_2)
	v_sub_co_u32 v3, vcc_lo, v12, v3
	v_add3_u32 v4, v4, v11, v10
	v_add_co_u32 v11, s0, v8, 2
	s_wait_alu 0xf1ff
	v_add_co_ci_u32_e64 v12, null, 0, v9, s0
	s_delay_alu instid0(VALU_DEP_3) | instskip(SKIP_3) | instid1(VALU_DEP_3)
	v_sub_nc_u32_e32 v10, v13, v4
	v_sub_co_u32 v14, s0, v3, s52
	s_wait_alu 0xfffd
	v_sub_co_ci_u32_e64 v4, null, v13, v4, vcc_lo
	v_subrev_co_ci_u32_e64 v10, null, s53, v10, vcc_lo
	s_delay_alu instid0(VALU_DEP_3) | instskip(SKIP_1) | instid1(VALU_DEP_2)
	v_cmp_le_u32_e32 vcc_lo, s52, v14
	s_wait_alu 0xf1ff
	v_subrev_co_ci_u32_e64 v10, null, 0, v10, s0
	s_wait_alu 0xfffd
	v_cndmask_b32_e64 v13, 0, -1, vcc_lo
	s_delay_alu instid0(VALU_DEP_2)
	v_cmp_le_u32_e32 vcc_lo, s53, v10
	s_wait_alu 0xfffd
	v_cndmask_b32_e64 v14, 0, -1, vcc_lo
	v_cmp_le_u32_e32 vcc_lo, s52, v3
	s_wait_alu 0xfffd
	v_cndmask_b32_e64 v3, 0, -1, vcc_lo
	;; [unrolled: 3-line block ×3, first 2 shown]
	v_cmp_eq_u32_e32 vcc_lo, s53, v10
	s_wait_alu 0xfffd
	v_cndmask_b32_e32 v10, v14, v13, vcc_lo
	v_add_co_u32 v13, vcc_lo, v8, 1
	s_wait_alu 0xfffd
	v_add_co_ci_u32_e64 v14, null, 0, v9, vcc_lo
	v_cmp_eq_u32_e32 vcc_lo, s53, v4
	s_wait_alu 0xfffd
	v_cndmask_b32_e32 v3, v15, v3, vcc_lo
	v_cmp_ne_u32_e32 vcc_lo, 0, v10
	s_delay_alu instid0(VALU_DEP_2) | instskip(SKIP_3) | instid1(VALU_DEP_1)
	v_cmp_ne_u32_e64 s0, 0, v3
	s_wait_alu 0xfffd
	v_dual_cndmask_b32 v4, v14, v12 :: v_dual_cndmask_b32 v3, v13, v11
	s_wait_alu 0xf1ff
	v_cndmask_b32_e64 v4, v9, v4, s0
	s_delay_alu instid0(VALU_DEP_2) | instskip(NEXT) | instid1(VALU_DEP_2)
	v_cndmask_b32_e64 v3, v8, v3, s0
	v_xor_b32_e32 v4, v4, v5
	s_delay_alu instid0(VALU_DEP_2) | instskip(NEXT) | instid1(VALU_DEP_1)
	v_xor_b32_e32 v3, v3, v5
	v_sub_co_u32 v10, vcc_lo, v3, v5
	s_wait_alu 0xfffd
	s_delay_alu instid0(VALU_DEP_3)
	v_sub_co_ci_u32_e64 v11, null, v4, v5, vcc_lo
.LBB59_9:                               ;   in Loop: Header=BB59_3 Depth=1
	s_wait_alu 0xfffe
	s_and_not1_saveexec_b32 s0, s1
	s_cbranch_execz .LBB59_11
; %bb.10:                               ;   in Loop: Header=BB59_3 Depth=1
	s_sub_co_i32 s1, 0, s8
	v_mov_b32_e32 v11, v2
	s_wait_alu 0xfffe
	v_mul_lo_u32 v3, s1, v17
	s_delay_alu instid0(VALU_DEP_1) | instskip(NEXT) | instid1(VALU_DEP_1)
	v_mul_hi_u32 v3, v17, v3
	v_add_nc_u32_e32 v3, v17, v3
	s_delay_alu instid0(VALU_DEP_1) | instskip(NEXT) | instid1(VALU_DEP_1)
	v_mul_hi_u32 v3, v6, v3
	v_mul_lo_u32 v4, v3, s8
	v_add_nc_u32_e32 v5, 1, v3
	s_delay_alu instid0(VALU_DEP_2) | instskip(NEXT) | instid1(VALU_DEP_1)
	v_sub_nc_u32_e32 v4, v6, v4
	v_subrev_nc_u32_e32 v8, s8, v4
	v_cmp_le_u32_e32 vcc_lo, s8, v4
	s_wait_alu 0xfffd
	s_delay_alu instid0(VALU_DEP_2) | instskip(NEXT) | instid1(VALU_DEP_1)
	v_dual_cndmask_b32 v4, v4, v8 :: v_dual_cndmask_b32 v3, v3, v5
	v_cmp_le_u32_e32 vcc_lo, s8, v4
	s_delay_alu instid0(VALU_DEP_2) | instskip(SKIP_1) | instid1(VALU_DEP_1)
	v_add_nc_u32_e32 v5, 1, v3
	s_wait_alu 0xfffd
	v_cndmask_b32_e32 v10, v3, v5, vcc_lo
.LBB59_11:                              ;   in Loop: Header=BB59_3 Depth=1
	s_wait_alu 0xfffe
	s_or_b32 exec_lo, exec_lo, s0
	v_mul_lo_u32 v5, v7, s22
	v_mul_lo_u32 v12, v6, s23
	v_mad_co_u64_u32 v[3:4], null, v6, s22, 0
	v_mul_lo_u32 v13, v11, s8
	v_mul_lo_u32 v14, v10, s9
	v_mad_co_u64_u32 v[8:9], null, v10, s8, 0
	s_delay_alu instid0(VALU_DEP_4) | instskip(SKIP_1) | instid1(VALU_DEP_3)
	v_add3_u32 v5, v4, v12, v5
	v_sub_co_u32 v4, vcc_lo, v0, v3
	v_add3_u32 v3, v9, v14, v13
	s_wait_alu 0xfffd
	s_delay_alu instid0(VALU_DEP_3) | instskip(NEXT) | instid1(VALU_DEP_3)
	v_sub_co_ci_u32_e64 v5, null, v1, v5, vcc_lo
	v_mul_lo_u32 v9, s15, v4
	v_mad_co_u64_u32 v[12:13], null, s14, v4, 0
	s_wait_kmcnt 0x0
	v_mul_lo_u32 v20, s19, v4
	v_mul_lo_u32 v21, s14, v5
	;; [unrolled: 1-line block ×3, first 2 shown]
	v_mad_co_u64_u32 v[14:15], null, s18, v4, 0
	v_sub_co_u32 v18, vcc_lo, v6, v8
	s_wait_alu 0xfffd
	v_sub_co_ci_u32_e64 v19, null, v7, v3, vcc_lo
	v_add3_u32 v13, v13, v21, v9
	s_delay_alu instid0(VALU_DEP_3) | instskip(SKIP_1) | instid1(VALU_DEP_4)
	v_mul_lo_u32 v3, s13, v18
	v_add3_u32 v15, v15, v22, v20
	v_mul_lo_u32 v21, s12, v19
	s_and_not1_b32 vcc_lo, exec_lo, s70
	v_mad_co_u64_u32 v[8:9], null, s12, v18, v[12:13]
	v_mul_lo_u32 v12, s16, v19
	v_mul_lo_u32 v13, s17, v18
	v_mad_co_u64_u32 v[6:7], null, s16, v18, v[14:15]
	s_delay_alu instid0(VALU_DEP_4) | instskip(NEXT) | instid1(VALU_DEP_2)
	v_add3_u32 v9, v3, v9, v21
	v_add3_u32 v7, v13, v7, v12
	s_wait_alu 0xfffe
	s_cbranch_vccnz .LBB59_29
; %bb.12:                               ;   in Loop: Header=BB59_3 Depth=1
	s_and_not1_b32 vcc_lo, exec_lo, s68
	s_wait_alu 0xfffe
	s_cbranch_vccnz .LBB59_18
; %bb.13:                               ;   in Loop: Header=BB59_3 Depth=1
	s_load_b64 s[50:51], s[42:43], 0x8
                                        ; implicit-def: $vgpr12_vgpr13
	s_mov_b32 s0, exec_lo
	s_wait_kmcnt 0x0
	v_or_b32_e32 v3, s51, v11
	s_delay_alu instid0(VALU_DEP_1)
	v_cmpx_ne_u64_e32 0, v[2:3]
	s_wait_alu 0xfffe
	s_xor_b32 s1, exec_lo, s0
	s_cbranch_execz .LBB59_15
; %bb.14:                               ;   in Loop: Header=BB59_3 Depth=1
	s_ashr_i32 s52, s51, 31
	v_ashrrev_i32_e32 v3, 31, v11
	s_wait_alu 0xfffe
	s_mov_b32 s53, s52
	s_wait_alu 0xfffe
	s_add_nc_u64 s[54:55], s[50:51], s[52:53]
	v_add_co_u32 v12, vcc_lo, v10, v3
	s_wait_alu 0xfffe
	s_xor_b64 s[54:55], s[54:55], s[52:53]
	s_wait_alu 0xfffd
	v_add_co_ci_u32_e64 v13, null, v11, v3, vcc_lo
	s_wait_alu 0xfffe
	s_cvt_f32_u32 s0, s54
	s_cvt_f32_u32 s26, s55
	s_sub_nc_u64 s[58:59], 0, s[54:55]
	v_xor_b32_e32 v22, v12, v3
	v_xor_b32_e32 v23, v13, v3
	s_wait_alu 0xfffe
	s_fmamk_f32 s0, s26, 0x4f800000, s0
	v_xor_b32_e32 v3, s52, v3
	s_wait_alu 0xfffe
	s_delay_alu instid0(SALU_CYCLE_1) | instskip(NEXT) | instid1(TRANS32_DEP_1)
	v_s_rcp_f32 s0, s0
	s_mul_f32 s0, s0, 0x5f7ffffc
	s_wait_alu 0xfffe
	s_delay_alu instid0(SALU_CYCLE_2) | instskip(SKIP_1) | instid1(SALU_CYCLE_2)
	s_mul_f32 s26, s0, 0x2f800000
	s_wait_alu 0xfffe
	s_trunc_f32 s26, s26
	s_wait_alu 0xfffe
	s_delay_alu instid0(SALU_CYCLE_2) | instskip(SKIP_2) | instid1(SALU_CYCLE_1)
	s_fmamk_f32 s0, s26, 0xcf800000, s0
	s_cvt_u32_f32 s57, s26
	s_wait_alu 0xfffe
	s_cvt_u32_f32 s56, s0
	s_wait_alu 0xfffe
	s_delay_alu instid0(SALU_CYCLE_2)
	s_mul_u64 s[60:61], s[58:59], s[56:57]
	s_wait_alu 0xfffe
	s_mul_hi_u32 s63, s56, s61
	s_mul_i32 s62, s56, s61
	s_mul_hi_u32 s26, s56, s60
	s_mul_i32 s49, s57, s60
	s_wait_alu 0xfffe
	s_add_nc_u64 s[62:63], s[26:27], s[62:63]
	s_mul_hi_u32 s0, s57, s60
	s_mul_hi_u32 s53, s57, s61
	s_wait_alu 0xfffe
	s_add_co_u32 s26, s62, s49
	s_add_co_ci_u32 s26, s63, s0
	s_mul_i32 s60, s57, s61
	s_add_co_ci_u32 s61, s53, 0
	s_wait_alu 0xfffe
	s_add_nc_u64 s[60:61], s[26:27], s[60:61]
	s_wait_alu 0xfffe
	s_add_co_u32 s56, s56, s60
	s_cselect_b32 s0, -1, 0
	s_wait_alu 0xfffe
	s_cmp_lg_u32 s0, 0
	s_add_co_ci_u32 s57, s57, s61
	s_wait_alu 0xfffe
	s_mul_u64 s[58:59], s[58:59], s[56:57]
	s_wait_alu 0xfffe
	s_mul_hi_u32 s61, s56, s59
	s_mul_i32 s60, s56, s59
	s_mul_hi_u32 s26, s56, s58
	s_mul_i32 s49, s57, s58
	s_wait_alu 0xfffe
	s_add_nc_u64 s[60:61], s[26:27], s[60:61]
	s_mul_hi_u32 s0, s57, s58
	s_mul_hi_u32 s53, s57, s59
	s_wait_alu 0xfffe
	s_add_co_u32 s26, s60, s49
	s_add_co_ci_u32 s26, s61, s0
	s_mul_i32 s58, s57, s59
	s_add_co_ci_u32 s59, s53, 0
	s_wait_alu 0xfffe
	s_add_nc_u64 s[58:59], s[26:27], s[58:59]
	s_wait_alu 0xfffe
	s_add_co_u32 s0, s56, s58
	s_cselect_b32 s26, -1, 0
	s_wait_alu 0xfffe
	v_mul_hi_u32 v24, v22, s0
	s_cmp_lg_u32 s26, 0
	v_mad_co_u64_u32 v[14:15], null, v23, s0, 0
	s_add_co_ci_u32 s26, s57, s59
	s_wait_alu 0xfffe
	v_mad_co_u64_u32 v[12:13], null, v22, s26, 0
	v_mad_co_u64_u32 v[20:21], null, v23, s26, 0
	s_delay_alu instid0(VALU_DEP_2) | instskip(SKIP_1) | instid1(VALU_DEP_3)
	v_add_co_u32 v12, vcc_lo, v24, v12
	s_wait_alu 0xfffd
	v_add_co_ci_u32_e64 v13, null, 0, v13, vcc_lo
	s_delay_alu instid0(VALU_DEP_2) | instskip(SKIP_1) | instid1(VALU_DEP_2)
	v_add_co_u32 v12, vcc_lo, v12, v14
	s_wait_alu 0xfffd
	v_add_co_ci_u32_e32 v12, vcc_lo, v13, v15, vcc_lo
	s_wait_alu 0xfffd
	v_add_co_ci_u32_e32 v13, vcc_lo, 0, v21, vcc_lo
	s_delay_alu instid0(VALU_DEP_2) | instskip(SKIP_1) | instid1(VALU_DEP_2)
	v_add_co_u32 v14, vcc_lo, v12, v20
	s_wait_alu 0xfffd
	v_add_co_ci_u32_e64 v15, null, 0, v13, vcc_lo
	s_delay_alu instid0(VALU_DEP_2) | instskip(SKIP_1) | instid1(VALU_DEP_3)
	v_mul_lo_u32 v20, s55, v14
	v_mad_co_u64_u32 v[12:13], null, s54, v14, 0
	v_mul_lo_u32 v21, s54, v15
	s_delay_alu instid0(VALU_DEP_2) | instskip(NEXT) | instid1(VALU_DEP_2)
	v_sub_co_u32 v12, vcc_lo, v22, v12
	v_add3_u32 v13, v13, v21, v20
	v_add_co_u32 v21, s0, v14, 2
	s_wait_alu 0xf1ff
	v_add_co_ci_u32_e64 v22, null, 0, v15, s0
	s_delay_alu instid0(VALU_DEP_3) | instskip(SKIP_3) | instid1(VALU_DEP_3)
	v_sub_nc_u32_e32 v20, v23, v13
	v_sub_co_u32 v24, s0, v12, s54
	s_wait_alu 0xfffd
	v_sub_co_ci_u32_e64 v13, null, v23, v13, vcc_lo
	v_subrev_co_ci_u32_e64 v20, null, s55, v20, vcc_lo
	s_delay_alu instid0(VALU_DEP_3) | instskip(SKIP_1) | instid1(VALU_DEP_2)
	v_cmp_le_u32_e32 vcc_lo, s54, v24
	s_wait_alu 0xf1ff
	v_subrev_co_ci_u32_e64 v20, null, 0, v20, s0
	s_wait_alu 0xfffd
	v_cndmask_b32_e64 v23, 0, -1, vcc_lo
	s_delay_alu instid0(VALU_DEP_2)
	v_cmp_le_u32_e32 vcc_lo, s55, v20
	s_wait_alu 0xfffd
	v_cndmask_b32_e64 v24, 0, -1, vcc_lo
	v_cmp_le_u32_e32 vcc_lo, s54, v12
	s_wait_alu 0xfffd
	v_cndmask_b32_e64 v12, 0, -1, vcc_lo
	v_cmp_le_u32_e32 vcc_lo, s55, v13
	s_wait_alu 0xfffd
	v_cndmask_b32_e64 v25, 0, -1, vcc_lo
	v_cmp_eq_u32_e32 vcc_lo, s55, v20
	s_wait_alu 0xfffd
	v_cndmask_b32_e32 v20, v24, v23, vcc_lo
	v_add_co_u32 v23, vcc_lo, v14, 1
	s_wait_alu 0xfffd
	v_add_co_ci_u32_e64 v24, null, 0, v15, vcc_lo
	v_cmp_eq_u32_e32 vcc_lo, s55, v13
	s_wait_alu 0xfffd
	v_cndmask_b32_e32 v12, v25, v12, vcc_lo
	v_cmp_ne_u32_e32 vcc_lo, 0, v20
	s_wait_alu 0xfffd
	v_cndmask_b32_e32 v13, v24, v22, vcc_lo
	s_delay_alu instid0(VALU_DEP_3) | instskip(SKIP_2) | instid1(VALU_DEP_2)
	v_cmp_ne_u32_e64 s0, 0, v12
	v_cndmask_b32_e32 v12, v23, v21, vcc_lo
	s_wait_alu 0xf1ff
	v_cndmask_b32_e64 v13, v15, v13, s0
	s_delay_alu instid0(VALU_DEP_2) | instskip(NEXT) | instid1(VALU_DEP_2)
	v_cndmask_b32_e64 v12, v14, v12, s0
	v_xor_b32_e32 v13, v13, v3
	s_delay_alu instid0(VALU_DEP_2) | instskip(NEXT) | instid1(VALU_DEP_1)
	v_xor_b32_e32 v12, v12, v3
	v_sub_co_u32 v12, vcc_lo, v12, v3
	s_wait_alu 0xfffd
	s_delay_alu instid0(VALU_DEP_3)
	v_sub_co_ci_u32_e64 v13, null, v13, v3, vcc_lo
.LBB59_15:                              ;   in Loop: Header=BB59_3 Depth=1
	s_wait_alu 0xfffe
	s_and_not1_saveexec_b32 s0, s1
	s_cbranch_execz .LBB59_17
; %bb.16:                               ;   in Loop: Header=BB59_3 Depth=1
	v_cvt_f32_u32_e32 v3, s50
	s_sub_co_i32 s1, 0, s50
	s_delay_alu instid0(VALU_DEP_1) | instskip(NEXT) | instid1(TRANS32_DEP_1)
	v_rcp_iflag_f32_e32 v3, v3
	v_mul_f32_e32 v3, 0x4f7ffffe, v3
	s_delay_alu instid0(VALU_DEP_1) | instskip(SKIP_1) | instid1(VALU_DEP_1)
	v_cvt_u32_f32_e32 v3, v3
	s_wait_alu 0xfffe
	v_mul_lo_u32 v12, s1, v3
	s_delay_alu instid0(VALU_DEP_1) | instskip(NEXT) | instid1(VALU_DEP_1)
	v_mul_hi_u32 v12, v3, v12
	v_add_nc_u32_e32 v3, v3, v12
	s_delay_alu instid0(VALU_DEP_1) | instskip(NEXT) | instid1(VALU_DEP_1)
	v_mul_hi_u32 v3, v10, v3
	v_mul_lo_u32 v12, v3, s50
	v_add_nc_u32_e32 v13, 1, v3
	s_delay_alu instid0(VALU_DEP_2) | instskip(NEXT) | instid1(VALU_DEP_1)
	v_sub_nc_u32_e32 v12, v10, v12
	v_subrev_nc_u32_e32 v14, s50, v12
	v_cmp_le_u32_e32 vcc_lo, s50, v12
	s_wait_alu 0xfffd
	s_delay_alu instid0(VALU_DEP_2) | instskip(NEXT) | instid1(VALU_DEP_1)
	v_dual_cndmask_b32 v12, v12, v14 :: v_dual_cndmask_b32 v3, v3, v13
	v_cmp_le_u32_e32 vcc_lo, s50, v12
	s_delay_alu instid0(VALU_DEP_2) | instskip(SKIP_1) | instid1(VALU_DEP_1)
	v_add_nc_u32_e32 v13, 1, v3
	s_wait_alu 0xfffd
	v_dual_cndmask_b32 v12, v3, v13 :: v_dual_mov_b32 v13, v2
.LBB59_17:                              ;   in Loop: Header=BB59_3 Depth=1
	s_wait_alu 0xfffe
	s_or_b32 exec_lo, exec_lo, s0
	s_delay_alu instid0(VALU_DEP_1) | instskip(NEXT) | instid1(VALU_DEP_2)
	v_mul_lo_u32 v3, v13, s50
	v_mul_lo_u32 v20, v12, s51
	s_load_b64 s[0:1], s[42:43], 0xd0
	v_mad_co_u64_u32 v[14:15], null, v12, s50, 0
	s_load_b64 s[50:51], s[44:45], 0xd0
	v_add3_u32 v3, v15, v20, v3
	v_sub_co_u32 v10, vcc_lo, v10, v14
	s_wait_alu 0xfffd
	s_delay_alu instid0(VALU_DEP_2) | instskip(SKIP_1) | instid1(VALU_DEP_1)
	v_sub_co_ci_u32_e64 v3, null, v11, v3, vcc_lo
	s_wait_kmcnt 0x0
	v_mul_lo_u32 v11, s0, v3
	v_mul_lo_u32 v14, s1, v10
	v_mad_co_u64_u32 v[8:9], null, s0, v10, v[8:9]
	v_mul_lo_u32 v3, s50, v3
	v_mul_lo_u32 v15, s51, v10
	v_mad_co_u64_u32 v[6:7], null, s50, v10, v[6:7]
	s_mov_b64 s[0:1], s[40:41]
	v_add3_u32 v9, v14, v9, v11
	v_dual_mov_b32 v10, v12 :: v_dual_mov_b32 v11, v13
	v_add3_u32 v7, v15, v7, v3
	s_and_not1_b32 vcc_lo, exec_lo, s69
	s_wait_alu 0xfffe
	s_cbranch_vccz .LBB59_19
	s_branch .LBB59_29
.LBB59_18:                              ;   in Loop: Header=BB59_3 Depth=1
	s_mov_b64 s[0:1], s[38:39]
	s_and_not1_b32 vcc_lo, exec_lo, s69
	s_wait_alu 0xfffe
	s_cbranch_vccnz .LBB59_29
.LBB59_19:                              ;   in Loop: Header=BB59_3 Depth=1
	s_lshl_b64 s[52:53], s[0:1], 3
	s_add_nc_u64 s[54:55], s[0:1], 1
	s_wait_alu 0xfffe
	s_add_nc_u64 s[50:51], s[46:47], s[52:53]
	s_add_nc_u64 s[52:53], s[20:21], s[52:53]
	s_branch .LBB59_21
.LBB59_20:                              ;   in Loop: Header=BB59_21 Depth=2
	s_wait_alu 0xfffe
	s_or_b32 exec_lo, exec_lo, s0
	v_mul_lo_u32 v3, v13, s56
	v_mul_lo_u32 v24, v12, s57
	v_mad_co_u64_u32 v[20:21], null, v12, s56, 0
	s_load_b64 s[0:1], s[52:53], 0xc8
	s_load_b64 s[56:57], s[50:51], 0x0
	v_mul_lo_u32 v25, v15, s62
	v_mul_lo_u32 v26, v14, s63
	v_mad_co_u64_u32 v[22:23], null, v14, s62, 0
	v_add3_u32 v3, v21, v24, v3
	v_sub_co_u32 v10, vcc_lo, v10, v20
	s_add_nc_u64 s[54:55], s[54:55], -2
	s_add_nc_u64 s[50:51], s[50:51], -16
	s_wait_alu 0xfffd
	v_sub_co_ci_u32_e64 v3, null, v11, v3, vcc_lo
	v_mul_lo_u32 v11, s61, v10
	v_mad_co_u64_u32 v[8:9], null, s60, v10, v[8:9]
	s_delay_alu instid0(VALU_DEP_3)
	v_mul_lo_u32 v20, s60, v3
	v_mul_lo_u32 v21, s59, v10
	v_mad_co_u64_u32 v[6:7], null, s58, v10, v[6:7]
	v_mul_lo_u32 v3, s58, v3
	v_add3_u32 v10, v23, v26, v25
	s_wait_alu 0xfffe
	s_cmp_eq_u64 s[54:55], 0
	s_add_nc_u64 s[52:53], s[52:53], -16
	v_add3_u32 v9, v11, v9, v20
	v_sub_co_u32 v11, vcc_lo, v12, v22
	s_wait_alu 0xfffd
	v_sub_co_ci_u32_e64 v10, null, v13, v10, vcc_lo
	v_add3_u32 v7, v21, v7, v3
	s_wait_kmcnt 0x0
	v_mad_co_u64_u32 v[8:9], null, s0, v11, v[8:9]
	s_delay_alu instid0(VALU_DEP_3) | instskip(SKIP_4) | instid1(VALU_DEP_4)
	v_mul_lo_u32 v3, s0, v10
	v_mul_lo_u32 v12, s1, v11
	v_mul_lo_u32 v10, s56, v10
	v_mul_lo_u32 v13, s57, v11
	v_mad_co_u64_u32 v[6:7], null, s56, v11, v[6:7]
	v_add3_u32 v9, v12, v9, v3
	s_delay_alu instid0(VALU_DEP_2)
	v_add3_u32 v7, v13, v7, v10
	v_dual_mov_b32 v10, v14 :: v_dual_mov_b32 v11, v15
	s_cbranch_scc1 .LBB59_29
.LBB59_21:                              ;   Parent Loop BB59_3 Depth=1
                                        ; =>  This Inner Loop Header: Depth=2
	s_load_b64 s[56:57], s[52:53], 0x8
                                        ; implicit-def: $vgpr12_vgpr13
	s_mov_b32 s0, exec_lo
	s_wait_kmcnt 0x0
	v_or_b32_e32 v3, s57, v11
	s_delay_alu instid0(VALU_DEP_1)
	v_cmpx_ne_u64_e32 0, v[2:3]
	s_wait_alu 0xfffe
	s_xor_b32 s1, exec_lo, s0
	s_cbranch_execz .LBB59_23
; %bb.22:                               ;   in Loop: Header=BB59_21 Depth=2
	s_ashr_i32 s58, s57, 31
	v_ashrrev_i32_e32 v3, 31, v11
	s_wait_alu 0xfffe
	s_mov_b32 s59, s58
	s_wait_alu 0xfffe
	s_add_nc_u64 s[60:61], s[56:57], s[58:59]
	v_add_co_u32 v12, vcc_lo, v10, v3
	s_wait_alu 0xfffe
	s_xor_b64 s[60:61], s[60:61], s[58:59]
	s_wait_alu 0xfffd
	v_add_co_ci_u32_e64 v13, null, v11, v3, vcc_lo
	s_wait_alu 0xfffe
	s_cvt_f32_u32 s0, s60
	s_cvt_f32_u32 s26, s61
	s_sub_nc_u64 s[64:65], 0, s[60:61]
	v_xor_b32_e32 v22, v12, v3
	v_xor_b32_e32 v23, v13, v3
	s_wait_alu 0xfffe
	s_fmamk_f32 s0, s26, 0x4f800000, s0
	v_xor_b32_e32 v3, s58, v3
	s_wait_alu 0xfffe
	s_delay_alu instid0(SALU_CYCLE_1) | instskip(NEXT) | instid1(TRANS32_DEP_1)
	v_s_rcp_f32 s0, s0
	s_mul_f32 s0, s0, 0x5f7ffffc
	s_wait_alu 0xfffe
	s_delay_alu instid0(SALU_CYCLE_2) | instskip(SKIP_1) | instid1(SALU_CYCLE_2)
	s_mul_f32 s26, s0, 0x2f800000
	s_wait_alu 0xfffe
	s_trunc_f32 s26, s26
	s_wait_alu 0xfffe
	s_delay_alu instid0(SALU_CYCLE_2) | instskip(SKIP_2) | instid1(SALU_CYCLE_1)
	s_fmamk_f32 s0, s26, 0xcf800000, s0
	s_cvt_u32_f32 s63, s26
	s_wait_alu 0xfffe
	s_cvt_u32_f32 s62, s0
	s_wait_alu 0xfffe
	s_delay_alu instid0(SALU_CYCLE_2)
	s_mul_u64 s[66:67], s[64:65], s[62:63]
	s_wait_alu 0xfffe
	s_mul_hi_u32 s73, s62, s67
	s_mul_i32 s72, s62, s67
	s_mul_hi_u32 s26, s62, s66
	s_mul_i32 s49, s63, s66
	s_wait_alu 0xfffe
	s_add_nc_u64 s[72:73], s[26:27], s[72:73]
	s_mul_hi_u32 s0, s63, s66
	s_mul_hi_u32 s59, s63, s67
	s_add_co_u32 s26, s72, s49
	s_wait_alu 0xfffe
	s_add_co_ci_u32 s26, s73, s0
	s_mul_i32 s66, s63, s67
	s_add_co_ci_u32 s67, s59, 0
	s_wait_alu 0xfffe
	s_add_nc_u64 s[66:67], s[26:27], s[66:67]
	s_wait_alu 0xfffe
	s_add_co_u32 s62, s62, s66
	s_cselect_b32 s0, -1, 0
	s_wait_alu 0xfffe
	s_cmp_lg_u32 s0, 0
	s_add_co_ci_u32 s63, s63, s67
	s_wait_alu 0xfffe
	s_mul_u64 s[64:65], s[64:65], s[62:63]
	s_wait_alu 0xfffe
	s_mul_hi_u32 s67, s62, s65
	s_mul_i32 s66, s62, s65
	s_mul_hi_u32 s26, s62, s64
	s_mul_i32 s49, s63, s64
	s_wait_alu 0xfffe
	s_add_nc_u64 s[66:67], s[26:27], s[66:67]
	s_mul_hi_u32 s0, s63, s64
	s_mul_hi_u32 s59, s63, s65
	s_wait_alu 0xfffe
	s_add_co_u32 s26, s66, s49
	s_add_co_ci_u32 s26, s67, s0
	s_mul_i32 s64, s63, s65
	s_add_co_ci_u32 s65, s59, 0
	s_wait_alu 0xfffe
	s_add_nc_u64 s[64:65], s[26:27], s[64:65]
	s_wait_alu 0xfffe
	s_add_co_u32 s0, s62, s64
	s_cselect_b32 s26, -1, 0
	s_wait_alu 0xfffe
	v_mul_hi_u32 v24, v22, s0
	s_cmp_lg_u32 s26, 0
	v_mad_co_u64_u32 v[14:15], null, v23, s0, 0
	s_add_co_ci_u32 s26, s63, s65
	s_wait_alu 0xfffe
	v_mad_co_u64_u32 v[12:13], null, v22, s26, 0
	v_mad_co_u64_u32 v[20:21], null, v23, s26, 0
	s_delay_alu instid0(VALU_DEP_2) | instskip(SKIP_1) | instid1(VALU_DEP_3)
	v_add_co_u32 v12, vcc_lo, v24, v12
	s_wait_alu 0xfffd
	v_add_co_ci_u32_e64 v13, null, 0, v13, vcc_lo
	s_delay_alu instid0(VALU_DEP_2) | instskip(SKIP_1) | instid1(VALU_DEP_2)
	v_add_co_u32 v12, vcc_lo, v12, v14
	s_wait_alu 0xfffd
	v_add_co_ci_u32_e32 v12, vcc_lo, v13, v15, vcc_lo
	s_wait_alu 0xfffd
	v_add_co_ci_u32_e32 v13, vcc_lo, 0, v21, vcc_lo
	s_delay_alu instid0(VALU_DEP_2) | instskip(SKIP_1) | instid1(VALU_DEP_2)
	v_add_co_u32 v14, vcc_lo, v12, v20
	s_wait_alu 0xfffd
	v_add_co_ci_u32_e64 v15, null, 0, v13, vcc_lo
	s_delay_alu instid0(VALU_DEP_2) | instskip(SKIP_1) | instid1(VALU_DEP_3)
	v_mul_lo_u32 v20, s61, v14
	v_mad_co_u64_u32 v[12:13], null, s60, v14, 0
	v_mul_lo_u32 v21, s60, v15
	s_delay_alu instid0(VALU_DEP_2) | instskip(NEXT) | instid1(VALU_DEP_2)
	v_sub_co_u32 v12, vcc_lo, v22, v12
	v_add3_u32 v13, v13, v21, v20
	v_add_co_u32 v21, s0, v14, 2
	s_wait_alu 0xf1ff
	v_add_co_ci_u32_e64 v22, null, 0, v15, s0
	s_delay_alu instid0(VALU_DEP_3) | instskip(SKIP_3) | instid1(VALU_DEP_3)
	v_sub_nc_u32_e32 v20, v23, v13
	v_sub_co_u32 v24, s0, v12, s60
	s_wait_alu 0xfffd
	v_sub_co_ci_u32_e64 v13, null, v23, v13, vcc_lo
	v_subrev_co_ci_u32_e64 v20, null, s61, v20, vcc_lo
	s_delay_alu instid0(VALU_DEP_3) | instskip(SKIP_1) | instid1(VALU_DEP_2)
	v_cmp_le_u32_e32 vcc_lo, s60, v24
	s_wait_alu 0xf1ff
	v_subrev_co_ci_u32_e64 v20, null, 0, v20, s0
	s_wait_alu 0xfffd
	v_cndmask_b32_e64 v23, 0, -1, vcc_lo
	s_delay_alu instid0(VALU_DEP_2)
	v_cmp_le_u32_e32 vcc_lo, s61, v20
	s_wait_alu 0xfffd
	v_cndmask_b32_e64 v24, 0, -1, vcc_lo
	v_cmp_le_u32_e32 vcc_lo, s60, v12
	s_wait_alu 0xfffd
	v_cndmask_b32_e64 v12, 0, -1, vcc_lo
	;; [unrolled: 3-line block ×3, first 2 shown]
	v_cmp_eq_u32_e32 vcc_lo, s61, v20
	s_wait_alu 0xfffd
	v_cndmask_b32_e32 v20, v24, v23, vcc_lo
	v_add_co_u32 v23, vcc_lo, v14, 1
	s_wait_alu 0xfffd
	v_add_co_ci_u32_e64 v24, null, 0, v15, vcc_lo
	v_cmp_eq_u32_e32 vcc_lo, s61, v13
	s_wait_alu 0xfffd
	v_cndmask_b32_e32 v12, v25, v12, vcc_lo
	v_cmp_ne_u32_e32 vcc_lo, 0, v20
	s_wait_alu 0xfffd
	v_cndmask_b32_e32 v13, v24, v22, vcc_lo
	s_delay_alu instid0(VALU_DEP_3) | instskip(SKIP_2) | instid1(VALU_DEP_2)
	v_cmp_ne_u32_e64 s0, 0, v12
	v_cndmask_b32_e32 v12, v23, v21, vcc_lo
	s_wait_alu 0xf1ff
	v_cndmask_b32_e64 v13, v15, v13, s0
	s_delay_alu instid0(VALU_DEP_2) | instskip(NEXT) | instid1(VALU_DEP_2)
	v_cndmask_b32_e64 v12, v14, v12, s0
	v_xor_b32_e32 v13, v13, v3
	s_delay_alu instid0(VALU_DEP_2) | instskip(NEXT) | instid1(VALU_DEP_1)
	v_xor_b32_e32 v12, v12, v3
	v_sub_co_u32 v12, vcc_lo, v12, v3
	s_wait_alu 0xfffd
	s_delay_alu instid0(VALU_DEP_3)
	v_sub_co_ci_u32_e64 v13, null, v13, v3, vcc_lo
.LBB59_23:                              ;   in Loop: Header=BB59_21 Depth=2
	s_wait_alu 0xfffe
	s_and_not1_saveexec_b32 s0, s1
	s_cbranch_execz .LBB59_25
; %bb.24:                               ;   in Loop: Header=BB59_21 Depth=2
	v_cvt_f32_u32_e32 v3, s56
	s_sub_co_i32 s1, 0, s56
	s_delay_alu instid0(VALU_DEP_1) | instskip(NEXT) | instid1(TRANS32_DEP_1)
	v_rcp_iflag_f32_e32 v3, v3
	v_mul_f32_e32 v3, 0x4f7ffffe, v3
	s_delay_alu instid0(VALU_DEP_1) | instskip(SKIP_1) | instid1(VALU_DEP_1)
	v_cvt_u32_f32_e32 v3, v3
	s_wait_alu 0xfffe
	v_mul_lo_u32 v12, s1, v3
	s_delay_alu instid0(VALU_DEP_1) | instskip(NEXT) | instid1(VALU_DEP_1)
	v_mul_hi_u32 v12, v3, v12
	v_add_nc_u32_e32 v3, v3, v12
	s_delay_alu instid0(VALU_DEP_1) | instskip(NEXT) | instid1(VALU_DEP_1)
	v_mul_hi_u32 v3, v10, v3
	v_mul_lo_u32 v12, v3, s56
	v_add_nc_u32_e32 v13, 1, v3
	s_delay_alu instid0(VALU_DEP_2) | instskip(NEXT) | instid1(VALU_DEP_1)
	v_sub_nc_u32_e32 v12, v10, v12
	v_subrev_nc_u32_e32 v14, s56, v12
	v_cmp_le_u32_e32 vcc_lo, s56, v12
	s_wait_alu 0xfffd
	s_delay_alu instid0(VALU_DEP_2) | instskip(NEXT) | instid1(VALU_DEP_1)
	v_dual_cndmask_b32 v12, v12, v14 :: v_dual_cndmask_b32 v3, v3, v13
	v_cmp_le_u32_e32 vcc_lo, s56, v12
	s_delay_alu instid0(VALU_DEP_2) | instskip(SKIP_1) | instid1(VALU_DEP_1)
	v_add_nc_u32_e32 v13, 1, v3
	s_wait_alu 0xfffd
	v_dual_cndmask_b32 v12, v3, v13 :: v_dual_mov_b32 v13, v2
.LBB59_25:                              ;   in Loop: Header=BB59_21 Depth=2
	s_wait_alu 0xfffe
	s_or_b32 exec_lo, exec_lo, s0
	s_clause 0x1
	s_load_b64 s[62:63], s[52:53], 0x0
	s_load_b64 s[60:61], s[52:53], 0xd0
	s_load_b64 s[58:59], s[50:51], 0x8
                                        ; implicit-def: $vgpr14_vgpr15
	s_mov_b32 s0, exec_lo
	s_wait_kmcnt 0x0
	v_or_b32_e32 v3, s63, v13
	s_delay_alu instid0(VALU_DEP_1)
	v_cmpx_ne_u64_e32 0, v[2:3]
	s_wait_alu 0xfffe
	s_xor_b32 s1, exec_lo, s0
	s_cbranch_execz .LBB59_27
; %bb.26:                               ;   in Loop: Header=BB59_21 Depth=2
	s_ashr_i32 s64, s63, 31
	v_ashrrev_i32_e32 v3, 31, v13
	s_wait_alu 0xfffe
	s_mov_b32 s65, s64
	s_wait_alu 0xfffe
	s_add_nc_u64 s[66:67], s[62:63], s[64:65]
	v_add_co_u32 v14, vcc_lo, v12, v3
	s_wait_alu 0xfffe
	s_xor_b64 s[66:67], s[66:67], s[64:65]
	s_wait_alu 0xfffd
	v_add_co_ci_u32_e64 v15, null, v13, v3, vcc_lo
	s_wait_alu 0xfffe
	s_cvt_f32_u32 s0, s66
	s_cvt_f32_u32 s26, s67
	s_sub_nc_u64 s[74:75], 0, s[66:67]
	v_xor_b32_e32 v24, v14, v3
	v_xor_b32_e32 v25, v15, v3
	s_wait_alu 0xfffe
	s_fmamk_f32 s0, s26, 0x4f800000, s0
	v_xor_b32_e32 v3, s64, v3
	s_wait_alu 0xfffe
	s_delay_alu instid0(SALU_CYCLE_1) | instskip(NEXT) | instid1(TRANS32_DEP_1)
	v_s_rcp_f32 s0, s0
	s_mul_f32 s0, s0, 0x5f7ffffc
	s_wait_alu 0xfffe
	s_delay_alu instid0(SALU_CYCLE_2) | instskip(SKIP_1) | instid1(SALU_CYCLE_2)
	s_mul_f32 s26, s0, 0x2f800000
	s_wait_alu 0xfffe
	s_trunc_f32 s26, s26
	s_wait_alu 0xfffe
	s_delay_alu instid0(SALU_CYCLE_2) | instskip(SKIP_2) | instid1(SALU_CYCLE_1)
	s_fmamk_f32 s0, s26, 0xcf800000, s0
	s_cvt_u32_f32 s73, s26
	s_wait_alu 0xfffe
	s_cvt_u32_f32 s72, s0
	s_delay_alu instid0(SALU_CYCLE_3) | instskip(NEXT) | instid1(SALU_CYCLE_1)
	s_mul_u64 s[76:77], s[74:75], s[72:73]
	s_mul_hi_u32 s79, s72, s77
	s_mul_i32 s78, s72, s77
	s_mul_hi_u32 s26, s72, s76
	s_mul_i32 s49, s73, s76
	s_wait_alu 0xfffe
	s_add_nc_u64 s[78:79], s[26:27], s[78:79]
	s_mul_hi_u32 s0, s73, s76
	s_mul_hi_u32 s65, s73, s77
	s_add_co_u32 s26, s78, s49
	s_wait_alu 0xfffe
	s_add_co_ci_u32 s26, s79, s0
	s_mul_i32 s76, s73, s77
	s_add_co_ci_u32 s77, s65, 0
	s_wait_alu 0xfffe
	s_add_nc_u64 s[76:77], s[26:27], s[76:77]
	s_delay_alu instid0(SALU_CYCLE_1) | instskip(SKIP_4) | instid1(SALU_CYCLE_1)
	s_add_co_u32 s72, s72, s76
	s_cselect_b32 s0, -1, 0
	s_wait_alu 0xfffe
	s_cmp_lg_u32 s0, 0
	s_add_co_ci_u32 s73, s73, s77
	s_mul_u64 s[74:75], s[74:75], s[72:73]
	s_delay_alu instid0(SALU_CYCLE_1)
	s_mul_hi_u32 s77, s72, s75
	s_mul_i32 s76, s72, s75
	s_mul_hi_u32 s26, s72, s74
	s_mul_i32 s49, s73, s74
	s_wait_alu 0xfffe
	s_add_nc_u64 s[76:77], s[26:27], s[76:77]
	s_mul_hi_u32 s0, s73, s74
	s_mul_hi_u32 s65, s73, s75
	s_add_co_u32 s26, s76, s49
	s_wait_alu 0xfffe
	s_add_co_ci_u32 s26, s77, s0
	s_mul_i32 s74, s73, s75
	s_add_co_ci_u32 s75, s65, 0
	s_wait_alu 0xfffe
	s_add_nc_u64 s[74:75], s[26:27], s[74:75]
	s_delay_alu instid0(SALU_CYCLE_1)
	s_add_co_u32 s0, s72, s74
	s_cselect_b32 s26, -1, 0
	s_wait_alu 0xfffe
	v_mul_hi_u32 v26, v24, s0
	s_cmp_lg_u32 s26, 0
	v_mad_co_u64_u32 v[20:21], null, v25, s0, 0
	s_add_co_ci_u32 s26, s73, s75
	s_wait_alu 0xfffe
	v_mad_co_u64_u32 v[14:15], null, v24, s26, 0
	v_mad_co_u64_u32 v[22:23], null, v25, s26, 0
	s_delay_alu instid0(VALU_DEP_2) | instskip(SKIP_1) | instid1(VALU_DEP_3)
	v_add_co_u32 v14, vcc_lo, v26, v14
	s_wait_alu 0xfffd
	v_add_co_ci_u32_e64 v15, null, 0, v15, vcc_lo
	s_delay_alu instid0(VALU_DEP_2) | instskip(SKIP_1) | instid1(VALU_DEP_2)
	v_add_co_u32 v14, vcc_lo, v14, v20
	s_wait_alu 0xfffd
	v_add_co_ci_u32_e32 v14, vcc_lo, v15, v21, vcc_lo
	s_wait_alu 0xfffd
	v_add_co_ci_u32_e32 v15, vcc_lo, 0, v23, vcc_lo
	s_delay_alu instid0(VALU_DEP_2) | instskip(SKIP_1) | instid1(VALU_DEP_2)
	v_add_co_u32 v20, vcc_lo, v14, v22
	s_wait_alu 0xfffd
	v_add_co_ci_u32_e64 v21, null, 0, v15, vcc_lo
	s_delay_alu instid0(VALU_DEP_2) | instskip(SKIP_1) | instid1(VALU_DEP_3)
	v_mul_lo_u32 v22, s67, v20
	v_mad_co_u64_u32 v[14:15], null, s66, v20, 0
	v_mul_lo_u32 v23, s66, v21
	s_delay_alu instid0(VALU_DEP_2) | instskip(NEXT) | instid1(VALU_DEP_2)
	v_sub_co_u32 v14, vcc_lo, v24, v14
	v_add3_u32 v15, v15, v23, v22
	v_add_co_u32 v23, s0, v20, 2
	s_wait_alu 0xf1ff
	v_add_co_ci_u32_e64 v24, null, 0, v21, s0
	s_delay_alu instid0(VALU_DEP_3) | instskip(SKIP_3) | instid1(VALU_DEP_3)
	v_sub_nc_u32_e32 v22, v25, v15
	v_sub_co_u32 v26, s0, v14, s66
	s_wait_alu 0xfffd
	v_sub_co_ci_u32_e64 v15, null, v25, v15, vcc_lo
	v_subrev_co_ci_u32_e64 v22, null, s67, v22, vcc_lo
	s_delay_alu instid0(VALU_DEP_3) | instskip(SKIP_1) | instid1(VALU_DEP_2)
	v_cmp_le_u32_e32 vcc_lo, s66, v26
	s_wait_alu 0xf1ff
	v_subrev_co_ci_u32_e64 v22, null, 0, v22, s0
	s_wait_alu 0xfffd
	v_cndmask_b32_e64 v25, 0, -1, vcc_lo
	s_delay_alu instid0(VALU_DEP_2)
	v_cmp_le_u32_e32 vcc_lo, s67, v22
	s_wait_alu 0xfffd
	v_cndmask_b32_e64 v26, 0, -1, vcc_lo
	v_cmp_le_u32_e32 vcc_lo, s66, v14
	s_wait_alu 0xfffd
	v_cndmask_b32_e64 v14, 0, -1, vcc_lo
	;; [unrolled: 3-line block ×3, first 2 shown]
	v_cmp_eq_u32_e32 vcc_lo, s67, v22
	s_wait_alu 0xfffd
	v_cndmask_b32_e32 v22, v26, v25, vcc_lo
	v_add_co_u32 v25, vcc_lo, v20, 1
	s_wait_alu 0xfffd
	v_add_co_ci_u32_e64 v26, null, 0, v21, vcc_lo
	v_cmp_eq_u32_e32 vcc_lo, s67, v15
	s_wait_alu 0xfffd
	v_cndmask_b32_e32 v14, v27, v14, vcc_lo
	v_cmp_ne_u32_e32 vcc_lo, 0, v22
	s_wait_alu 0xfffd
	v_cndmask_b32_e32 v15, v26, v24, vcc_lo
	s_delay_alu instid0(VALU_DEP_3) | instskip(SKIP_2) | instid1(VALU_DEP_2)
	v_cmp_ne_u32_e64 s0, 0, v14
	v_cndmask_b32_e32 v14, v25, v23, vcc_lo
	s_wait_alu 0xf1ff
	v_cndmask_b32_e64 v15, v21, v15, s0
	s_delay_alu instid0(VALU_DEP_2) | instskip(NEXT) | instid1(VALU_DEP_2)
	v_cndmask_b32_e64 v14, v20, v14, s0
	v_xor_b32_e32 v15, v15, v3
	s_delay_alu instid0(VALU_DEP_2) | instskip(NEXT) | instid1(VALU_DEP_1)
	v_xor_b32_e32 v14, v14, v3
	v_sub_co_u32 v14, vcc_lo, v14, v3
	s_wait_alu 0xfffd
	s_delay_alu instid0(VALU_DEP_3)
	v_sub_co_ci_u32_e64 v15, null, v15, v3, vcc_lo
.LBB59_27:                              ;   in Loop: Header=BB59_21 Depth=2
	s_wait_alu 0xfffe
	s_and_not1_saveexec_b32 s0, s1
	s_cbranch_execz .LBB59_20
; %bb.28:                               ;   in Loop: Header=BB59_21 Depth=2
	v_cvt_f32_u32_e32 v3, s62
	s_sub_co_i32 s1, 0, s62
	s_delay_alu instid0(VALU_DEP_1) | instskip(NEXT) | instid1(TRANS32_DEP_1)
	v_rcp_iflag_f32_e32 v3, v3
	v_mul_f32_e32 v3, 0x4f7ffffe, v3
	s_delay_alu instid0(VALU_DEP_1) | instskip(SKIP_1) | instid1(VALU_DEP_1)
	v_cvt_u32_f32_e32 v3, v3
	s_wait_alu 0xfffe
	v_mul_lo_u32 v14, s1, v3
	s_delay_alu instid0(VALU_DEP_1) | instskip(NEXT) | instid1(VALU_DEP_1)
	v_mul_hi_u32 v14, v3, v14
	v_add_nc_u32_e32 v3, v3, v14
	s_delay_alu instid0(VALU_DEP_1) | instskip(NEXT) | instid1(VALU_DEP_1)
	v_mul_hi_u32 v3, v12, v3
	v_mul_lo_u32 v14, v3, s62
	v_add_nc_u32_e32 v15, 1, v3
	s_delay_alu instid0(VALU_DEP_2) | instskip(NEXT) | instid1(VALU_DEP_1)
	v_sub_nc_u32_e32 v14, v12, v14
	v_subrev_nc_u32_e32 v20, s62, v14
	v_cmp_le_u32_e32 vcc_lo, s62, v14
	s_wait_alu 0xfffd
	s_delay_alu instid0(VALU_DEP_2) | instskip(NEXT) | instid1(VALU_DEP_1)
	v_dual_cndmask_b32 v14, v14, v20 :: v_dual_cndmask_b32 v3, v3, v15
	v_cmp_le_u32_e32 vcc_lo, s62, v14
	s_delay_alu instid0(VALU_DEP_2) | instskip(SKIP_1) | instid1(VALU_DEP_1)
	v_add_nc_u32_e32 v15, 1, v3
	s_wait_alu 0xfffd
	v_dual_cndmask_b32 v14, v3, v15 :: v_dual_mov_b32 v15, v2
	s_branch .LBB59_20
.LBB59_29:                              ;   in Loop: Header=BB59_3 Depth=1
	v_sub_co_u32 v10, vcc_lo, v4, v18
	s_wait_alu 0xfffd
	v_sub_co_ci_u32_e64 v11, null, v5, v19, vcc_lo
	s_delay_alu instid0(VALU_DEP_2) | instskip(SKIP_1) | instid1(VALU_DEP_2)
	v_add_co_u32 v12, vcc_lo, v10, 4
	s_wait_alu 0xfffd
	v_add_co_ci_u32_e64 v13, null, 0, v11, vcc_lo
	s_delay_alu instid0(VALU_DEP_1)
	v_cmp_le_i64_e32 vcc_lo, s[4:5], v[12:13]
	v_mov_b32_e32 v12, 0
	s_and_saveexec_b32 s0, vcc_lo
	s_cbranch_execz .LBB59_39
; %bb.30:                               ;   in Loop: Header=BB59_3 Depth=1
	v_dual_mov_b32 v3, 0 :: v_dual_mov_b32 v12, 0
	v_dual_mov_b32 v13, 0 :: v_dual_mov_b32 v14, 0
	s_mov_b32 s1, exec_lo
	v_cmpx_gt_i64_e64 s[10:11], v[4:5]
	s_cbranch_execz .LBB59_38
; %bb.31:                               ;   in Loop: Header=BB59_3 Depth=1
	v_add_co_u32 v8, vcc_lo, s2, v8
	s_wait_alu 0xfffd
	v_add_co_ci_u32_e64 v9, null, s3, v9, vcc_lo
	v_add_co_u32 v13, vcc_lo, v4, 1
	s_wait_alu 0xfffd
	v_add_co_ci_u32_e64 v14, null, 0, v5, vcc_lo
	global_load_u8 v3, v[8:9], off
	v_mov_b32_e32 v12, 0
	v_cmp_gt_i64_e32 vcc_lo, s[10:11], v[13:14]
	v_dual_mov_b32 v13, 0 :: v_dual_mov_b32 v14, 0
	s_and_saveexec_b32 s26, vcc_lo
	s_wait_alu 0xfffe
	s_xor_b32 s26, exec_lo, s26
	s_cbranch_execz .LBB59_37
; %bb.32:                               ;   in Loop: Header=BB59_3 Depth=1
	v_add_co_u32 v8, vcc_lo, v8, s14
	s_wait_alu 0xfffd
	v_add_co_ci_u32_e64 v9, null, s15, v9, vcc_lo
	v_add_co_u32 v14, vcc_lo, v4, 2
	s_wait_alu 0xfffd
	v_add_co_ci_u32_e64 v15, null, 0, v5, vcc_lo
	global_load_u8 v12, v[8:9], off
	v_mov_b32_e32 v13, 0
	v_cmp_gt_i64_e32 vcc_lo, s[10:11], v[14:15]
	v_mov_b32_e32 v14, 0
	s_and_saveexec_b32 s49, vcc_lo
	s_wait_alu 0xfffe
	s_xor_b32 s49, exec_lo, s49
	s_cbranch_execz .LBB59_36
; %bb.33:                               ;   in Loop: Header=BB59_3 Depth=1
	v_add_co_u32 v8, vcc_lo, v8, s14
	s_wait_alu 0xfffd
	v_add_co_ci_u32_e64 v9, null, s15, v9, vcc_lo
	v_add_co_u32 v14, vcc_lo, v4, 3
	s_wait_alu 0xfffd
	v_add_co_ci_u32_e64 v15, null, 0, v5, vcc_lo
	global_load_u8 v13, v[8:9], off
	v_cmp_gt_i64_e32 vcc_lo, s[10:11], v[14:15]
	v_mov_b32_e32 v14, 0
	s_and_saveexec_b32 s50, vcc_lo
	s_wait_alu 0xfffe
	s_xor_b32 s50, exec_lo, s50
	s_cbranch_execz .LBB59_35
; %bb.34:                               ;   in Loop: Header=BB59_3 Depth=1
	v_add_co_u32 v8, vcc_lo, v8, s14
	s_wait_alu 0xfffd
	v_add_co_ci_u32_e64 v9, null, s15, v9, vcc_lo
	global_load_u8 v14, v[8:9], off
.LBB59_35:                              ;   in Loop: Header=BB59_3 Depth=1
	s_wait_alu 0xfffe
	s_or_b32 exec_lo, exec_lo, s50
.LBB59_36:                              ;   in Loop: Header=BB59_3 Depth=1
	s_wait_alu 0xfffe
	s_or_b32 exec_lo, exec_lo, s49
.LBB59_37:                              ;   in Loop: Header=BB59_3 Depth=1
	s_wait_alu 0xfffe
	s_or_b32 exec_lo, exec_lo, s26
.LBB59_38:                              ;   in Loop: Header=BB59_3 Depth=1
	s_wait_alu 0xfffe
	s_or_b32 exec_lo, exec_lo, s1
	v_add_co_u32 v8, vcc_lo, v10, 1
	s_wait_alu 0xfffd
	v_add_co_ci_u32_e64 v9, null, 0, v11, vcc_lo
	v_add_co_u32 v18, vcc_lo, v10, 2
	s_wait_alu 0xfffd
	v_add_co_ci_u32_e64 v19, null, 0, v11, vcc_lo
	;; [unrolled: 3-line block ×3, first 2 shown]
	v_cmp_le_i64_e32 vcc_lo, s[30:31], v[8:9]
	s_wait_loadcnt 0x0
	s_wait_alu 0xfffd
	v_cndmask_b32_e32 v8, 0, v12, vcc_lo
	v_cmp_le_i64_e32 vcc_lo, s[28:29], v[10:11]
	s_wait_alu 0xfffd
	v_cndmask_b32_e32 v3, 0, v3, vcc_lo
	v_cmp_le_i64_e32 vcc_lo, s[36:37], v[20:21]
	v_lshlrev_b16 v8, 8, v8
	s_delay_alu instid0(VALU_DEP_3) | instskip(SKIP_3) | instid1(VALU_DEP_3)
	v_and_b32_e32 v3, 0xff, v3
	s_wait_alu 0xfffd
	v_cndmask_b32_e32 v9, 0, v14, vcc_lo
	v_cmp_le_i64_e32 vcc_lo, s[34:35], v[18:19]
	v_or_b32_e32 v3, v3, v8
	s_wait_alu 0xfffd
	v_cndmask_b32_e32 v10, 0, v13, vcc_lo
	v_lshlrev_b16 v9, 8, v9
	s_delay_alu instid0(VALU_DEP_3) | instskip(NEXT) | instid1(VALU_DEP_3)
	v_and_b32_e32 v3, 0xffff, v3
	v_and_b32_e32 v10, 0xff, v10
	s_delay_alu instid0(VALU_DEP_1) | instskip(NEXT) | instid1(VALU_DEP_1)
	v_or_b32_e32 v8, v10, v9
	v_lshlrev_b32_e32 v8, 16, v8
	s_delay_alu instid0(VALU_DEP_1)
	v_or_b32_e32 v12, v3, v8
.LBB59_39:                              ;   in Loop: Header=BB59_3 Depth=1
	s_wait_alu 0xfffe
	s_or_b32 exec_lo, exec_lo, s0
	s_delay_alu instid0(SALU_CYCLE_1)
	s_mov_b32 s0, exec_lo
	v_cmpx_gt_i64_e64 s[10:11], v[4:5]
	s_cbranch_execz .LBB59_2
; %bb.40:                               ;   in Loop: Header=BB59_3 Depth=1
	v_add_co_u32 v8, vcc_lo, v4, 1
	s_wait_alu 0xfffd
	v_add_co_ci_u32_e64 v9, null, 0, v5, vcc_lo
	v_add_co_u32 v6, vcc_lo, s24, v6
	s_wait_alu 0xfffd
	v_add_co_ci_u32_e64 v7, null, s25, v7, vcc_lo
	s_mov_b32 s1, exec_lo
	global_store_b8 v[6:7], v12, off
	v_cmpx_gt_i64_e64 s[10:11], v[8:9]
	s_wait_alu 0xfffe
	s_xor_b32 s1, exec_lo, s1
	s_cbranch_execz .LBB59_2
; %bb.41:                               ;   in Loop: Header=BB59_3 Depth=1
	v_add_co_u32 v8, vcc_lo, v4, 2
	s_wait_alu 0xfffd
	v_add_co_ci_u32_e64 v9, null, 0, v5, vcc_lo
	v_add_co_u32 v6, vcc_lo, v6, s18
	v_lshrrev_b32_e32 v3, 8, v12
	s_wait_alu 0xfffd
	v_add_co_ci_u32_e64 v7, null, s19, v7, vcc_lo
	s_mov_b32 s1, exec_lo
	global_store_b8 v[6:7], v3, off
	v_cmpx_gt_i64_e64 s[10:11], v[8:9]
	s_wait_alu 0xfffe
	s_xor_b32 s1, exec_lo, s1
	s_cbranch_execz .LBB59_2
; %bb.42:                               ;   in Loop: Header=BB59_3 Depth=1
	v_add_co_u32 v8, vcc_lo, v4, 3
	s_wait_alu 0xfffd
	v_add_co_ci_u32_e64 v9, null, 0, v5, vcc_lo
	v_add_co_u32 v3, vcc_lo, v6, s18
	s_wait_alu 0xfffd
	v_add_co_ci_u32_e64 v4, null, s19, v7, vcc_lo
	s_mov_b32 s1, exec_lo
	global_store_d16_hi_b8 v[3:4], v12, off
	v_cmpx_gt_i64_e64 s[10:11], v[8:9]
	s_wait_alu 0xfffe
	s_xor_b32 s1, exec_lo, s1
	s_cbranch_execz .LBB59_2
; %bb.43:                               ;   in Loop: Header=BB59_3 Depth=1
	v_add_co_u32 v3, vcc_lo, v3, s18
	v_lshrrev_b32_e32 v5, 24, v12
	s_wait_alu 0xfffd
	v_add_co_ci_u32_e64 v4, null, s19, v4, vcc_lo
	global_store_b8 v[3:4], v5, off
	s_branch .LBB59_2
.LBB59_44:
	s_endpgm
	.section	.rodata,"a",@progbits
	.p2align	6, 0x0
	.amdhsa_kernel _ZN2at6native16triu_tril_kernelIalLb1ELi4ELb0EEEvNS_4cuda6detail10TensorInfoIT_T0_EENS4_IKS5_S6_EEllS6_
		.amdhsa_group_segment_fixed_size 0
		.amdhsa_private_segment_fixed_size 0
		.amdhsa_kernarg_size 1112
		.amdhsa_user_sgpr_count 2
		.amdhsa_user_sgpr_dispatch_ptr 0
		.amdhsa_user_sgpr_queue_ptr 0
		.amdhsa_user_sgpr_kernarg_segment_ptr 1
		.amdhsa_user_sgpr_dispatch_id 0
		.amdhsa_user_sgpr_private_segment_size 0
		.amdhsa_wavefront_size32 1
		.amdhsa_uses_dynamic_stack 0
		.amdhsa_enable_private_segment 0
		.amdhsa_system_sgpr_workgroup_id_x 1
		.amdhsa_system_sgpr_workgroup_id_y 0
		.amdhsa_system_sgpr_workgroup_id_z 0
		.amdhsa_system_sgpr_workgroup_info 0
		.amdhsa_system_vgpr_workitem_id 0
		.amdhsa_next_free_vgpr 28
		.amdhsa_next_free_sgpr 80
		.amdhsa_reserve_vcc 1
		.amdhsa_float_round_mode_32 0
		.amdhsa_float_round_mode_16_64 0
		.amdhsa_float_denorm_mode_32 3
		.amdhsa_float_denorm_mode_16_64 3
		.amdhsa_fp16_overflow 0
		.amdhsa_workgroup_processor_mode 1
		.amdhsa_memory_ordered 1
		.amdhsa_forward_progress 1
		.amdhsa_inst_pref_size 55
		.amdhsa_round_robin_scheduling 0
		.amdhsa_exception_fp_ieee_invalid_op 0
		.amdhsa_exception_fp_denorm_src 0
		.amdhsa_exception_fp_ieee_div_zero 0
		.amdhsa_exception_fp_ieee_overflow 0
		.amdhsa_exception_fp_ieee_underflow 0
		.amdhsa_exception_fp_ieee_inexact 0
		.amdhsa_exception_int_div_zero 0
	.end_amdhsa_kernel
	.section	.text._ZN2at6native16triu_tril_kernelIalLb1ELi4ELb0EEEvNS_4cuda6detail10TensorInfoIT_T0_EENS4_IKS5_S6_EEllS6_,"axG",@progbits,_ZN2at6native16triu_tril_kernelIalLb1ELi4ELb0EEEvNS_4cuda6detail10TensorInfoIT_T0_EENS4_IKS5_S6_EEllS6_,comdat
.Lfunc_end59:
	.size	_ZN2at6native16triu_tril_kernelIalLb1ELi4ELb0EEEvNS_4cuda6detail10TensorInfoIT_T0_EENS4_IKS5_S6_EEllS6_, .Lfunc_end59-_ZN2at6native16triu_tril_kernelIalLb1ELi4ELb0EEEvNS_4cuda6detail10TensorInfoIT_T0_EENS4_IKS5_S6_EEllS6_
                                        ; -- End function
	.set _ZN2at6native16triu_tril_kernelIalLb1ELi4ELb0EEEvNS_4cuda6detail10TensorInfoIT_T0_EENS4_IKS5_S6_EEllS6_.num_vgpr, 28
	.set _ZN2at6native16triu_tril_kernelIalLb1ELi4ELb0EEEvNS_4cuda6detail10TensorInfoIT_T0_EENS4_IKS5_S6_EEllS6_.num_agpr, 0
	.set _ZN2at6native16triu_tril_kernelIalLb1ELi4ELb0EEEvNS_4cuda6detail10TensorInfoIT_T0_EENS4_IKS5_S6_EEllS6_.numbered_sgpr, 80
	.set _ZN2at6native16triu_tril_kernelIalLb1ELi4ELb0EEEvNS_4cuda6detail10TensorInfoIT_T0_EENS4_IKS5_S6_EEllS6_.num_named_barrier, 0
	.set _ZN2at6native16triu_tril_kernelIalLb1ELi4ELb0EEEvNS_4cuda6detail10TensorInfoIT_T0_EENS4_IKS5_S6_EEllS6_.private_seg_size, 0
	.set _ZN2at6native16triu_tril_kernelIalLb1ELi4ELb0EEEvNS_4cuda6detail10TensorInfoIT_T0_EENS4_IKS5_S6_EEllS6_.uses_vcc, 1
	.set _ZN2at6native16triu_tril_kernelIalLb1ELi4ELb0EEEvNS_4cuda6detail10TensorInfoIT_T0_EENS4_IKS5_S6_EEllS6_.uses_flat_scratch, 0
	.set _ZN2at6native16triu_tril_kernelIalLb1ELi4ELb0EEEvNS_4cuda6detail10TensorInfoIT_T0_EENS4_IKS5_S6_EEllS6_.has_dyn_sized_stack, 0
	.set _ZN2at6native16triu_tril_kernelIalLb1ELi4ELb0EEEvNS_4cuda6detail10TensorInfoIT_T0_EENS4_IKS5_S6_EEllS6_.has_recursion, 0
	.set _ZN2at6native16triu_tril_kernelIalLb1ELi4ELb0EEEvNS_4cuda6detail10TensorInfoIT_T0_EENS4_IKS5_S6_EEllS6_.has_indirect_call, 0
	.section	.AMDGPU.csdata,"",@progbits
; Kernel info:
; codeLenInByte = 6980
; TotalNumSgprs: 82
; NumVgprs: 28
; ScratchSize: 0
; MemoryBound: 0
; FloatMode: 240
; IeeeMode: 1
; LDSByteSize: 0 bytes/workgroup (compile time only)
; SGPRBlocks: 0
; VGPRBlocks: 3
; NumSGPRsForWavesPerEU: 82
; NumVGPRsForWavesPerEU: 28
; Occupancy: 16
; WaveLimiterHint : 0
; COMPUTE_PGM_RSRC2:SCRATCH_EN: 0
; COMPUTE_PGM_RSRC2:USER_SGPR: 2
; COMPUTE_PGM_RSRC2:TRAP_HANDLER: 0
; COMPUTE_PGM_RSRC2:TGID_X_EN: 1
; COMPUTE_PGM_RSRC2:TGID_Y_EN: 0
; COMPUTE_PGM_RSRC2:TGID_Z_EN: 0
; COMPUTE_PGM_RSRC2:TIDIG_COMP_CNT: 0
	.section	.text._ZN2at6native16triu_tril_kernelIiiLb1ELi2ELb1EEEvNS_4cuda6detail10TensorInfoIT_T0_EENS4_IKS5_S6_EEllS6_,"axG",@progbits,_ZN2at6native16triu_tril_kernelIiiLb1ELi2ELb1EEEvNS_4cuda6detail10TensorInfoIT_T0_EENS4_IKS5_S6_EEllS6_,comdat
	.protected	_ZN2at6native16triu_tril_kernelIiiLb1ELi2ELb1EEEvNS_4cuda6detail10TensorInfoIT_T0_EENS4_IKS5_S6_EEllS6_ ; -- Begin function _ZN2at6native16triu_tril_kernelIiiLb1ELi2ELb1EEEvNS_4cuda6detail10TensorInfoIT_T0_EENS4_IKS5_S6_EEllS6_
	.globl	_ZN2at6native16triu_tril_kernelIiiLb1ELi2ELb1EEEvNS_4cuda6detail10TensorInfoIT_T0_EENS4_IKS5_S6_EEllS6_
	.p2align	8
	.type	_ZN2at6native16triu_tril_kernelIiiLb1ELi2ELb1EEEvNS_4cuda6detail10TensorInfoIT_T0_EENS4_IKS5_S6_EEllS6_,@function
_ZN2at6native16triu_tril_kernelIiiLb1ELi2ELb1EEEvNS_4cuda6detail10TensorInfoIT_T0_EENS4_IKS5_S6_EEllS6_: ; @_ZN2at6native16triu_tril_kernelIiiLb1ELi2ELb1EEEvNS_4cuda6detail10TensorInfoIT_T0_EENS4_IKS5_S6_EEllS6_
; %bb.0:
	s_clause 0x1
	s_load_b32 s2, s[0:1], 0x1d4
	s_load_b128 s[4:7], s[0:1], 0x1b0
	v_mov_b32_e32 v2, 0
	s_mov_b32 s3, exec_lo
	s_delay_alu instid0(VALU_DEP_1)
	v_mov_b32_e32 v1, v2
	s_wait_kmcnt 0x0
	s_and_b32 s2, s2, 0xffff
	s_delay_alu instid0(VALU_DEP_1) | instid1(SALU_CYCLE_1)
	v_mad_co_u64_u32 v[0:1], null, s2, ttmp9, v[0:1]
	s_delay_alu instid0(VALU_DEP_1) | instskip(NEXT) | instid1(VALU_DEP_1)
	v_lshlrev_b64_e32 v[0:1], 1, v[0:1]
	v_cmpx_gt_i64_e64 s[6:7], v[0:1]
	s_cbranch_execz .LBB60_60
; %bb.1:
	s_clause 0x1
	s_load_b32 s20, s[0:1], 0x1a8
	s_load_b32 s8, s[0:1], 0x1c0
	s_add_nc_u64 s[12:13], s[0:1], 0x1c8
	s_add_nc_u64 s[10:11], s[0:1], 0xd8
	s_load_b32 s3, s[12:13], 0x0
	s_mov_b32 s19, 0
	s_mov_b32 s57, 0
	s_wait_kmcnt 0x0
	s_ashr_i32 s21, s20, 31
	v_cvt_f32_u32_e32 v3, s8
	s_lshl_b64 s[22:23], s[20:21], 2
	s_add_co_i32 s9, s20, 6
	s_add_nc_u64 s[12:13], s[10:11], s[22:23]
	s_mul_i32 s3, s3, s2
	s_clause 0x1
	s_load_b32 s14, s[12:13], 0x0
	s_load_b64 s[16:17], s[0:1], 0x0
	v_rcp_iflag_f32_e32 v3, v3
	s_and_b32 s18, s20, 7
	s_add_co_i32 s33, s20, -3
	s_and_b32 s52, s9, 7
	s_lshl_b32 s53, s3, 1
	s_ashr_i32 s9, s8, 31
	v_cmp_gt_i64_e64 s56, s[20:21], 2
	s_add_nc_u64 s[20:21], s[0:1], s[22:23]
	s_wait_kmcnt 0x0
	v_cvt_f32_u32_e32 v4, s14
	s_ashr_i32 s15, s14, 31
	s_cmp_lg_u32 s18, 2
	s_cselect_b32 s54, -1, 0
	s_delay_alu instid0(VALU_DEP_1)
	v_rcp_iflag_f32_e32 v4, v4
	v_mul_f32_e32 v3, 0x4f7ffffe, v3
	s_cmp_gt_u32 s33, 6
	s_cselect_b32 s55, -1, 0
	s_sub_co_i32 s2, 0, s8
	s_wait_alu 0xfffe
	s_ashr_i32 s22, s9, 31
	s_ashr_i32 s24, s15, 31
	s_delay_alu instid0(TRANS32_DEP_1) | instskip(SKIP_1) | instid1(VALU_DEP_2)
	v_mul_f32_e32 v4, 0x4f7ffffe, v4
	v_cvt_u32_f32_e32 v3, v3
	v_cvt_u32_f32_e32 v24, v4
	s_delay_alu instid0(VALU_DEP_2) | instskip(NEXT) | instid1(VALU_DEP_1)
	v_mul_lo_u32 v5, s2, v3
	v_mul_hi_u32 v5, v3, v5
	s_delay_alu instid0(VALU_DEP_1)
	v_add_nc_u32_e32 v25, v3, v5
	s_branch .LBB60_3
.LBB60_2:                               ;   in Loop: Header=BB60_3 Depth=1
	s_wait_alu 0xfffe
	s_or_b32 exec_lo, exec_lo, s23
	v_add_co_u32 v0, vcc_lo, v0, s53
	s_wait_alu 0xfffd
	v_add_co_ci_u32_e64 v1, null, 0, v1, vcc_lo
	s_delay_alu instid0(VALU_DEP_1) | instskip(SKIP_1) | instid1(SALU_CYCLE_1)
	v_cmp_le_i64_e32 vcc_lo, s[6:7], v[0:1]
	s_or_b32 s57, vcc_lo, s57
	s_and_not1_b32 exec_lo, exec_lo, s57
	s_cbranch_execz .LBB60_60
.LBB60_3:                               ; =>This Loop Header: Depth=1
                                        ;     Child Loop BB60_16 Depth 2
                                        ;     Child Loop BB60_22 Depth 2
	v_or_b32_e32 v3, s9, v1
                                        ; implicit-def: $vgpr4_vgpr5
	s_mov_b32 s2, exec_lo
	s_delay_alu instid0(VALU_DEP_1)
	v_cmpx_ne_u64_e32 0, v[2:3]
	s_wait_alu 0xfffe
	s_xor_b32 s3, exec_lo, s2
	s_cbranch_execz .LBB60_5
; %bb.4:                                ;   in Loop: Header=BB60_3 Depth=1
	s_mov_b32 s23, s22
	v_ashrrev_i32_e32 v9, 31, v1
	s_wait_alu 0xfffe
	s_add_nc_u64 s[26:27], s[8:9], s[22:23]
	s_wait_alu 0xfffe
	s_xor_b64 s[26:27], s[26:27], s[22:23]
	v_add_co_u32 v3, vcc_lo, v0, v9
	s_wait_alu 0xfffe
	s_cvt_f32_u32 s2, s26
	s_cvt_f32_u32 s18, s27
	s_sub_nc_u64 s[30:31], 0, s[26:27]
	s_wait_alu 0xfffd
	v_add_co_ci_u32_e64 v4, null, v1, v9, vcc_lo
	s_wait_alu 0xfffe
	s_fmamk_f32 s2, s18, 0x4f800000, s2
	v_xor_b32_e32 v10, v3, v9
	s_delay_alu instid0(VALU_DEP_2) | instskip(SKIP_2) | instid1(TRANS32_DEP_1)
	v_xor_b32_e32 v11, v4, v9
	s_wait_alu 0xfffe
	v_s_rcp_f32 s2, s2
	s_mul_f32 s2, s2, 0x5f7ffffc
	s_wait_alu 0xfffe
	s_delay_alu instid0(SALU_CYCLE_2) | instskip(SKIP_1) | instid1(SALU_CYCLE_2)
	s_mul_f32 s18, s2, 0x2f800000
	s_wait_alu 0xfffe
	s_trunc_f32 s18, s18
	s_wait_alu 0xfffe
	s_delay_alu instid0(SALU_CYCLE_2) | instskip(SKIP_2) | instid1(SALU_CYCLE_1)
	s_fmamk_f32 s2, s18, 0xcf800000, s2
	s_cvt_u32_f32 s29, s18
	s_wait_alu 0xfffe
	s_cvt_u32_f32 s28, s2
	s_wait_alu 0xfffe
	s_delay_alu instid0(SALU_CYCLE_2)
	s_mul_u64 s[34:35], s[30:31], s[28:29]
	s_wait_alu 0xfffe
	s_mul_hi_u32 s37, s28, s35
	s_mul_i32 s36, s28, s35
	s_mul_hi_u32 s18, s28, s34
	s_mul_i32 s23, s29, s34
	s_wait_alu 0xfffe
	s_add_nc_u64 s[36:37], s[18:19], s[36:37]
	s_mul_hi_u32 s2, s29, s34
	s_mul_hi_u32 s25, s29, s35
	s_wait_alu 0xfffe
	s_add_co_u32 s18, s36, s23
	s_add_co_ci_u32 s18, s37, s2
	s_mul_i32 s34, s29, s35
	s_add_co_ci_u32 s35, s25, 0
	s_wait_alu 0xfffe
	s_add_nc_u64 s[34:35], s[18:19], s[34:35]
	s_wait_alu 0xfffe
	s_add_co_u32 s28, s28, s34
	s_cselect_b32 s2, -1, 0
	s_wait_alu 0xfffe
	s_cmp_lg_u32 s2, 0
	s_add_co_ci_u32 s29, s29, s35
	s_wait_alu 0xfffe
	s_mul_u64 s[30:31], s[30:31], s[28:29]
	s_wait_alu 0xfffe
	s_mul_hi_u32 s35, s28, s31
	s_mul_i32 s34, s28, s31
	s_mul_hi_u32 s18, s28, s30
	s_mul_i32 s23, s29, s30
	s_wait_alu 0xfffe
	s_add_nc_u64 s[34:35], s[18:19], s[34:35]
	s_mul_hi_u32 s2, s29, s30
	s_mul_hi_u32 s25, s29, s31
	s_wait_alu 0xfffe
	s_add_co_u32 s18, s34, s23
	s_add_co_ci_u32 s18, s35, s2
	s_mul_i32 s30, s29, s31
	s_add_co_ci_u32 s31, s25, 0
	s_wait_alu 0xfffe
	s_add_nc_u64 s[30:31], s[18:19], s[30:31]
	s_wait_alu 0xfffe
	s_add_co_u32 s2, s28, s30
	s_cselect_b32 s18, -1, 0
	s_wait_alu 0xfffe
	v_mul_hi_u32 v12, v10, s2
	s_cmp_lg_u32 s18, 0
	v_mad_co_u64_u32 v[5:6], null, v11, s2, 0
	s_add_co_ci_u32 s18, s29, s31
	s_wait_alu 0xfffe
	v_mad_co_u64_u32 v[3:4], null, v10, s18, 0
	v_mad_co_u64_u32 v[7:8], null, v11, s18, 0
	s_delay_alu instid0(VALU_DEP_2) | instskip(SKIP_1) | instid1(VALU_DEP_3)
	v_add_co_u32 v3, vcc_lo, v12, v3
	s_wait_alu 0xfffd
	v_add_co_ci_u32_e64 v4, null, 0, v4, vcc_lo
	s_delay_alu instid0(VALU_DEP_2) | instskip(SKIP_1) | instid1(VALU_DEP_2)
	v_add_co_u32 v3, vcc_lo, v3, v5
	s_wait_alu 0xfffd
	v_add_co_ci_u32_e32 v3, vcc_lo, v4, v6, vcc_lo
	s_wait_alu 0xfffd
	v_add_co_ci_u32_e32 v4, vcc_lo, 0, v8, vcc_lo
	s_delay_alu instid0(VALU_DEP_2) | instskip(SKIP_1) | instid1(VALU_DEP_2)
	v_add_co_u32 v5, vcc_lo, v3, v7
	s_wait_alu 0xfffd
	v_add_co_ci_u32_e64 v6, null, 0, v4, vcc_lo
	s_delay_alu instid0(VALU_DEP_2) | instskip(SKIP_1) | instid1(VALU_DEP_3)
	v_mul_lo_u32 v7, s27, v5
	v_mad_co_u64_u32 v[3:4], null, s26, v5, 0
	v_mul_lo_u32 v8, s26, v6
	s_delay_alu instid0(VALU_DEP_2) | instskip(NEXT) | instid1(VALU_DEP_2)
	v_sub_co_u32 v3, vcc_lo, v10, v3
	v_add3_u32 v4, v4, v8, v7
	v_add_co_u32 v8, s2, v5, 2
	s_wait_alu 0xf1ff
	v_add_co_ci_u32_e64 v10, null, 0, v6, s2
	s_delay_alu instid0(VALU_DEP_3) | instskip(SKIP_3) | instid1(VALU_DEP_3)
	v_sub_nc_u32_e32 v7, v11, v4
	v_sub_co_u32 v12, s2, v3, s26
	s_wait_alu 0xfffd
	v_sub_co_ci_u32_e64 v4, null, v11, v4, vcc_lo
	v_subrev_co_ci_u32_e64 v7, null, s27, v7, vcc_lo
	s_delay_alu instid0(VALU_DEP_3) | instskip(SKIP_1) | instid1(VALU_DEP_2)
	v_cmp_le_u32_e32 vcc_lo, s26, v12
	s_wait_alu 0xf1ff
	v_subrev_co_ci_u32_e64 v7, null, 0, v7, s2
	s_wait_alu 0xfffd
	v_cndmask_b32_e64 v11, 0, -1, vcc_lo
	s_delay_alu instid0(VALU_DEP_2)
	v_cmp_le_u32_e32 vcc_lo, s27, v7
	s_wait_alu 0xfffd
	v_cndmask_b32_e64 v12, 0, -1, vcc_lo
	v_cmp_le_u32_e32 vcc_lo, s26, v3
	s_wait_alu 0xfffd
	v_cndmask_b32_e64 v3, 0, -1, vcc_lo
	;; [unrolled: 3-line block ×3, first 2 shown]
	v_cmp_eq_u32_e32 vcc_lo, s27, v7
	s_wait_alu 0xfffd
	v_cndmask_b32_e32 v7, v12, v11, vcc_lo
	v_add_co_u32 v11, vcc_lo, v5, 1
	s_wait_alu 0xfffd
	v_add_co_ci_u32_e64 v12, null, 0, v6, vcc_lo
	v_cmp_eq_u32_e32 vcc_lo, s27, v4
	s_wait_alu 0xfffd
	v_cndmask_b32_e32 v3, v13, v3, vcc_lo
	v_cmp_ne_u32_e32 vcc_lo, 0, v7
	v_xor_b32_e32 v7, s22, v9
	s_wait_alu 0xfffd
	v_cndmask_b32_e32 v4, v12, v10, vcc_lo
	v_cmp_ne_u32_e64 s2, 0, v3
	v_cndmask_b32_e32 v3, v11, v8, vcc_lo
	s_wait_alu 0xf1ff
	s_delay_alu instid0(VALU_DEP_2) | instskip(NEXT) | instid1(VALU_DEP_2)
	v_cndmask_b32_e64 v4, v6, v4, s2
	v_cndmask_b32_e64 v3, v5, v3, s2
	s_delay_alu instid0(VALU_DEP_2) | instskip(NEXT) | instid1(VALU_DEP_2)
	v_xor_b32_e32 v5, v4, v7
	v_xor_b32_e32 v3, v3, v7
	s_delay_alu instid0(VALU_DEP_1) | instskip(SKIP_1) | instid1(VALU_DEP_3)
	v_sub_co_u32 v4, vcc_lo, v3, v7
	s_wait_alu 0xfffd
	v_sub_co_ci_u32_e64 v5, null, v5, v7, vcc_lo
.LBB60_5:                               ;   in Loop: Header=BB60_3 Depth=1
	s_wait_alu 0xfffe
	s_and_not1_saveexec_b32 s2, s3
	s_cbranch_execz .LBB60_7
; %bb.6:                                ;   in Loop: Header=BB60_3 Depth=1
	v_mul_hi_u32 v3, v0, v25
	s_delay_alu instid0(VALU_DEP_1) | instskip(NEXT) | instid1(VALU_DEP_1)
	v_mul_lo_u32 v4, v3, s8
	v_sub_nc_u32_e32 v4, v0, v4
	s_delay_alu instid0(VALU_DEP_1) | instskip(SKIP_2) | instid1(VALU_DEP_2)
	v_subrev_nc_u32_e32 v6, s8, v4
	v_cmp_le_u32_e32 vcc_lo, s8, v4
	s_wait_alu 0xfffd
	v_dual_cndmask_b32 v4, v4, v6 :: v_dual_add_nc_u32 v5, 1, v3
	s_delay_alu instid0(VALU_DEP_1) | instskip(NEXT) | instid1(VALU_DEP_2)
	v_cndmask_b32_e32 v3, v3, v5, vcc_lo
	v_cmp_le_u32_e32 vcc_lo, s8, v4
	s_delay_alu instid0(VALU_DEP_2) | instskip(SKIP_1) | instid1(VALU_DEP_1)
	v_add_nc_u32_e32 v5, 1, v3
	s_wait_alu 0xfffd
	v_dual_cndmask_b32 v4, v3, v5 :: v_dual_mov_b32 v5, v2
.LBB60_7:                               ;   in Loop: Header=BB60_3 Depth=1
	s_wait_alu 0xfffe
	s_or_b32 exec_lo, exec_lo, s2
	s_delay_alu instid0(VALU_DEP_1) | instskip(SKIP_1) | instid1(VALU_DEP_1)
	v_or_b32_e32 v3, s15, v5
                                        ; implicit-def: $vgpr6_vgpr7
	s_mov_b32 s2, exec_lo
	v_cmpx_ne_u64_e32 0, v[2:3]
	s_wait_alu 0xfffe
	s_xor_b32 s3, exec_lo, s2
	s_cbranch_execz .LBB60_9
; %bb.8:                                ;   in Loop: Header=BB60_3 Depth=1
	s_mov_b32 s25, s24
	v_ashrrev_i32_e32 v3, 31, v5
	s_wait_alu 0xfffe
	s_add_nc_u64 s[26:27], s[14:15], s[24:25]
	s_wait_alu 0xfffe
	s_xor_b64 s[26:27], s[26:27], s[24:25]
	v_add_co_u32 v6, vcc_lo, v4, v3
	s_wait_alu 0xfffe
	s_cvt_f32_u32 s2, s26
	s_cvt_f32_u32 s18, s27
	s_sub_nc_u64 s[30:31], 0, s[26:27]
	s_wait_alu 0xfffd
	v_add_co_ci_u32_e64 v5, null, v5, v3, vcc_lo
	s_wait_alu 0xfffe
	s_fmamk_f32 s2, s18, 0x4f800000, s2
	v_xor_b32_e32 v11, v6, v3
	s_delay_alu instid0(VALU_DEP_2) | instskip(SKIP_3) | instid1(TRANS32_DEP_1)
	v_xor_b32_e32 v12, v5, v3
	s_wait_alu 0xfffe
	v_s_rcp_f32 s2, s2
	v_xor_b32_e32 v3, s24, v3
	s_mul_f32 s2, s2, 0x5f7ffffc
	s_wait_alu 0xfffe
	s_delay_alu instid0(SALU_CYCLE_2) | instskip(SKIP_1) | instid1(SALU_CYCLE_2)
	s_mul_f32 s18, s2, 0x2f800000
	s_wait_alu 0xfffe
	s_trunc_f32 s18, s18
	s_wait_alu 0xfffe
	s_delay_alu instid0(SALU_CYCLE_2) | instskip(SKIP_2) | instid1(SALU_CYCLE_1)
	s_fmamk_f32 s2, s18, 0xcf800000, s2
	s_cvt_u32_f32 s29, s18
	s_wait_alu 0xfffe
	s_cvt_u32_f32 s28, s2
	s_wait_alu 0xfffe
	s_delay_alu instid0(SALU_CYCLE_2)
	s_mul_u64 s[34:35], s[30:31], s[28:29]
	s_wait_alu 0xfffe
	s_mul_hi_u32 s37, s28, s35
	s_mul_i32 s36, s28, s35
	s_mul_hi_u32 s18, s28, s34
	s_mul_i32 s23, s29, s34
	s_wait_alu 0xfffe
	s_add_nc_u64 s[36:37], s[18:19], s[36:37]
	s_mul_hi_u32 s2, s29, s34
	s_mul_hi_u32 s25, s29, s35
	s_wait_alu 0xfffe
	s_add_co_u32 s18, s36, s23
	s_add_co_ci_u32 s18, s37, s2
	s_mul_i32 s34, s29, s35
	s_add_co_ci_u32 s35, s25, 0
	s_wait_alu 0xfffe
	s_add_nc_u64 s[34:35], s[18:19], s[34:35]
	s_wait_alu 0xfffe
	s_add_co_u32 s28, s28, s34
	s_cselect_b32 s2, -1, 0
	s_wait_alu 0xfffe
	s_cmp_lg_u32 s2, 0
	s_add_co_ci_u32 s29, s29, s35
	s_wait_alu 0xfffe
	s_mul_u64 s[30:31], s[30:31], s[28:29]
	s_wait_alu 0xfffe
	s_mul_hi_u32 s35, s28, s31
	s_mul_i32 s34, s28, s31
	s_mul_hi_u32 s18, s28, s30
	s_mul_i32 s23, s29, s30
	s_wait_alu 0xfffe
	s_add_nc_u64 s[34:35], s[18:19], s[34:35]
	s_mul_hi_u32 s2, s29, s30
	s_mul_hi_u32 s25, s29, s31
	s_wait_alu 0xfffe
	s_add_co_u32 s18, s34, s23
	s_add_co_ci_u32 s18, s35, s2
	s_mul_i32 s30, s29, s31
	s_add_co_ci_u32 s31, s25, 0
	s_wait_alu 0xfffe
	s_add_nc_u64 s[30:31], s[18:19], s[30:31]
	s_wait_alu 0xfffe
	s_add_co_u32 s2, s28, s30
	s_cselect_b32 s18, -1, 0
	s_wait_alu 0xfffe
	v_mul_hi_u32 v13, v11, s2
	s_cmp_lg_u32 s18, 0
	v_mad_co_u64_u32 v[7:8], null, v12, s2, 0
	s_add_co_ci_u32 s18, s29, s31
	s_wait_alu 0xfffe
	v_mad_co_u64_u32 v[5:6], null, v11, s18, 0
	v_mad_co_u64_u32 v[9:10], null, v12, s18, 0
	s_delay_alu instid0(VALU_DEP_2) | instskip(SKIP_1) | instid1(VALU_DEP_3)
	v_add_co_u32 v5, vcc_lo, v13, v5
	s_wait_alu 0xfffd
	v_add_co_ci_u32_e64 v6, null, 0, v6, vcc_lo
	s_delay_alu instid0(VALU_DEP_2) | instskip(SKIP_1) | instid1(VALU_DEP_2)
	v_add_co_u32 v5, vcc_lo, v5, v7
	s_wait_alu 0xfffd
	v_add_co_ci_u32_e32 v5, vcc_lo, v6, v8, vcc_lo
	s_wait_alu 0xfffd
	v_add_co_ci_u32_e32 v6, vcc_lo, 0, v10, vcc_lo
	s_delay_alu instid0(VALU_DEP_2) | instskip(SKIP_1) | instid1(VALU_DEP_2)
	v_add_co_u32 v7, vcc_lo, v5, v9
	s_wait_alu 0xfffd
	v_add_co_ci_u32_e64 v8, null, 0, v6, vcc_lo
	s_delay_alu instid0(VALU_DEP_2) | instskip(SKIP_1) | instid1(VALU_DEP_3)
	v_mul_lo_u32 v9, s27, v7
	v_mad_co_u64_u32 v[5:6], null, s26, v7, 0
	v_mul_lo_u32 v10, s26, v8
	s_delay_alu instid0(VALU_DEP_2) | instskip(NEXT) | instid1(VALU_DEP_2)
	v_sub_co_u32 v5, vcc_lo, v11, v5
	v_add3_u32 v6, v6, v10, v9
	v_add_co_u32 v10, s2, v7, 2
	s_wait_alu 0xf1ff
	v_add_co_ci_u32_e64 v11, null, 0, v8, s2
	s_delay_alu instid0(VALU_DEP_3) | instskip(SKIP_3) | instid1(VALU_DEP_3)
	v_sub_nc_u32_e32 v9, v12, v6
	v_sub_co_u32 v13, s2, v5, s26
	s_wait_alu 0xfffd
	v_sub_co_ci_u32_e64 v6, null, v12, v6, vcc_lo
	v_subrev_co_ci_u32_e64 v9, null, s27, v9, vcc_lo
	s_delay_alu instid0(VALU_DEP_3) | instskip(SKIP_1) | instid1(VALU_DEP_2)
	v_cmp_le_u32_e32 vcc_lo, s26, v13
	s_wait_alu 0xf1ff
	v_subrev_co_ci_u32_e64 v9, null, 0, v9, s2
	s_wait_alu 0xfffd
	v_cndmask_b32_e64 v12, 0, -1, vcc_lo
	s_delay_alu instid0(VALU_DEP_2)
	v_cmp_le_u32_e32 vcc_lo, s27, v9
	s_wait_alu 0xfffd
	v_cndmask_b32_e64 v13, 0, -1, vcc_lo
	v_cmp_le_u32_e32 vcc_lo, s26, v5
	s_wait_alu 0xfffd
	v_cndmask_b32_e64 v5, 0, -1, vcc_lo
	;; [unrolled: 3-line block ×3, first 2 shown]
	v_cmp_eq_u32_e32 vcc_lo, s27, v9
	s_wait_alu 0xfffd
	v_cndmask_b32_e32 v9, v13, v12, vcc_lo
	v_add_co_u32 v12, vcc_lo, v7, 1
	s_wait_alu 0xfffd
	v_add_co_ci_u32_e64 v13, null, 0, v8, vcc_lo
	v_cmp_eq_u32_e32 vcc_lo, s27, v6
	s_wait_alu 0xfffd
	v_cndmask_b32_e32 v5, v14, v5, vcc_lo
	v_cmp_ne_u32_e32 vcc_lo, 0, v9
	s_wait_alu 0xfffd
	v_cndmask_b32_e32 v6, v13, v11, vcc_lo
	s_delay_alu instid0(VALU_DEP_3) | instskip(SKIP_2) | instid1(VALU_DEP_2)
	v_cmp_ne_u32_e64 s2, 0, v5
	v_cndmask_b32_e32 v5, v12, v10, vcc_lo
	s_wait_alu 0xf1ff
	v_cndmask_b32_e64 v6, v8, v6, s2
	s_delay_alu instid0(VALU_DEP_2) | instskip(NEXT) | instid1(VALU_DEP_2)
	v_cndmask_b32_e64 v5, v7, v5, s2
	v_xor_b32_e32 v7, v6, v3
	s_delay_alu instid0(VALU_DEP_2) | instskip(NEXT) | instid1(VALU_DEP_1)
	v_xor_b32_e32 v5, v5, v3
	v_sub_co_u32 v6, vcc_lo, v5, v3
	s_wait_alu 0xfffd
	s_delay_alu instid0(VALU_DEP_3)
	v_sub_co_ci_u32_e64 v7, null, v7, v3, vcc_lo
.LBB60_9:                               ;   in Loop: Header=BB60_3 Depth=1
	s_wait_alu 0xfffe
	s_and_not1_saveexec_b32 s2, s3
	s_cbranch_execz .LBB60_11
; %bb.10:                               ;   in Loop: Header=BB60_3 Depth=1
	s_sub_co_i32 s3, 0, s14
	s_wait_alu 0xfffe
	v_mul_lo_u32 v3, s3, v24
	s_delay_alu instid0(VALU_DEP_1) | instskip(NEXT) | instid1(VALU_DEP_1)
	v_mul_hi_u32 v3, v24, v3
	v_add_nc_u32_e32 v3, v24, v3
	s_delay_alu instid0(VALU_DEP_1) | instskip(NEXT) | instid1(VALU_DEP_1)
	v_mul_hi_u32 v3, v4, v3
	v_mul_lo_u32 v5, v3, s14
	v_add_nc_u32_e32 v6, 1, v3
	s_delay_alu instid0(VALU_DEP_2) | instskip(NEXT) | instid1(VALU_DEP_1)
	v_sub_nc_u32_e32 v5, v4, v5
	v_subrev_nc_u32_e32 v7, s14, v5
	v_cmp_le_u32_e32 vcc_lo, s14, v5
	s_wait_alu 0xfffd
	s_delay_alu instid0(VALU_DEP_2) | instskip(SKIP_2) | instid1(VALU_DEP_3)
	v_cndmask_b32_e32 v5, v5, v7, vcc_lo
	v_mov_b32_e32 v7, v2
	v_cndmask_b32_e32 v3, v3, v6, vcc_lo
	v_cmp_le_u32_e32 vcc_lo, s14, v5
	s_delay_alu instid0(VALU_DEP_2) | instskip(SKIP_1) | instid1(VALU_DEP_1)
	v_add_nc_u32_e32 v6, 1, v3
	s_wait_alu 0xfffd
	v_cndmask_b32_e32 v6, v3, v6, vcc_lo
.LBB60_11:                              ;   in Loop: Header=BB60_3 Depth=1
	s_wait_alu 0xfffe
	s_or_b32 exec_lo, exec_lo, s2
	v_mad_co_u64_u32 v[8:9], null, v4, s8, 0
	s_delay_alu instid0(VALU_DEP_2) | instskip(SKIP_3) | instid1(VALU_DEP_1)
	v_mad_co_u64_u32 v[9:10], null, v6, s14, 0
	s_mov_b32 s23, exec_lo
	v_sub_co_u32 v27, null, v0, v8
	v_sub_co_u32 v26, null, v4, v9
	v_sub_nc_u32_e32 v3, v27, v26
	s_delay_alu instid0(VALU_DEP_1) | instskip(NEXT) | instid1(VALU_DEP_1)
	v_ashrrev_i32_e32 v4, 31, v3
	v_cmpx_gt_i64_e64 s[4:5], v[3:4]
	s_cbranch_execz .LBB60_2
; %bb.12:                               ;   in Loop: Header=BB60_3 Depth=1
	s_load_b64 s[2:3], s[20:21], 0x64
	s_and_not1_b32 vcc_lo, exec_lo, s56
	s_wait_kmcnt 0x0
	v_mul_lo_u32 v3, s3, v27
	s_delay_alu instid0(VALU_DEP_1)
	v_mad_co_u64_u32 v[4:5], null, s2, v26, v[3:4]
	s_wait_alu 0xfffe
	s_cbranch_vccnz .LBB60_56
; %bb.13:                               ;   in Loop: Header=BB60_3 Depth=1
	s_mov_b32 s25, s52
	s_and_not1_b32 vcc_lo, exec_lo, s54
	s_mov_b32 s18, s33
	s_mov_b32 s2, s33
	s_wait_alu 0xfffe
	s_cbranch_vccz .LBB60_16
; %bb.14:                               ;   in Loop: Header=BB60_3 Depth=1
	s_and_not1_b32 vcc_lo, exec_lo, s55
	s_wait_alu 0xfffe
	s_cbranch_vccz .LBB60_21
	s_branch .LBB60_56
.LBB60_15:                              ;   in Loop: Header=BB60_16 Depth=2
	s_wait_alu 0xfffe
	s_or_b32 exec_lo, exec_lo, s2
	s_add_nc_u64 s[26:27], s[0:1], s[26:27]
	v_mul_lo_u32 v3, v8, s28
	s_load_b32 s2, s[26:27], 0x6c
	s_add_co_i32 s25, s25, -1
	s_add_co_i32 s18, s18, -1
	s_wait_alu 0xfffe
	s_cmp_lg_u32 s25, 0
	s_delay_alu instid0(VALU_DEP_1) | instskip(SKIP_2) | instid1(VALU_DEP_2)
	v_sub_nc_u32_e32 v3, v6, v3
	v_dual_mov_b32 v6, v8 :: v_dual_mov_b32 v7, v9
	s_wait_kmcnt 0x0
	v_mad_co_u64_u32 v[4:5], null, s2, v3, v[4:5]
	s_cbranch_scc0 .LBB60_20
.LBB60_16:                              ;   Parent Loop BB60_3 Depth=1
                                        ; =>  This Inner Loop Header: Depth=2
	s_lshl_b64 s[26:27], s[18:19], 2
                                        ; implicit-def: $vgpr8_vgpr9
	s_mov_b32 s2, exec_lo
	s_wait_alu 0xfffe
	s_add_nc_u64 s[28:29], s[10:11], s[26:27]
	s_load_b32 s28, s[28:29], 0x8
	s_wait_kmcnt 0x0
	s_ashr_i32 s29, s28, 31
	s_wait_alu 0xfffe
	v_or_b32_e32 v3, s29, v7
	s_delay_alu instid0(VALU_DEP_1)
	v_cmpx_ne_u64_e32 0, v[2:3]
	s_xor_b32 s36, exec_lo, s2
	s_cbranch_execz .LBB60_18
; %bb.17:                               ;   in Loop: Header=BB60_16 Depth=2
	s_ashr_i32 s30, s29, 31
	s_mov_b32 s43, s19
	s_wait_alu 0xfffe
	s_mov_b32 s31, s30
	s_mov_b32 s47, s19
	s_wait_alu 0xfffe
	s_add_nc_u64 s[34:35], s[28:29], s[30:31]
	v_ashrrev_i32_e32 v3, 31, v7
	s_wait_alu 0xfffe
	s_xor_b64 s[34:35], s[34:35], s[30:31]
	s_wait_alu 0xfffe
	s_cvt_f32_u32 s2, s34
	s_cvt_f32_u32 s29, s35
	s_sub_nc_u64 s[40:41], 0, s[34:35]
	v_add_co_u32 v5, vcc_lo, v6, v3
	s_wait_alu 0xfffe
	s_fmamk_f32 s2, s29, 0x4f800000, s2
	s_wait_alu 0xfffd
	v_add_co_ci_u32_e64 v7, null, v7, v3, vcc_lo
	v_xor_b32_e32 v5, v5, v3
	s_wait_alu 0xfffe
	v_s_rcp_f32 s2, s2
	s_delay_alu instid0(VALU_DEP_2) | instskip(SKIP_1) | instid1(TRANS32_DEP_1)
	v_xor_b32_e32 v13, v7, v3
	v_xor_b32_e32 v3, s30, v3
	s_mul_f32 s2, s2, 0x5f7ffffc
	s_wait_alu 0xfffe
	s_delay_alu instid0(SALU_CYCLE_2) | instskip(SKIP_1) | instid1(SALU_CYCLE_2)
	s_mul_f32 s29, s2, 0x2f800000
	s_wait_alu 0xfffe
	s_trunc_f32 s29, s29
	s_wait_alu 0xfffe
	s_delay_alu instid0(SALU_CYCLE_2) | instskip(SKIP_2) | instid1(SALU_CYCLE_1)
	s_fmamk_f32 s2, s29, 0xcf800000, s2
	s_cvt_u32_f32 s39, s29
	s_wait_alu 0xfffe
	s_cvt_u32_f32 s38, s2
	s_wait_alu 0xfffe
	s_delay_alu instid0(SALU_CYCLE_2)
	s_mul_u64 s[44:45], s[40:41], s[38:39]
	s_wait_alu 0xfffe
	s_mul_hi_u32 s49, s38, s45
	s_mul_i32 s48, s38, s45
	s_mul_hi_u32 s42, s38, s44
	s_mul_i32 s29, s39, s44
	s_wait_alu 0xfffe
	s_add_nc_u64 s[42:43], s[42:43], s[48:49]
	s_mul_hi_u32 s2, s39, s44
	s_mul_hi_u32 s31, s39, s45
	s_wait_alu 0xfffe
	s_add_co_u32 s29, s42, s29
	s_add_co_ci_u32 s46, s43, s2
	s_mul_i32 s44, s39, s45
	s_add_co_ci_u32 s45, s31, 0
	s_wait_alu 0xfffe
	s_add_nc_u64 s[42:43], s[46:47], s[44:45]
	s_mov_b32 s45, s19
	s_wait_alu 0xfffe
	s_add_co_u32 s38, s38, s42
	s_cselect_b32 s2, -1, 0
	s_wait_alu 0xfffe
	s_cmp_lg_u32 s2, 0
	s_add_co_ci_u32 s39, s39, s43
	s_mov_b32 s43, s19
	s_wait_alu 0xfffe
	s_mul_u64 s[40:41], s[40:41], s[38:39]
	s_wait_alu 0xfffe
	s_mul_hi_u32 s47, s38, s41
	s_mul_i32 s46, s38, s41
	s_mul_hi_u32 s44, s38, s40
	s_mul_i32 s29, s39, s40
	s_wait_alu 0xfffe
	s_add_nc_u64 s[44:45], s[44:45], s[46:47]
	s_mul_hi_u32 s2, s39, s40
	s_mul_hi_u32 s31, s39, s41
	s_wait_alu 0xfffe
	s_add_co_u32 s29, s44, s29
	s_add_co_ci_u32 s42, s45, s2
	s_mul_i32 s40, s39, s41
	s_add_co_ci_u32 s41, s31, 0
	s_wait_alu 0xfffe
	s_add_nc_u64 s[40:41], s[42:43], s[40:41]
	s_wait_alu 0xfffe
	s_add_co_u32 s2, s38, s40
	s_cselect_b32 s29, -1, 0
	s_wait_alu 0xfffe
	v_mul_hi_u32 v14, v5, s2
	s_cmp_lg_u32 s29, 0
	v_mad_co_u64_u32 v[9:10], null, v13, s2, 0
	s_add_co_ci_u32 s29, s39, s41
	s_wait_alu 0xfffe
	v_mad_co_u64_u32 v[7:8], null, v5, s29, 0
	v_mad_co_u64_u32 v[11:12], null, v13, s29, 0
	s_delay_alu instid0(VALU_DEP_2) | instskip(SKIP_1) | instid1(VALU_DEP_3)
	v_add_co_u32 v7, vcc_lo, v14, v7
	s_wait_alu 0xfffd
	v_add_co_ci_u32_e64 v8, null, 0, v8, vcc_lo
	s_delay_alu instid0(VALU_DEP_2) | instskip(SKIP_1) | instid1(VALU_DEP_2)
	v_add_co_u32 v7, vcc_lo, v7, v9
	s_wait_alu 0xfffd
	v_add_co_ci_u32_e32 v7, vcc_lo, v8, v10, vcc_lo
	s_wait_alu 0xfffd
	v_add_co_ci_u32_e32 v8, vcc_lo, 0, v12, vcc_lo
	s_delay_alu instid0(VALU_DEP_2) | instskip(SKIP_1) | instid1(VALU_DEP_2)
	v_add_co_u32 v9, vcc_lo, v7, v11
	s_wait_alu 0xfffd
	v_add_co_ci_u32_e64 v10, null, 0, v8, vcc_lo
	s_delay_alu instid0(VALU_DEP_2) | instskip(SKIP_1) | instid1(VALU_DEP_3)
	v_mul_lo_u32 v11, s35, v9
	v_mad_co_u64_u32 v[7:8], null, s34, v9, 0
	v_mul_lo_u32 v12, s34, v10
	s_delay_alu instid0(VALU_DEP_2) | instskip(NEXT) | instid1(VALU_DEP_2)
	v_sub_co_u32 v5, vcc_lo, v5, v7
	v_add3_u32 v8, v8, v12, v11
	s_delay_alu instid0(VALU_DEP_1) | instskip(SKIP_2) | instid1(VALU_DEP_2)
	v_sub_nc_u32_e32 v11, v13, v8
	s_wait_alu 0xfffd
	v_sub_co_ci_u32_e64 v8, null, v13, v8, vcc_lo
	v_subrev_co_ci_u32_e64 v7, null, s35, v11, vcc_lo
	v_add_co_u32 v11, s2, v9, 2
	s_wait_alu 0xf1ff
	v_add_co_ci_u32_e64 v12, null, 0, v10, s2
	v_sub_co_u32 v14, s2, v5, s34
	s_wait_alu 0xf1ff
	v_subrev_co_ci_u32_e64 v7, null, 0, v7, s2
	s_delay_alu instid0(VALU_DEP_2) | instskip(SKIP_2) | instid1(VALU_DEP_3)
	v_cmp_le_u32_e32 vcc_lo, s34, v14
	s_wait_alu 0xfffd
	v_cndmask_b32_e64 v13, 0, -1, vcc_lo
	v_cmp_le_u32_e32 vcc_lo, s35, v7
	s_wait_alu 0xfffd
	v_cndmask_b32_e64 v14, 0, -1, vcc_lo
	v_cmp_le_u32_e32 vcc_lo, s34, v5
	s_wait_alu 0xfffd
	v_cndmask_b32_e64 v5, 0, -1, vcc_lo
	v_cmp_le_u32_e32 vcc_lo, s35, v8
	s_wait_alu 0xfffd
	v_cndmask_b32_e64 v15, 0, -1, vcc_lo
	v_cmp_eq_u32_e32 vcc_lo, s35, v7
	s_wait_alu 0xfffd
	v_cndmask_b32_e32 v7, v14, v13, vcc_lo
	v_add_co_u32 v13, vcc_lo, v9, 1
	s_wait_alu 0xfffd
	v_add_co_ci_u32_e64 v14, null, 0, v10, vcc_lo
	v_cmp_eq_u32_e32 vcc_lo, s35, v8
	s_wait_alu 0xfffd
	v_cndmask_b32_e32 v5, v15, v5, vcc_lo
	v_cmp_ne_u32_e32 vcc_lo, 0, v7
	s_delay_alu instid0(VALU_DEP_2) | instskip(SKIP_4) | instid1(VALU_DEP_2)
	v_cmp_ne_u32_e64 s2, 0, v5
	s_wait_alu 0xfffd
	v_cndmask_b32_e32 v5, v13, v11, vcc_lo
	v_cndmask_b32_e32 v7, v14, v12, vcc_lo
	s_wait_alu 0xf1ff
	v_cndmask_b32_e64 v5, v9, v5, s2
	s_delay_alu instid0(VALU_DEP_2) | instskip(NEXT) | instid1(VALU_DEP_2)
	v_cndmask_b32_e64 v7, v10, v7, s2
	v_xor_b32_e32 v5, v5, v3
	s_delay_alu instid0(VALU_DEP_2) | instskip(NEXT) | instid1(VALU_DEP_2)
	v_xor_b32_e32 v7, v7, v3
	v_sub_co_u32 v8, vcc_lo, v5, v3
	s_wait_alu 0xfffd
	s_delay_alu instid0(VALU_DEP_2)
	v_sub_co_ci_u32_e64 v9, null, v7, v3, vcc_lo
.LBB60_18:                              ;   in Loop: Header=BB60_16 Depth=2
	s_wait_alu 0xfffe
	s_and_not1_saveexec_b32 s2, s36
	s_cbranch_execz .LBB60_15
; %bb.19:                               ;   in Loop: Header=BB60_16 Depth=2
	v_cvt_f32_u32_e32 v3, s28
	s_sub_co_i32 s29, 0, s28
	v_mov_b32_e32 v9, v2
	s_delay_alu instid0(VALU_DEP_2) | instskip(NEXT) | instid1(TRANS32_DEP_1)
	v_rcp_iflag_f32_e32 v3, v3
	v_mul_f32_e32 v3, 0x4f7ffffe, v3
	s_delay_alu instid0(VALU_DEP_1) | instskip(SKIP_1) | instid1(VALU_DEP_1)
	v_cvt_u32_f32_e32 v3, v3
	s_wait_alu 0xfffe
	v_mul_lo_u32 v5, s29, v3
	s_delay_alu instid0(VALU_DEP_1) | instskip(NEXT) | instid1(VALU_DEP_1)
	v_mul_hi_u32 v5, v3, v5
	v_add_nc_u32_e32 v3, v3, v5
	s_delay_alu instid0(VALU_DEP_1) | instskip(NEXT) | instid1(VALU_DEP_1)
	v_mul_hi_u32 v3, v6, v3
	v_mul_lo_u32 v5, v3, s28
	v_add_nc_u32_e32 v7, 1, v3
	s_delay_alu instid0(VALU_DEP_2) | instskip(NEXT) | instid1(VALU_DEP_1)
	v_sub_nc_u32_e32 v5, v6, v5
	v_cmp_le_u32_e32 vcc_lo, s28, v5
	v_subrev_nc_u32_e32 v8, s28, v5
	s_wait_alu 0xfffd
	v_cndmask_b32_e32 v3, v3, v7, vcc_lo
	s_delay_alu instid0(VALU_DEP_1) | instskip(NEXT) | instid1(VALU_DEP_3)
	v_add_nc_u32_e32 v7, 1, v3
	v_cndmask_b32_e32 v5, v5, v8, vcc_lo
	s_delay_alu instid0(VALU_DEP_1) | instskip(SKIP_1) | instid1(VALU_DEP_3)
	v_cmp_le_u32_e32 vcc_lo, s28, v5
	s_wait_alu 0xfffd
	v_cndmask_b32_e32 v8, v3, v7, vcc_lo
	s_branch .LBB60_15
.LBB60_20:                              ;   in Loop: Header=BB60_3 Depth=1
	s_mov_b32 s2, s18
	s_and_not1_b32 vcc_lo, exec_lo, s55
	s_wait_alu 0xfffe
	s_cbranch_vccnz .LBB60_56
.LBB60_21:                              ;   in Loop: Header=BB60_3 Depth=1
	s_add_co_i32 s26, s2, -7
.LBB60_22:                              ;   Parent Loop BB60_3 Depth=1
                                        ; =>  This Inner Loop Header: Depth=2
	s_wait_alu 0xfffe
	s_add_co_i32 s18, s26, 7
                                        ; implicit-def: $vgpr8_vgpr9
	s_mov_b32 s2, exec_lo
	s_wait_alu 0xfffe
	s_lshl_b64 s[34:35], s[18:19], 2
	s_wait_alu 0xfffe
	s_add_nc_u64 s[28:29], s[10:11], s[34:35]
	s_load_b32 s28, s[28:29], 0x8
	s_wait_kmcnt 0x0
	s_ashr_i32 s29, s28, 31
	s_wait_alu 0xfffe
	v_or_b32_e32 v3, s29, v7
	s_delay_alu instid0(VALU_DEP_1)
	v_cmpx_ne_u64_e32 0, v[2:3]
	s_xor_b32 s25, exec_lo, s2
	s_cbranch_execz .LBB60_24
; %bb.23:                               ;   in Loop: Header=BB60_22 Depth=2
	s_ashr_i32 s30, s29, 31
	v_ashrrev_i32_e32 v3, 31, v7
	s_wait_alu 0xfffe
	s_mov_b32 s31, s30
	s_wait_alu 0xfffe
	s_add_nc_u64 s[36:37], s[28:29], s[30:31]
	v_add_co_u32 v5, vcc_lo, v6, v3
	s_wait_alu 0xfffe
	s_xor_b64 s[36:37], s[36:37], s[30:31]
	s_wait_alu 0xfffd
	v_add_co_ci_u32_e64 v7, null, v7, v3, vcc_lo
	s_wait_alu 0xfffe
	s_cvt_f32_u32 s2, s36
	s_cvt_f32_u32 s18, s37
	s_sub_nc_u64 s[40:41], 0, s[36:37]
	v_xor_b32_e32 v5, v5, v3
	v_xor_b32_e32 v13, v7, v3
	s_wait_alu 0xfffe
	s_fmamk_f32 s2, s18, 0x4f800000, s2
	v_xor_b32_e32 v3, s30, v3
	s_wait_alu 0xfffe
	s_delay_alu instid0(SALU_CYCLE_1) | instskip(NEXT) | instid1(TRANS32_DEP_1)
	v_s_rcp_f32 s2, s2
	s_mul_f32 s2, s2, 0x5f7ffffc
	s_wait_alu 0xfffe
	s_delay_alu instid0(SALU_CYCLE_2) | instskip(SKIP_1) | instid1(SALU_CYCLE_2)
	s_mul_f32 s18, s2, 0x2f800000
	s_wait_alu 0xfffe
	s_trunc_f32 s18, s18
	s_wait_alu 0xfffe
	s_delay_alu instid0(SALU_CYCLE_2) | instskip(SKIP_2) | instid1(SALU_CYCLE_1)
	s_fmamk_f32 s2, s18, 0xcf800000, s2
	s_cvt_u32_f32 s39, s18
	s_wait_alu 0xfffe
	s_cvt_u32_f32 s38, s2
	s_wait_alu 0xfffe
	s_delay_alu instid0(SALU_CYCLE_2)
	s_mul_u64 s[42:43], s[40:41], s[38:39]
	s_wait_alu 0xfffe
	s_mul_hi_u32 s45, s38, s43
	s_mul_i32 s44, s38, s43
	s_mul_hi_u32 s18, s38, s42
	s_mul_i32 s27, s39, s42
	s_wait_alu 0xfffe
	s_add_nc_u64 s[44:45], s[18:19], s[44:45]
	s_mul_hi_u32 s2, s39, s42
	s_mul_hi_u32 s29, s39, s43
	s_wait_alu 0xfffe
	s_add_co_u32 s18, s44, s27
	s_add_co_ci_u32 s18, s45, s2
	s_mul_i32 s42, s39, s43
	s_add_co_ci_u32 s43, s29, 0
	s_wait_alu 0xfffe
	s_add_nc_u64 s[42:43], s[18:19], s[42:43]
	s_wait_alu 0xfffe
	s_add_co_u32 s38, s38, s42
	s_cselect_b32 s2, -1, 0
	s_wait_alu 0xfffe
	s_cmp_lg_u32 s2, 0
	s_add_co_ci_u32 s39, s39, s43
	s_wait_alu 0xfffe
	s_mul_u64 s[40:41], s[40:41], s[38:39]
	s_wait_alu 0xfffe
	s_mul_hi_u32 s43, s38, s41
	s_mul_i32 s42, s38, s41
	s_mul_hi_u32 s18, s38, s40
	s_mul_i32 s27, s39, s40
	s_wait_alu 0xfffe
	s_add_nc_u64 s[42:43], s[18:19], s[42:43]
	s_mul_hi_u32 s2, s39, s40
	s_mul_hi_u32 s29, s39, s41
	s_wait_alu 0xfffe
	s_add_co_u32 s18, s42, s27
	s_add_co_ci_u32 s18, s43, s2
	s_mul_i32 s40, s39, s41
	s_add_co_ci_u32 s41, s29, 0
	s_wait_alu 0xfffe
	s_add_nc_u64 s[40:41], s[18:19], s[40:41]
	s_wait_alu 0xfffe
	s_add_co_u32 s2, s38, s40
	s_cselect_b32 s18, -1, 0
	s_wait_alu 0xfffe
	v_mul_hi_u32 v14, v5, s2
	s_cmp_lg_u32 s18, 0
	v_mad_co_u64_u32 v[9:10], null, v13, s2, 0
	s_add_co_ci_u32 s18, s39, s41
	s_wait_alu 0xfffe
	v_mad_co_u64_u32 v[7:8], null, v5, s18, 0
	v_mad_co_u64_u32 v[11:12], null, v13, s18, 0
	s_delay_alu instid0(VALU_DEP_2) | instskip(SKIP_1) | instid1(VALU_DEP_3)
	v_add_co_u32 v7, vcc_lo, v14, v7
	s_wait_alu 0xfffd
	v_add_co_ci_u32_e64 v8, null, 0, v8, vcc_lo
	s_delay_alu instid0(VALU_DEP_2) | instskip(SKIP_1) | instid1(VALU_DEP_2)
	v_add_co_u32 v7, vcc_lo, v7, v9
	s_wait_alu 0xfffd
	v_add_co_ci_u32_e32 v7, vcc_lo, v8, v10, vcc_lo
	s_wait_alu 0xfffd
	v_add_co_ci_u32_e32 v8, vcc_lo, 0, v12, vcc_lo
	s_delay_alu instid0(VALU_DEP_2) | instskip(SKIP_1) | instid1(VALU_DEP_2)
	v_add_co_u32 v9, vcc_lo, v7, v11
	s_wait_alu 0xfffd
	v_add_co_ci_u32_e64 v10, null, 0, v8, vcc_lo
	s_delay_alu instid0(VALU_DEP_2) | instskip(SKIP_1) | instid1(VALU_DEP_3)
	v_mul_lo_u32 v11, s37, v9
	v_mad_co_u64_u32 v[7:8], null, s36, v9, 0
	v_mul_lo_u32 v12, s36, v10
	s_delay_alu instid0(VALU_DEP_2) | instskip(NEXT) | instid1(VALU_DEP_2)
	v_sub_co_u32 v5, vcc_lo, v5, v7
	v_add3_u32 v8, v8, v12, v11
	s_delay_alu instid0(VALU_DEP_1) | instskip(SKIP_2) | instid1(VALU_DEP_2)
	v_sub_nc_u32_e32 v11, v13, v8
	s_wait_alu 0xfffd
	v_sub_co_ci_u32_e64 v8, null, v13, v8, vcc_lo
	v_subrev_co_ci_u32_e64 v7, null, s37, v11, vcc_lo
	v_add_co_u32 v11, s2, v9, 2
	s_wait_alu 0xf1ff
	v_add_co_ci_u32_e64 v12, null, 0, v10, s2
	v_sub_co_u32 v14, s2, v5, s36
	s_wait_alu 0xf1ff
	v_subrev_co_ci_u32_e64 v7, null, 0, v7, s2
	s_delay_alu instid0(VALU_DEP_2) | instskip(SKIP_2) | instid1(VALU_DEP_3)
	v_cmp_le_u32_e32 vcc_lo, s36, v14
	s_wait_alu 0xfffd
	v_cndmask_b32_e64 v13, 0, -1, vcc_lo
	v_cmp_le_u32_e32 vcc_lo, s37, v7
	s_wait_alu 0xfffd
	v_cndmask_b32_e64 v14, 0, -1, vcc_lo
	v_cmp_le_u32_e32 vcc_lo, s36, v5
	s_wait_alu 0xfffd
	v_cndmask_b32_e64 v5, 0, -1, vcc_lo
	v_cmp_le_u32_e32 vcc_lo, s37, v8
	s_wait_alu 0xfffd
	v_cndmask_b32_e64 v15, 0, -1, vcc_lo
	v_cmp_eq_u32_e32 vcc_lo, s37, v7
	s_wait_alu 0xfffd
	v_cndmask_b32_e32 v7, v14, v13, vcc_lo
	v_add_co_u32 v13, vcc_lo, v9, 1
	s_wait_alu 0xfffd
	v_add_co_ci_u32_e64 v14, null, 0, v10, vcc_lo
	v_cmp_eq_u32_e32 vcc_lo, s37, v8
	s_wait_alu 0xfffd
	v_cndmask_b32_e32 v5, v15, v5, vcc_lo
	v_cmp_ne_u32_e32 vcc_lo, 0, v7
	s_delay_alu instid0(VALU_DEP_2) | instskip(SKIP_4) | instid1(VALU_DEP_2)
	v_cmp_ne_u32_e64 s2, 0, v5
	s_wait_alu 0xfffd
	v_cndmask_b32_e32 v5, v13, v11, vcc_lo
	v_cndmask_b32_e32 v7, v14, v12, vcc_lo
	s_wait_alu 0xf1ff
	v_cndmask_b32_e64 v5, v9, v5, s2
	s_delay_alu instid0(VALU_DEP_2) | instskip(NEXT) | instid1(VALU_DEP_2)
	v_cndmask_b32_e64 v7, v10, v7, s2
	v_xor_b32_e32 v5, v5, v3
	s_delay_alu instid0(VALU_DEP_2) | instskip(NEXT) | instid1(VALU_DEP_2)
	v_xor_b32_e32 v7, v7, v3
	v_sub_co_u32 v8, vcc_lo, v5, v3
	s_wait_alu 0xfffd
	s_delay_alu instid0(VALU_DEP_2)
	v_sub_co_ci_u32_e64 v9, null, v7, v3, vcc_lo
.LBB60_24:                              ;   in Loop: Header=BB60_22 Depth=2
	s_wait_alu 0xfffe
	s_and_not1_saveexec_b32 s2, s25
	s_cbranch_execz .LBB60_26
; %bb.25:                               ;   in Loop: Header=BB60_22 Depth=2
	v_cvt_f32_u32_e32 v3, s28
	s_sub_co_i32 s18, 0, s28
	v_mov_b32_e32 v9, v2
	s_delay_alu instid0(VALU_DEP_2) | instskip(NEXT) | instid1(TRANS32_DEP_1)
	v_rcp_iflag_f32_e32 v3, v3
	v_mul_f32_e32 v3, 0x4f7ffffe, v3
	s_delay_alu instid0(VALU_DEP_1) | instskip(SKIP_1) | instid1(VALU_DEP_1)
	v_cvt_u32_f32_e32 v3, v3
	s_wait_alu 0xfffe
	v_mul_lo_u32 v5, s18, v3
	s_delay_alu instid0(VALU_DEP_1) | instskip(NEXT) | instid1(VALU_DEP_1)
	v_mul_hi_u32 v5, v3, v5
	v_add_nc_u32_e32 v3, v3, v5
	s_delay_alu instid0(VALU_DEP_1) | instskip(NEXT) | instid1(VALU_DEP_1)
	v_mul_hi_u32 v3, v6, v3
	v_mul_lo_u32 v5, v3, s28
	v_add_nc_u32_e32 v7, 1, v3
	s_delay_alu instid0(VALU_DEP_2) | instskip(NEXT) | instid1(VALU_DEP_1)
	v_sub_nc_u32_e32 v5, v6, v5
	v_cmp_le_u32_e32 vcc_lo, s28, v5
	v_subrev_nc_u32_e32 v8, s28, v5
	s_wait_alu 0xfffd
	v_cndmask_b32_e32 v3, v3, v7, vcc_lo
	s_delay_alu instid0(VALU_DEP_1) | instskip(NEXT) | instid1(VALU_DEP_3)
	v_add_nc_u32_e32 v7, 1, v3
	v_cndmask_b32_e32 v5, v5, v8, vcc_lo
	s_delay_alu instid0(VALU_DEP_1) | instskip(SKIP_1) | instid1(VALU_DEP_3)
	v_cmp_le_u32_e32 vcc_lo, s28, v5
	s_wait_alu 0xfffd
	v_cndmask_b32_e32 v8, v3, v7, vcc_lo
.LBB60_26:                              ;   in Loop: Header=BB60_22 Depth=2
	s_wait_alu 0xfffe
	s_or_b32 exec_lo, exec_lo, s2
	s_add_co_i32 s18, s26, 6
	s_add_nc_u64 s[34:35], s[0:1], s[34:35]
	s_wait_alu 0xfffe
	s_lshl_b64 s[36:37], s[18:19], 2
                                        ; implicit-def: $vgpr10_vgpr11
	s_mov_b32 s2, exec_lo
	s_wait_alu 0xfffe
	s_add_nc_u64 s[30:31], s[10:11], s[36:37]
	s_clause 0x1
	s_load_b32 s25, s[34:35], 0x6c
	s_load_b32 s30, s[30:31], 0x8
	s_wait_kmcnt 0x0
	s_ashr_i32 s31, s30, 31
	s_wait_alu 0xfffe
	v_or_b32_e32 v3, s31, v9
	s_delay_alu instid0(VALU_DEP_1)
	v_cmpx_ne_u64_e32 0, v[2:3]
	s_xor_b32 s27, exec_lo, s2
	s_cbranch_execz .LBB60_28
; %bb.27:                               ;   in Loop: Header=BB60_22 Depth=2
	s_ashr_i32 s34, s31, 31
	v_ashrrev_i32_e32 v3, 31, v9
	s_wait_alu 0xfffe
	s_mov_b32 s35, s34
	s_wait_alu 0xfffe
	s_add_nc_u64 s[38:39], s[30:31], s[34:35]
	v_add_co_u32 v5, vcc_lo, v8, v3
	s_wait_alu 0xfffe
	s_xor_b64 s[38:39], s[38:39], s[34:35]
	s_wait_alu 0xfffd
	v_add_co_ci_u32_e64 v7, null, v9, v3, vcc_lo
	s_wait_alu 0xfffe
	s_cvt_f32_u32 s2, s38
	s_cvt_f32_u32 s18, s39
	s_sub_nc_u64 s[42:43], 0, s[38:39]
	v_xor_b32_e32 v5, v5, v3
	v_xor_b32_e32 v7, v7, v3
	s_wait_alu 0xfffe
	s_fmamk_f32 s2, s18, 0x4f800000, s2
	v_xor_b32_e32 v3, s34, v3
	s_wait_alu 0xfffe
	s_delay_alu instid0(SALU_CYCLE_1) | instskip(NEXT) | instid1(TRANS32_DEP_1)
	v_s_rcp_f32 s2, s2
	s_mul_f32 s2, s2, 0x5f7ffffc
	s_wait_alu 0xfffe
	s_delay_alu instid0(SALU_CYCLE_2) | instskip(SKIP_1) | instid1(SALU_CYCLE_2)
	s_mul_f32 s18, s2, 0x2f800000
	s_wait_alu 0xfffe
	s_trunc_f32 s18, s18
	s_wait_alu 0xfffe
	s_delay_alu instid0(SALU_CYCLE_2) | instskip(SKIP_2) | instid1(SALU_CYCLE_1)
	s_fmamk_f32 s2, s18, 0xcf800000, s2
	s_cvt_u32_f32 s41, s18
	s_wait_alu 0xfffe
	s_cvt_u32_f32 s40, s2
	s_wait_alu 0xfffe
	s_delay_alu instid0(SALU_CYCLE_2)
	s_mul_u64 s[44:45], s[42:43], s[40:41]
	s_wait_alu 0xfffe
	s_mul_hi_u32 s47, s40, s45
	s_mul_i32 s46, s40, s45
	s_mul_hi_u32 s18, s40, s44
	s_mul_i32 s29, s41, s44
	s_wait_alu 0xfffe
	s_add_nc_u64 s[46:47], s[18:19], s[46:47]
	s_mul_hi_u32 s2, s41, s44
	s_mul_hi_u32 s31, s41, s45
	s_wait_alu 0xfffe
	s_add_co_u32 s18, s46, s29
	s_add_co_ci_u32 s18, s47, s2
	s_mul_i32 s44, s41, s45
	s_add_co_ci_u32 s45, s31, 0
	s_wait_alu 0xfffe
	s_add_nc_u64 s[44:45], s[18:19], s[44:45]
	s_wait_alu 0xfffe
	s_add_co_u32 s40, s40, s44
	s_cselect_b32 s2, -1, 0
	s_wait_alu 0xfffe
	s_cmp_lg_u32 s2, 0
	s_add_co_ci_u32 s41, s41, s45
	s_wait_alu 0xfffe
	s_mul_u64 s[42:43], s[42:43], s[40:41]
	s_wait_alu 0xfffe
	s_mul_hi_u32 s45, s40, s43
	s_mul_i32 s44, s40, s43
	s_mul_hi_u32 s18, s40, s42
	s_mul_i32 s29, s41, s42
	s_wait_alu 0xfffe
	s_add_nc_u64 s[44:45], s[18:19], s[44:45]
	s_mul_hi_u32 s2, s41, s42
	s_mul_hi_u32 s31, s41, s43
	s_wait_alu 0xfffe
	s_add_co_u32 s18, s44, s29
	s_add_co_ci_u32 s18, s45, s2
	s_mul_i32 s42, s41, s43
	s_add_co_ci_u32 s43, s31, 0
	s_wait_alu 0xfffe
	s_add_nc_u64 s[42:43], s[18:19], s[42:43]
	s_wait_alu 0xfffe
	s_add_co_u32 s2, s40, s42
	s_cselect_b32 s18, -1, 0
	s_wait_alu 0xfffe
	v_mul_hi_u32 v15, v5, s2
	s_cmp_lg_u32 s18, 0
	v_mad_co_u64_u32 v[11:12], null, v7, s2, 0
	s_add_co_ci_u32 s18, s41, s43
	s_wait_alu 0xfffe
	v_mad_co_u64_u32 v[9:10], null, v5, s18, 0
	v_mad_co_u64_u32 v[13:14], null, v7, s18, 0
	s_delay_alu instid0(VALU_DEP_2) | instskip(SKIP_1) | instid1(VALU_DEP_3)
	v_add_co_u32 v9, vcc_lo, v15, v9
	s_wait_alu 0xfffd
	v_add_co_ci_u32_e64 v10, null, 0, v10, vcc_lo
	s_delay_alu instid0(VALU_DEP_2) | instskip(SKIP_1) | instid1(VALU_DEP_2)
	v_add_co_u32 v9, vcc_lo, v9, v11
	s_wait_alu 0xfffd
	v_add_co_ci_u32_e32 v9, vcc_lo, v10, v12, vcc_lo
	s_wait_alu 0xfffd
	v_add_co_ci_u32_e32 v10, vcc_lo, 0, v14, vcc_lo
	s_delay_alu instid0(VALU_DEP_2) | instskip(SKIP_1) | instid1(VALU_DEP_2)
	v_add_co_u32 v11, vcc_lo, v9, v13
	s_wait_alu 0xfffd
	v_add_co_ci_u32_e64 v12, null, 0, v10, vcc_lo
	s_delay_alu instid0(VALU_DEP_2) | instskip(SKIP_1) | instid1(VALU_DEP_3)
	v_mul_lo_u32 v13, s39, v11
	v_mad_co_u64_u32 v[9:10], null, s38, v11, 0
	v_mul_lo_u32 v14, s38, v12
	s_delay_alu instid0(VALU_DEP_2) | instskip(NEXT) | instid1(VALU_DEP_2)
	v_sub_co_u32 v5, vcc_lo, v5, v9
	v_add3_u32 v10, v10, v14, v13
	s_delay_alu instid0(VALU_DEP_1) | instskip(SKIP_2) | instid1(VALU_DEP_2)
	v_sub_nc_u32_e32 v13, v7, v10
	s_wait_alu 0xfffd
	v_sub_co_ci_u32_e64 v7, null, v7, v10, vcc_lo
	v_subrev_co_ci_u32_e64 v9, null, s39, v13, vcc_lo
	v_add_co_u32 v13, s2, v11, 2
	s_wait_alu 0xf1ff
	v_add_co_ci_u32_e64 v14, null, 0, v12, s2
	v_sub_co_u32 v15, s2, v5, s38
	s_wait_alu 0xf1ff
	v_subrev_co_ci_u32_e64 v9, null, 0, v9, s2
	s_delay_alu instid0(VALU_DEP_2) | instskip(SKIP_2) | instid1(VALU_DEP_3)
	v_cmp_le_u32_e32 vcc_lo, s38, v15
	s_wait_alu 0xfffd
	v_cndmask_b32_e64 v10, 0, -1, vcc_lo
	v_cmp_le_u32_e32 vcc_lo, s39, v9
	s_wait_alu 0xfffd
	v_cndmask_b32_e64 v15, 0, -1, vcc_lo
	;; [unrolled: 3-line block ×4, first 2 shown]
	v_cmp_eq_u32_e32 vcc_lo, s39, v9
	s_wait_alu 0xfffd
	v_cndmask_b32_e32 v9, v15, v10, vcc_lo
	v_add_co_u32 v10, vcc_lo, v11, 1
	s_wait_alu 0xfffd
	v_add_co_ci_u32_e64 v15, null, 0, v12, vcc_lo
	v_cmp_eq_u32_e32 vcc_lo, s39, v7
	s_wait_alu 0xfffd
	v_cndmask_b32_e32 v5, v16, v5, vcc_lo
	v_cmp_ne_u32_e32 vcc_lo, 0, v9
	s_delay_alu instid0(VALU_DEP_2) | instskip(SKIP_4) | instid1(VALU_DEP_2)
	v_cmp_ne_u32_e64 s2, 0, v5
	s_wait_alu 0xfffd
	v_cndmask_b32_e32 v5, v10, v13, vcc_lo
	v_cndmask_b32_e32 v7, v15, v14, vcc_lo
	s_wait_alu 0xf1ff
	v_cndmask_b32_e64 v5, v11, v5, s2
	s_delay_alu instid0(VALU_DEP_2) | instskip(NEXT) | instid1(VALU_DEP_2)
	v_cndmask_b32_e64 v7, v12, v7, s2
	v_xor_b32_e32 v5, v5, v3
	s_delay_alu instid0(VALU_DEP_2) | instskip(NEXT) | instid1(VALU_DEP_2)
	v_xor_b32_e32 v7, v7, v3
	v_sub_co_u32 v10, vcc_lo, v5, v3
	s_wait_alu 0xfffd
	s_delay_alu instid0(VALU_DEP_2)
	v_sub_co_ci_u32_e64 v11, null, v7, v3, vcc_lo
.LBB60_28:                              ;   in Loop: Header=BB60_22 Depth=2
	s_wait_alu 0xfffe
	s_and_not1_saveexec_b32 s2, s27
	s_cbranch_execz .LBB60_30
; %bb.29:                               ;   in Loop: Header=BB60_22 Depth=2
	v_cvt_f32_u32_e32 v3, s30
	s_sub_co_i32 s18, 0, s30
	v_mov_b32_e32 v11, v2
	s_delay_alu instid0(VALU_DEP_2) | instskip(NEXT) | instid1(TRANS32_DEP_1)
	v_rcp_iflag_f32_e32 v3, v3
	v_mul_f32_e32 v3, 0x4f7ffffe, v3
	s_delay_alu instid0(VALU_DEP_1) | instskip(SKIP_1) | instid1(VALU_DEP_1)
	v_cvt_u32_f32_e32 v3, v3
	s_wait_alu 0xfffe
	v_mul_lo_u32 v5, s18, v3
	s_delay_alu instid0(VALU_DEP_1) | instskip(NEXT) | instid1(VALU_DEP_1)
	v_mul_hi_u32 v5, v3, v5
	v_add_nc_u32_e32 v3, v3, v5
	s_delay_alu instid0(VALU_DEP_1) | instskip(NEXT) | instid1(VALU_DEP_1)
	v_mul_hi_u32 v3, v8, v3
	v_mul_lo_u32 v5, v3, s30
	v_add_nc_u32_e32 v7, 1, v3
	s_delay_alu instid0(VALU_DEP_2) | instskip(NEXT) | instid1(VALU_DEP_1)
	v_sub_nc_u32_e32 v5, v8, v5
	v_cmp_le_u32_e32 vcc_lo, s30, v5
	v_subrev_nc_u32_e32 v9, s30, v5
	s_wait_alu 0xfffd
	v_cndmask_b32_e32 v3, v3, v7, vcc_lo
	s_delay_alu instid0(VALU_DEP_1) | instskip(NEXT) | instid1(VALU_DEP_3)
	v_add_nc_u32_e32 v7, 1, v3
	v_cndmask_b32_e32 v5, v5, v9, vcc_lo
	s_delay_alu instid0(VALU_DEP_1) | instskip(SKIP_1) | instid1(VALU_DEP_3)
	v_cmp_le_u32_e32 vcc_lo, s30, v5
	s_wait_alu 0xfffd
	v_cndmask_b32_e32 v10, v3, v7, vcc_lo
.LBB60_30:                              ;   in Loop: Header=BB60_22 Depth=2
	s_wait_alu 0xfffe
	s_or_b32 exec_lo, exec_lo, s2
	s_add_co_i32 s18, s26, 5
	s_add_nc_u64 s[36:37], s[0:1], s[36:37]
	s_wait_alu 0xfffe
	s_lshl_b64 s[38:39], s[18:19], 2
                                        ; implicit-def: $vgpr12_vgpr13
	s_mov_b32 s2, exec_lo
	s_wait_alu 0xfffe
	s_add_nc_u64 s[34:35], s[10:11], s[38:39]
	s_clause 0x1
	s_load_b32 s29, s[36:37], 0x6c
	s_load_b32 s34, s[34:35], 0x8
	s_wait_kmcnt 0x0
	s_ashr_i32 s35, s34, 31
	s_wait_alu 0xfffe
	v_or_b32_e32 v3, s35, v11
	s_delay_alu instid0(VALU_DEP_1)
	v_cmpx_ne_u64_e32 0, v[2:3]
	s_xor_b32 s27, exec_lo, s2
	s_cbranch_execz .LBB60_32
; %bb.31:                               ;   in Loop: Header=BB60_22 Depth=2
	s_ashr_i32 s36, s35, 31
	v_ashrrev_i32_e32 v3, 31, v11
	s_wait_alu 0xfffe
	s_mov_b32 s37, s36
	s_wait_alu 0xfffe
	s_add_nc_u64 s[40:41], s[34:35], s[36:37]
	v_add_co_u32 v5, vcc_lo, v10, v3
	s_wait_alu 0xfffe
	s_xor_b64 s[40:41], s[40:41], s[36:37]
	s_wait_alu 0xfffd
	v_add_co_ci_u32_e64 v7, null, v11, v3, vcc_lo
	s_wait_alu 0xfffe
	s_cvt_f32_u32 s2, s40
	s_cvt_f32_u32 s18, s41
	s_sub_nc_u64 s[44:45], 0, s[40:41]
	v_xor_b32_e32 v5, v5, v3
	v_xor_b32_e32 v7, v7, v3
	s_wait_alu 0xfffe
	s_fmamk_f32 s2, s18, 0x4f800000, s2
	v_xor_b32_e32 v3, s36, v3
	s_wait_alu 0xfffe
	s_delay_alu instid0(SALU_CYCLE_1) | instskip(NEXT) | instid1(TRANS32_DEP_1)
	v_s_rcp_f32 s2, s2
	s_mul_f32 s2, s2, 0x5f7ffffc
	s_wait_alu 0xfffe
	s_delay_alu instid0(SALU_CYCLE_2) | instskip(SKIP_1) | instid1(SALU_CYCLE_2)
	s_mul_f32 s18, s2, 0x2f800000
	s_wait_alu 0xfffe
	s_trunc_f32 s18, s18
	s_wait_alu 0xfffe
	s_delay_alu instid0(SALU_CYCLE_2) | instskip(SKIP_2) | instid1(SALU_CYCLE_1)
	s_fmamk_f32 s2, s18, 0xcf800000, s2
	s_cvt_u32_f32 s43, s18
	s_wait_alu 0xfffe
	s_cvt_u32_f32 s42, s2
	s_wait_alu 0xfffe
	s_delay_alu instid0(SALU_CYCLE_2)
	s_mul_u64 s[46:47], s[44:45], s[42:43]
	s_wait_alu 0xfffe
	s_mul_hi_u32 s49, s42, s47
	s_mul_i32 s48, s42, s47
	s_mul_hi_u32 s18, s42, s46
	s_mul_i32 s31, s43, s46
	s_wait_alu 0xfffe
	s_add_nc_u64 s[48:49], s[18:19], s[48:49]
	s_mul_hi_u32 s2, s43, s46
	s_mul_hi_u32 s35, s43, s47
	s_wait_alu 0xfffe
	s_add_co_u32 s18, s48, s31
	s_add_co_ci_u32 s18, s49, s2
	s_mul_i32 s46, s43, s47
	s_add_co_ci_u32 s47, s35, 0
	s_wait_alu 0xfffe
	s_add_nc_u64 s[46:47], s[18:19], s[46:47]
	s_wait_alu 0xfffe
	s_add_co_u32 s42, s42, s46
	s_cselect_b32 s2, -1, 0
	s_wait_alu 0xfffe
	s_cmp_lg_u32 s2, 0
	s_add_co_ci_u32 s43, s43, s47
	s_wait_alu 0xfffe
	s_mul_u64 s[44:45], s[44:45], s[42:43]
	s_wait_alu 0xfffe
	s_mul_hi_u32 s47, s42, s45
	s_mul_i32 s46, s42, s45
	s_mul_hi_u32 s18, s42, s44
	s_mul_i32 s31, s43, s44
	s_wait_alu 0xfffe
	s_add_nc_u64 s[46:47], s[18:19], s[46:47]
	s_mul_hi_u32 s2, s43, s44
	s_mul_hi_u32 s35, s43, s45
	s_wait_alu 0xfffe
	s_add_co_u32 s18, s46, s31
	s_add_co_ci_u32 s18, s47, s2
	s_mul_i32 s44, s43, s45
	s_add_co_ci_u32 s45, s35, 0
	s_wait_alu 0xfffe
	s_add_nc_u64 s[44:45], s[18:19], s[44:45]
	s_wait_alu 0xfffe
	s_add_co_u32 s2, s42, s44
	s_cselect_b32 s18, -1, 0
	s_wait_alu 0xfffe
	v_mul_hi_u32 v9, v5, s2
	s_cmp_lg_u32 s18, 0
	v_mad_co_u64_u32 v[13:14], null, v7, s2, 0
	s_add_co_ci_u32 s18, s43, s45
	s_wait_alu 0xfffe
	v_mad_co_u64_u32 v[11:12], null, v5, s18, 0
	v_mad_co_u64_u32 v[15:16], null, v7, s18, 0
	s_delay_alu instid0(VALU_DEP_2) | instskip(SKIP_1) | instid1(VALU_DEP_3)
	v_add_co_u32 v9, vcc_lo, v9, v11
	s_wait_alu 0xfffd
	v_add_co_ci_u32_e64 v11, null, 0, v12, vcc_lo
	s_delay_alu instid0(VALU_DEP_2) | instskip(SKIP_1) | instid1(VALU_DEP_2)
	v_add_co_u32 v9, vcc_lo, v9, v13
	s_wait_alu 0xfffd
	v_add_co_ci_u32_e32 v9, vcc_lo, v11, v14, vcc_lo
	s_wait_alu 0xfffd
	v_add_co_ci_u32_e32 v11, vcc_lo, 0, v16, vcc_lo
	s_delay_alu instid0(VALU_DEP_2) | instskip(SKIP_1) | instid1(VALU_DEP_2)
	v_add_co_u32 v9, vcc_lo, v9, v15
	s_wait_alu 0xfffd
	v_add_co_ci_u32_e64 v13, null, 0, v11, vcc_lo
	s_delay_alu instid0(VALU_DEP_2) | instskip(SKIP_1) | instid1(VALU_DEP_3)
	v_mul_lo_u32 v14, s41, v9
	v_mad_co_u64_u32 v[11:12], null, s40, v9, 0
	v_mul_lo_u32 v15, s40, v13
	s_delay_alu instid0(VALU_DEP_2) | instskip(NEXT) | instid1(VALU_DEP_2)
	v_sub_co_u32 v5, vcc_lo, v5, v11
	v_add3_u32 v12, v12, v15, v14
	s_delay_alu instid0(VALU_DEP_1) | instskip(SKIP_2) | instid1(VALU_DEP_2)
	v_sub_nc_u32_e32 v14, v7, v12
	s_wait_alu 0xfffd
	v_sub_co_ci_u32_e64 v7, null, v7, v12, vcc_lo
	v_subrev_co_ci_u32_e64 v11, null, s41, v14, vcc_lo
	v_add_co_u32 v14, s2, v9, 2
	s_wait_alu 0xf1ff
	v_add_co_ci_u32_e64 v15, null, 0, v13, s2
	v_sub_co_u32 v16, s2, v5, s40
	s_wait_alu 0xf1ff
	v_subrev_co_ci_u32_e64 v11, null, 0, v11, s2
	s_delay_alu instid0(VALU_DEP_2) | instskip(SKIP_2) | instid1(VALU_DEP_3)
	v_cmp_le_u32_e32 vcc_lo, s40, v16
	s_wait_alu 0xfffd
	v_cndmask_b32_e64 v12, 0, -1, vcc_lo
	v_cmp_le_u32_e32 vcc_lo, s41, v11
	s_wait_alu 0xfffd
	v_cndmask_b32_e64 v16, 0, -1, vcc_lo
	;; [unrolled: 3-line block ×4, first 2 shown]
	v_cmp_eq_u32_e32 vcc_lo, s41, v11
	s_wait_alu 0xfffd
	v_cndmask_b32_e32 v11, v16, v12, vcc_lo
	v_add_co_u32 v12, vcc_lo, v9, 1
	s_wait_alu 0xfffd
	v_add_co_ci_u32_e64 v16, null, 0, v13, vcc_lo
	v_cmp_eq_u32_e32 vcc_lo, s41, v7
	s_wait_alu 0xfffd
	v_cndmask_b32_e32 v5, v17, v5, vcc_lo
	v_cmp_ne_u32_e32 vcc_lo, 0, v11
	s_delay_alu instid0(VALU_DEP_2) | instskip(SKIP_4) | instid1(VALU_DEP_2)
	v_cmp_ne_u32_e64 s2, 0, v5
	s_wait_alu 0xfffd
	v_cndmask_b32_e32 v5, v12, v14, vcc_lo
	v_cndmask_b32_e32 v7, v16, v15, vcc_lo
	s_wait_alu 0xf1ff
	v_cndmask_b32_e64 v5, v9, v5, s2
	s_delay_alu instid0(VALU_DEP_2) | instskip(NEXT) | instid1(VALU_DEP_2)
	v_cndmask_b32_e64 v7, v13, v7, s2
	v_xor_b32_e32 v5, v5, v3
	s_delay_alu instid0(VALU_DEP_2) | instskip(NEXT) | instid1(VALU_DEP_2)
	v_xor_b32_e32 v7, v7, v3
	v_sub_co_u32 v12, vcc_lo, v5, v3
	s_wait_alu 0xfffd
	s_delay_alu instid0(VALU_DEP_2)
	v_sub_co_ci_u32_e64 v13, null, v7, v3, vcc_lo
.LBB60_32:                              ;   in Loop: Header=BB60_22 Depth=2
	s_wait_alu 0xfffe
	s_and_not1_saveexec_b32 s2, s27
	s_cbranch_execz .LBB60_34
; %bb.33:                               ;   in Loop: Header=BB60_22 Depth=2
	v_cvt_f32_u32_e32 v3, s34
	s_sub_co_i32 s18, 0, s34
	v_mov_b32_e32 v13, v2
	s_delay_alu instid0(VALU_DEP_2) | instskip(NEXT) | instid1(TRANS32_DEP_1)
	v_rcp_iflag_f32_e32 v3, v3
	v_mul_f32_e32 v3, 0x4f7ffffe, v3
	s_delay_alu instid0(VALU_DEP_1) | instskip(SKIP_1) | instid1(VALU_DEP_1)
	v_cvt_u32_f32_e32 v3, v3
	s_wait_alu 0xfffe
	v_mul_lo_u32 v5, s18, v3
	s_delay_alu instid0(VALU_DEP_1) | instskip(NEXT) | instid1(VALU_DEP_1)
	v_mul_hi_u32 v5, v3, v5
	v_add_nc_u32_e32 v3, v3, v5
	s_delay_alu instid0(VALU_DEP_1) | instskip(NEXT) | instid1(VALU_DEP_1)
	v_mul_hi_u32 v3, v10, v3
	v_mul_lo_u32 v5, v3, s34
	v_add_nc_u32_e32 v7, 1, v3
	s_delay_alu instid0(VALU_DEP_2) | instskip(NEXT) | instid1(VALU_DEP_1)
	v_sub_nc_u32_e32 v5, v10, v5
	v_cmp_le_u32_e32 vcc_lo, s34, v5
	v_subrev_nc_u32_e32 v9, s34, v5
	s_wait_alu 0xfffd
	v_cndmask_b32_e32 v3, v3, v7, vcc_lo
	s_delay_alu instid0(VALU_DEP_1) | instskip(NEXT) | instid1(VALU_DEP_3)
	v_add_nc_u32_e32 v7, 1, v3
	v_cndmask_b32_e32 v5, v5, v9, vcc_lo
	s_delay_alu instid0(VALU_DEP_1) | instskip(SKIP_1) | instid1(VALU_DEP_3)
	v_cmp_le_u32_e32 vcc_lo, s34, v5
	s_wait_alu 0xfffd
	v_cndmask_b32_e32 v12, v3, v7, vcc_lo
.LBB60_34:                              ;   in Loop: Header=BB60_22 Depth=2
	s_wait_alu 0xfffe
	s_or_b32 exec_lo, exec_lo, s2
	s_add_co_i32 s18, s26, 4
	s_add_nc_u64 s[38:39], s[0:1], s[38:39]
	s_wait_alu 0xfffe
	s_lshl_b64 s[40:41], s[18:19], 2
                                        ; implicit-def: $vgpr14_vgpr15
	s_mov_b32 s2, exec_lo
	s_wait_alu 0xfffe
	s_add_nc_u64 s[36:37], s[10:11], s[40:41]
	s_clause 0x1
	s_load_b32 s31, s[38:39], 0x6c
	s_load_b32 s36, s[36:37], 0x8
	s_wait_kmcnt 0x0
	s_ashr_i32 s37, s36, 31
	s_wait_alu 0xfffe
	v_or_b32_e32 v3, s37, v13
	s_delay_alu instid0(VALU_DEP_1)
	v_cmpx_ne_u64_e32 0, v[2:3]
	s_xor_b32 s27, exec_lo, s2
	s_cbranch_execz .LBB60_36
; %bb.35:                               ;   in Loop: Header=BB60_22 Depth=2
	s_ashr_i32 s38, s37, 31
	v_ashrrev_i32_e32 v3, 31, v13
	s_wait_alu 0xfffe
	s_mov_b32 s39, s38
	s_wait_alu 0xfffe
	s_add_nc_u64 s[42:43], s[36:37], s[38:39]
	v_add_co_u32 v5, vcc_lo, v12, v3
	s_wait_alu 0xfffe
	s_xor_b64 s[42:43], s[42:43], s[38:39]
	s_wait_alu 0xfffd
	v_add_co_ci_u32_e64 v7, null, v13, v3, vcc_lo
	s_wait_alu 0xfffe
	s_cvt_f32_u32 s2, s42
	s_cvt_f32_u32 s18, s43
	s_sub_nc_u64 s[46:47], 0, s[42:43]
	v_xor_b32_e32 v5, v5, v3
	v_xor_b32_e32 v7, v7, v3
	s_wait_alu 0xfffe
	s_fmamk_f32 s2, s18, 0x4f800000, s2
	v_xor_b32_e32 v3, s38, v3
	s_wait_alu 0xfffe
	s_delay_alu instid0(SALU_CYCLE_1) | instskip(NEXT) | instid1(TRANS32_DEP_1)
	v_s_rcp_f32 s2, s2
	s_mul_f32 s2, s2, 0x5f7ffffc
	s_wait_alu 0xfffe
	s_delay_alu instid0(SALU_CYCLE_2) | instskip(SKIP_1) | instid1(SALU_CYCLE_2)
	s_mul_f32 s18, s2, 0x2f800000
	s_wait_alu 0xfffe
	s_trunc_f32 s18, s18
	s_wait_alu 0xfffe
	s_delay_alu instid0(SALU_CYCLE_2) | instskip(SKIP_2) | instid1(SALU_CYCLE_1)
	s_fmamk_f32 s2, s18, 0xcf800000, s2
	s_cvt_u32_f32 s45, s18
	s_wait_alu 0xfffe
	s_cvt_u32_f32 s44, s2
	s_wait_alu 0xfffe
	s_delay_alu instid0(SALU_CYCLE_2)
	s_mul_u64 s[48:49], s[46:47], s[44:45]
	s_wait_alu 0xfffe
	s_mul_hi_u32 s51, s44, s49
	s_mul_i32 s50, s44, s49
	s_mul_hi_u32 s18, s44, s48
	s_mul_i32 s35, s45, s48
	s_wait_alu 0xfffe
	s_add_nc_u64 s[50:51], s[18:19], s[50:51]
	s_mul_hi_u32 s2, s45, s48
	s_mul_hi_u32 s37, s45, s49
	s_wait_alu 0xfffe
	s_add_co_u32 s18, s50, s35
	s_add_co_ci_u32 s18, s51, s2
	s_mul_i32 s48, s45, s49
	s_add_co_ci_u32 s49, s37, 0
	s_wait_alu 0xfffe
	s_add_nc_u64 s[48:49], s[18:19], s[48:49]
	s_wait_alu 0xfffe
	s_add_co_u32 s44, s44, s48
	s_cselect_b32 s2, -1, 0
	s_wait_alu 0xfffe
	s_cmp_lg_u32 s2, 0
	s_add_co_ci_u32 s45, s45, s49
	s_wait_alu 0xfffe
	s_mul_u64 s[46:47], s[46:47], s[44:45]
	s_wait_alu 0xfffe
	s_mul_hi_u32 s49, s44, s47
	s_mul_i32 s48, s44, s47
	s_mul_hi_u32 s18, s44, s46
	s_mul_i32 s35, s45, s46
	s_wait_alu 0xfffe
	s_add_nc_u64 s[48:49], s[18:19], s[48:49]
	s_mul_hi_u32 s2, s45, s46
	s_mul_hi_u32 s37, s45, s47
	s_wait_alu 0xfffe
	s_add_co_u32 s18, s48, s35
	s_add_co_ci_u32 s18, s49, s2
	s_mul_i32 s46, s45, s47
	s_add_co_ci_u32 s47, s37, 0
	s_wait_alu 0xfffe
	s_add_nc_u64 s[46:47], s[18:19], s[46:47]
	s_wait_alu 0xfffe
	s_add_co_u32 s2, s44, s46
	s_cselect_b32 s18, -1, 0
	s_wait_alu 0xfffe
	v_mul_hi_u32 v9, v5, s2
	s_cmp_lg_u32 s18, 0
	v_mad_co_u64_u32 v[15:16], null, v7, s2, 0
	s_add_co_ci_u32 s18, s45, s47
	s_wait_alu 0xfffe
	v_mad_co_u64_u32 v[13:14], null, v5, s18, 0
	v_mad_co_u64_u32 v[17:18], null, v7, s18, 0
	s_delay_alu instid0(VALU_DEP_2) | instskip(SKIP_1) | instid1(VALU_DEP_3)
	v_add_co_u32 v9, vcc_lo, v9, v13
	s_wait_alu 0xfffd
	v_add_co_ci_u32_e64 v11, null, 0, v14, vcc_lo
	s_delay_alu instid0(VALU_DEP_2) | instskip(SKIP_1) | instid1(VALU_DEP_2)
	v_add_co_u32 v9, vcc_lo, v9, v15
	s_wait_alu 0xfffd
	v_add_co_ci_u32_e32 v9, vcc_lo, v11, v16, vcc_lo
	s_wait_alu 0xfffd
	v_add_co_ci_u32_e32 v11, vcc_lo, 0, v18, vcc_lo
	s_delay_alu instid0(VALU_DEP_2) | instskip(SKIP_1) | instid1(VALU_DEP_2)
	v_add_co_u32 v9, vcc_lo, v9, v17
	s_wait_alu 0xfffd
	v_add_co_ci_u32_e64 v11, null, 0, v11, vcc_lo
	s_delay_alu instid0(VALU_DEP_2) | instskip(SKIP_1) | instid1(VALU_DEP_3)
	v_mul_lo_u32 v15, s43, v9
	v_mad_co_u64_u32 v[13:14], null, s42, v9, 0
	v_mul_lo_u32 v16, s42, v11
	s_delay_alu instid0(VALU_DEP_2) | instskip(NEXT) | instid1(VALU_DEP_2)
	v_sub_co_u32 v5, vcc_lo, v5, v13
	v_add3_u32 v14, v14, v16, v15
	s_delay_alu instid0(VALU_DEP_1) | instskip(SKIP_2) | instid1(VALU_DEP_2)
	v_sub_nc_u32_e32 v15, v7, v14
	s_wait_alu 0xfffd
	v_sub_co_ci_u32_e64 v7, null, v7, v14, vcc_lo
	v_subrev_co_ci_u32_e64 v13, null, s43, v15, vcc_lo
	v_add_co_u32 v15, s2, v9, 2
	s_wait_alu 0xf1ff
	v_add_co_ci_u32_e64 v16, null, 0, v11, s2
	v_sub_co_u32 v17, s2, v5, s42
	s_wait_alu 0xf1ff
	v_subrev_co_ci_u32_e64 v13, null, 0, v13, s2
	s_delay_alu instid0(VALU_DEP_2) | instskip(SKIP_2) | instid1(VALU_DEP_3)
	v_cmp_le_u32_e32 vcc_lo, s42, v17
	s_wait_alu 0xfffd
	v_cndmask_b32_e64 v14, 0, -1, vcc_lo
	v_cmp_le_u32_e32 vcc_lo, s43, v13
	s_wait_alu 0xfffd
	v_cndmask_b32_e64 v17, 0, -1, vcc_lo
	;; [unrolled: 3-line block ×4, first 2 shown]
	v_cmp_eq_u32_e32 vcc_lo, s43, v13
	s_wait_alu 0xfffd
	v_cndmask_b32_e32 v13, v17, v14, vcc_lo
	v_add_co_u32 v14, vcc_lo, v9, 1
	s_wait_alu 0xfffd
	v_add_co_ci_u32_e64 v17, null, 0, v11, vcc_lo
	v_cmp_eq_u32_e32 vcc_lo, s43, v7
	s_wait_alu 0xfffd
	v_cndmask_b32_e32 v5, v18, v5, vcc_lo
	v_cmp_ne_u32_e32 vcc_lo, 0, v13
	s_delay_alu instid0(VALU_DEP_2) | instskip(SKIP_4) | instid1(VALU_DEP_2)
	v_cmp_ne_u32_e64 s2, 0, v5
	s_wait_alu 0xfffd
	v_cndmask_b32_e32 v5, v14, v15, vcc_lo
	v_cndmask_b32_e32 v7, v17, v16, vcc_lo
	s_wait_alu 0xf1ff
	v_cndmask_b32_e64 v5, v9, v5, s2
	s_delay_alu instid0(VALU_DEP_2) | instskip(NEXT) | instid1(VALU_DEP_2)
	v_cndmask_b32_e64 v7, v11, v7, s2
	v_xor_b32_e32 v5, v5, v3
	s_delay_alu instid0(VALU_DEP_2) | instskip(NEXT) | instid1(VALU_DEP_2)
	v_xor_b32_e32 v7, v7, v3
	v_sub_co_u32 v14, vcc_lo, v5, v3
	s_wait_alu 0xfffd
	s_delay_alu instid0(VALU_DEP_2)
	v_sub_co_ci_u32_e64 v15, null, v7, v3, vcc_lo
.LBB60_36:                              ;   in Loop: Header=BB60_22 Depth=2
	s_wait_alu 0xfffe
	s_and_not1_saveexec_b32 s2, s27
	s_cbranch_execz .LBB60_38
; %bb.37:                               ;   in Loop: Header=BB60_22 Depth=2
	v_cvt_f32_u32_e32 v3, s36
	s_sub_co_i32 s18, 0, s36
	v_mov_b32_e32 v15, v2
	s_delay_alu instid0(VALU_DEP_2) | instskip(NEXT) | instid1(TRANS32_DEP_1)
	v_rcp_iflag_f32_e32 v3, v3
	v_mul_f32_e32 v3, 0x4f7ffffe, v3
	s_delay_alu instid0(VALU_DEP_1) | instskip(SKIP_1) | instid1(VALU_DEP_1)
	v_cvt_u32_f32_e32 v3, v3
	s_wait_alu 0xfffe
	v_mul_lo_u32 v5, s18, v3
	s_delay_alu instid0(VALU_DEP_1) | instskip(NEXT) | instid1(VALU_DEP_1)
	v_mul_hi_u32 v5, v3, v5
	v_add_nc_u32_e32 v3, v3, v5
	s_delay_alu instid0(VALU_DEP_1) | instskip(NEXT) | instid1(VALU_DEP_1)
	v_mul_hi_u32 v3, v12, v3
	v_mul_lo_u32 v5, v3, s36
	v_add_nc_u32_e32 v7, 1, v3
	s_delay_alu instid0(VALU_DEP_2) | instskip(NEXT) | instid1(VALU_DEP_1)
	v_sub_nc_u32_e32 v5, v12, v5
	v_cmp_le_u32_e32 vcc_lo, s36, v5
	v_subrev_nc_u32_e32 v9, s36, v5
	s_wait_alu 0xfffd
	v_cndmask_b32_e32 v3, v3, v7, vcc_lo
	s_delay_alu instid0(VALU_DEP_1) | instskip(NEXT) | instid1(VALU_DEP_3)
	v_add_nc_u32_e32 v7, 1, v3
	v_cndmask_b32_e32 v5, v5, v9, vcc_lo
	s_delay_alu instid0(VALU_DEP_1) | instskip(SKIP_1) | instid1(VALU_DEP_3)
	v_cmp_le_u32_e32 vcc_lo, s36, v5
	s_wait_alu 0xfffd
	v_cndmask_b32_e32 v14, v3, v7, vcc_lo
.LBB60_38:                              ;   in Loop: Header=BB60_22 Depth=2
	s_wait_alu 0xfffe
	s_or_b32 exec_lo, exec_lo, s2
	s_add_co_i32 s18, s26, 3
	s_add_nc_u64 s[40:41], s[0:1], s[40:41]
	s_wait_alu 0xfffe
	s_lshl_b64 s[42:43], s[18:19], 2
                                        ; implicit-def: $vgpr16_vgpr17
	s_mov_b32 s2, exec_lo
	s_wait_alu 0xfffe
	s_add_nc_u64 s[38:39], s[10:11], s[42:43]
	s_clause 0x1
	s_load_b32 s35, s[40:41], 0x6c
	s_load_b32 s38, s[38:39], 0x8
	s_wait_kmcnt 0x0
	s_ashr_i32 s39, s38, 31
	s_wait_alu 0xfffe
	v_or_b32_e32 v3, s39, v15
	s_delay_alu instid0(VALU_DEP_1)
	v_cmpx_ne_u64_e32 0, v[2:3]
	s_xor_b32 s27, exec_lo, s2
	s_cbranch_execz .LBB60_40
; %bb.39:                               ;   in Loop: Header=BB60_22 Depth=2
	s_ashr_i32 s40, s39, 31
	v_ashrrev_i32_e32 v3, 31, v15
	s_wait_alu 0xfffe
	s_mov_b32 s41, s40
	s_wait_alu 0xfffe
	s_add_nc_u64 s[44:45], s[38:39], s[40:41]
	v_add_co_u32 v5, vcc_lo, v14, v3
	s_wait_alu 0xfffe
	s_xor_b64 s[44:45], s[44:45], s[40:41]
	s_wait_alu 0xfffd
	v_add_co_ci_u32_e64 v7, null, v15, v3, vcc_lo
	s_wait_alu 0xfffe
	s_cvt_f32_u32 s2, s44
	s_cvt_f32_u32 s18, s45
	s_sub_nc_u64 s[48:49], 0, s[44:45]
	v_xor_b32_e32 v5, v5, v3
	v_xor_b32_e32 v7, v7, v3
	s_wait_alu 0xfffe
	s_fmamk_f32 s2, s18, 0x4f800000, s2
	v_xor_b32_e32 v3, s40, v3
	s_wait_alu 0xfffe
	s_delay_alu instid0(SALU_CYCLE_1) | instskip(NEXT) | instid1(TRANS32_DEP_1)
	v_s_rcp_f32 s2, s2
	s_mul_f32 s2, s2, 0x5f7ffffc
	s_wait_alu 0xfffe
	s_delay_alu instid0(SALU_CYCLE_2) | instskip(SKIP_1) | instid1(SALU_CYCLE_2)
	s_mul_f32 s18, s2, 0x2f800000
	s_wait_alu 0xfffe
	s_trunc_f32 s18, s18
	s_wait_alu 0xfffe
	s_delay_alu instid0(SALU_CYCLE_2) | instskip(SKIP_2) | instid1(SALU_CYCLE_1)
	s_fmamk_f32 s2, s18, 0xcf800000, s2
	s_cvt_u32_f32 s47, s18
	s_wait_alu 0xfffe
	s_cvt_u32_f32 s46, s2
	s_wait_alu 0xfffe
	s_delay_alu instid0(SALU_CYCLE_2)
	s_mul_u64 s[50:51], s[48:49], s[46:47]
	s_wait_alu 0xfffe
	s_mul_hi_u32 s59, s46, s51
	s_mul_i32 s58, s46, s51
	s_mul_hi_u32 s18, s46, s50
	s_mul_i32 s37, s47, s50
	s_wait_alu 0xfffe
	s_add_nc_u64 s[58:59], s[18:19], s[58:59]
	s_mul_hi_u32 s2, s47, s50
	s_mul_hi_u32 s39, s47, s51
	s_add_co_u32 s18, s58, s37
	s_wait_alu 0xfffe
	s_add_co_ci_u32 s18, s59, s2
	s_mul_i32 s50, s47, s51
	s_add_co_ci_u32 s51, s39, 0
	s_wait_alu 0xfffe
	s_add_nc_u64 s[50:51], s[18:19], s[50:51]
	s_wait_alu 0xfffe
	s_add_co_u32 s46, s46, s50
	s_cselect_b32 s2, -1, 0
	s_wait_alu 0xfffe
	s_cmp_lg_u32 s2, 0
	s_add_co_ci_u32 s47, s47, s51
	s_wait_alu 0xfffe
	s_mul_u64 s[48:49], s[48:49], s[46:47]
	s_wait_alu 0xfffe
	s_mul_hi_u32 s51, s46, s49
	s_mul_i32 s50, s46, s49
	s_mul_hi_u32 s18, s46, s48
	s_mul_i32 s37, s47, s48
	s_wait_alu 0xfffe
	s_add_nc_u64 s[50:51], s[18:19], s[50:51]
	s_mul_hi_u32 s2, s47, s48
	s_mul_hi_u32 s39, s47, s49
	s_wait_alu 0xfffe
	s_add_co_u32 s18, s50, s37
	s_add_co_ci_u32 s18, s51, s2
	s_mul_i32 s48, s47, s49
	s_add_co_ci_u32 s49, s39, 0
	s_wait_alu 0xfffe
	s_add_nc_u64 s[48:49], s[18:19], s[48:49]
	s_wait_alu 0xfffe
	s_add_co_u32 s2, s46, s48
	s_cselect_b32 s18, -1, 0
	s_wait_alu 0xfffe
	v_mul_hi_u32 v9, v5, s2
	s_cmp_lg_u32 s18, 0
	v_mad_co_u64_u32 v[17:18], null, v7, s2, 0
	s_add_co_ci_u32 s18, s47, s49
	s_wait_alu 0xfffe
	v_mad_co_u64_u32 v[15:16], null, v5, s18, 0
	v_mad_co_u64_u32 v[19:20], null, v7, s18, 0
	s_delay_alu instid0(VALU_DEP_2) | instskip(SKIP_1) | instid1(VALU_DEP_3)
	v_add_co_u32 v9, vcc_lo, v9, v15
	s_wait_alu 0xfffd
	v_add_co_ci_u32_e64 v11, null, 0, v16, vcc_lo
	s_delay_alu instid0(VALU_DEP_2) | instskip(SKIP_1) | instid1(VALU_DEP_2)
	v_add_co_u32 v9, vcc_lo, v9, v17
	s_wait_alu 0xfffd
	v_add_co_ci_u32_e32 v9, vcc_lo, v11, v18, vcc_lo
	s_wait_alu 0xfffd
	v_add_co_ci_u32_e32 v11, vcc_lo, 0, v20, vcc_lo
	s_delay_alu instid0(VALU_DEP_2) | instskip(SKIP_1) | instid1(VALU_DEP_2)
	v_add_co_u32 v9, vcc_lo, v9, v19
	s_wait_alu 0xfffd
	v_add_co_ci_u32_e64 v11, null, 0, v11, vcc_lo
	s_delay_alu instid0(VALU_DEP_2) | instskip(SKIP_1) | instid1(VALU_DEP_3)
	v_mul_lo_u32 v13, s45, v9
	v_mad_co_u64_u32 v[15:16], null, s44, v9, 0
	v_mul_lo_u32 v17, s44, v11
	s_delay_alu instid0(VALU_DEP_2) | instskip(NEXT) | instid1(VALU_DEP_2)
	v_sub_co_u32 v5, vcc_lo, v5, v15
	v_add3_u32 v13, v16, v17, v13
	s_delay_alu instid0(VALU_DEP_1) | instskip(SKIP_2) | instid1(VALU_DEP_2)
	v_sub_nc_u32_e32 v16, v7, v13
	s_wait_alu 0xfffd
	v_sub_co_ci_u32_e64 v7, null, v7, v13, vcc_lo
	v_subrev_co_ci_u32_e64 v15, null, s45, v16, vcc_lo
	v_add_co_u32 v16, s2, v9, 2
	s_wait_alu 0xf1ff
	v_add_co_ci_u32_e64 v17, null, 0, v11, s2
	v_sub_co_u32 v18, s2, v5, s44
	s_wait_alu 0xf1ff
	v_subrev_co_ci_u32_e64 v15, null, 0, v15, s2
	s_delay_alu instid0(VALU_DEP_2) | instskip(SKIP_2) | instid1(VALU_DEP_3)
	v_cmp_le_u32_e32 vcc_lo, s44, v18
	s_wait_alu 0xfffd
	v_cndmask_b32_e64 v13, 0, -1, vcc_lo
	v_cmp_le_u32_e32 vcc_lo, s45, v15
	s_wait_alu 0xfffd
	v_cndmask_b32_e64 v18, 0, -1, vcc_lo
	;; [unrolled: 3-line block ×4, first 2 shown]
	v_cmp_eq_u32_e32 vcc_lo, s45, v15
	s_wait_alu 0xfffd
	v_cndmask_b32_e32 v13, v18, v13, vcc_lo
	v_add_co_u32 v15, vcc_lo, v9, 1
	s_wait_alu 0xfffd
	v_add_co_ci_u32_e64 v18, null, 0, v11, vcc_lo
	v_cmp_eq_u32_e32 vcc_lo, s45, v7
	s_wait_alu 0xfffd
	v_cndmask_b32_e32 v5, v19, v5, vcc_lo
	v_cmp_ne_u32_e32 vcc_lo, 0, v13
	s_delay_alu instid0(VALU_DEP_2) | instskip(SKIP_4) | instid1(VALU_DEP_2)
	v_cmp_ne_u32_e64 s2, 0, v5
	s_wait_alu 0xfffd
	v_cndmask_b32_e32 v5, v15, v16, vcc_lo
	v_cndmask_b32_e32 v7, v18, v17, vcc_lo
	s_wait_alu 0xf1ff
	v_cndmask_b32_e64 v5, v9, v5, s2
	s_delay_alu instid0(VALU_DEP_2) | instskip(NEXT) | instid1(VALU_DEP_2)
	v_cndmask_b32_e64 v7, v11, v7, s2
	v_xor_b32_e32 v5, v5, v3
	s_delay_alu instid0(VALU_DEP_2) | instskip(NEXT) | instid1(VALU_DEP_2)
	v_xor_b32_e32 v7, v7, v3
	v_sub_co_u32 v16, vcc_lo, v5, v3
	s_wait_alu 0xfffd
	s_delay_alu instid0(VALU_DEP_2)
	v_sub_co_ci_u32_e64 v17, null, v7, v3, vcc_lo
.LBB60_40:                              ;   in Loop: Header=BB60_22 Depth=2
	s_wait_alu 0xfffe
	s_and_not1_saveexec_b32 s2, s27
	s_cbranch_execz .LBB60_42
; %bb.41:                               ;   in Loop: Header=BB60_22 Depth=2
	v_cvt_f32_u32_e32 v3, s38
	s_sub_co_i32 s18, 0, s38
	v_mov_b32_e32 v17, v2
	s_delay_alu instid0(VALU_DEP_2) | instskip(NEXT) | instid1(TRANS32_DEP_1)
	v_rcp_iflag_f32_e32 v3, v3
	v_mul_f32_e32 v3, 0x4f7ffffe, v3
	s_delay_alu instid0(VALU_DEP_1) | instskip(SKIP_1) | instid1(VALU_DEP_1)
	v_cvt_u32_f32_e32 v3, v3
	s_wait_alu 0xfffe
	v_mul_lo_u32 v5, s18, v3
	s_delay_alu instid0(VALU_DEP_1) | instskip(NEXT) | instid1(VALU_DEP_1)
	v_mul_hi_u32 v5, v3, v5
	v_add_nc_u32_e32 v3, v3, v5
	s_delay_alu instid0(VALU_DEP_1) | instskip(NEXT) | instid1(VALU_DEP_1)
	v_mul_hi_u32 v3, v14, v3
	v_mul_lo_u32 v5, v3, s38
	v_add_nc_u32_e32 v7, 1, v3
	s_delay_alu instid0(VALU_DEP_2) | instskip(NEXT) | instid1(VALU_DEP_1)
	v_sub_nc_u32_e32 v5, v14, v5
	v_cmp_le_u32_e32 vcc_lo, s38, v5
	v_subrev_nc_u32_e32 v9, s38, v5
	s_wait_alu 0xfffd
	v_cndmask_b32_e32 v3, v3, v7, vcc_lo
	s_delay_alu instid0(VALU_DEP_1) | instskip(NEXT) | instid1(VALU_DEP_3)
	v_add_nc_u32_e32 v7, 1, v3
	v_cndmask_b32_e32 v5, v5, v9, vcc_lo
	s_delay_alu instid0(VALU_DEP_1) | instskip(SKIP_1) | instid1(VALU_DEP_3)
	v_cmp_le_u32_e32 vcc_lo, s38, v5
	s_wait_alu 0xfffd
	v_cndmask_b32_e32 v16, v3, v7, vcc_lo
.LBB60_42:                              ;   in Loop: Header=BB60_22 Depth=2
	s_wait_alu 0xfffe
	s_or_b32 exec_lo, exec_lo, s2
	s_add_co_i32 s18, s26, 2
	s_add_nc_u64 s[42:43], s[0:1], s[42:43]
	s_wait_alu 0xfffe
	s_lshl_b64 s[44:45], s[18:19], 2
                                        ; implicit-def: $vgpr18_vgpr19
	s_mov_b32 s2, exec_lo
	s_wait_alu 0xfffe
	s_add_nc_u64 s[40:41], s[10:11], s[44:45]
	s_clause 0x1
	s_load_b32 s37, s[42:43], 0x6c
	s_load_b32 s40, s[40:41], 0x8
	s_wait_kmcnt 0x0
	s_ashr_i32 s41, s40, 31
	s_wait_alu 0xfffe
	v_or_b32_e32 v3, s41, v17
	s_delay_alu instid0(VALU_DEP_1)
	v_cmpx_ne_u64_e32 0, v[2:3]
	s_xor_b32 s27, exec_lo, s2
	s_cbranch_execz .LBB60_44
; %bb.43:                               ;   in Loop: Header=BB60_22 Depth=2
	s_ashr_i32 s42, s41, 31
	v_ashrrev_i32_e32 v3, 31, v17
	s_wait_alu 0xfffe
	s_mov_b32 s43, s42
	s_wait_alu 0xfffe
	s_add_nc_u64 s[46:47], s[40:41], s[42:43]
	v_add_co_u32 v5, vcc_lo, v16, v3
	s_wait_alu 0xfffe
	s_xor_b64 s[46:47], s[46:47], s[42:43]
	s_wait_alu 0xfffd
	v_add_co_ci_u32_e64 v7, null, v17, v3, vcc_lo
	s_wait_alu 0xfffe
	s_cvt_f32_u32 s2, s46
	s_cvt_f32_u32 s18, s47
	s_sub_nc_u64 s[50:51], 0, s[46:47]
	v_xor_b32_e32 v5, v5, v3
	v_xor_b32_e32 v7, v7, v3
	s_wait_alu 0xfffe
	s_fmamk_f32 s2, s18, 0x4f800000, s2
	v_xor_b32_e32 v3, s42, v3
	s_wait_alu 0xfffe
	s_delay_alu instid0(SALU_CYCLE_1) | instskip(NEXT) | instid1(TRANS32_DEP_1)
	v_s_rcp_f32 s2, s2
	s_mul_f32 s2, s2, 0x5f7ffffc
	s_wait_alu 0xfffe
	s_delay_alu instid0(SALU_CYCLE_2) | instskip(SKIP_1) | instid1(SALU_CYCLE_2)
	s_mul_f32 s18, s2, 0x2f800000
	s_wait_alu 0xfffe
	s_trunc_f32 s18, s18
	s_wait_alu 0xfffe
	s_delay_alu instid0(SALU_CYCLE_2) | instskip(SKIP_2) | instid1(SALU_CYCLE_1)
	s_fmamk_f32 s2, s18, 0xcf800000, s2
	s_cvt_u32_f32 s49, s18
	s_wait_alu 0xfffe
	s_cvt_u32_f32 s48, s2
	s_wait_alu 0xfffe
	s_delay_alu instid0(SALU_CYCLE_2) | instskip(NEXT) | instid1(SALU_CYCLE_1)
	s_mul_u64 s[58:59], s[50:51], s[48:49]
	s_mul_hi_u32 s61, s48, s59
	s_mul_i32 s60, s48, s59
	s_mul_hi_u32 s18, s48, s58
	s_mul_i32 s39, s49, s58
	s_wait_alu 0xfffe
	s_add_nc_u64 s[60:61], s[18:19], s[60:61]
	s_mul_hi_u32 s2, s49, s58
	s_mul_hi_u32 s41, s49, s59
	s_add_co_u32 s18, s60, s39
	s_wait_alu 0xfffe
	s_add_co_ci_u32 s18, s61, s2
	s_mul_i32 s58, s49, s59
	s_add_co_ci_u32 s59, s41, 0
	s_wait_alu 0xfffe
	s_add_nc_u64 s[58:59], s[18:19], s[58:59]
	s_delay_alu instid0(SALU_CYCLE_1)
	s_add_co_u32 s48, s48, s58
	s_cselect_b32 s2, -1, 0
	s_wait_alu 0xfffe
	s_cmp_lg_u32 s2, 0
	s_add_co_ci_u32 s49, s49, s59
	s_wait_alu 0xfffe
	s_mul_u64 s[50:51], s[50:51], s[48:49]
	s_wait_alu 0xfffe
	s_mul_hi_u32 s59, s48, s51
	s_mul_i32 s58, s48, s51
	s_mul_hi_u32 s18, s48, s50
	s_mul_i32 s39, s49, s50
	s_wait_alu 0xfffe
	s_add_nc_u64 s[58:59], s[18:19], s[58:59]
	s_mul_hi_u32 s2, s49, s50
	s_mul_hi_u32 s41, s49, s51
	s_add_co_u32 s18, s58, s39
	s_wait_alu 0xfffe
	s_add_co_ci_u32 s18, s59, s2
	s_mul_i32 s50, s49, s51
	s_add_co_ci_u32 s51, s41, 0
	s_wait_alu 0xfffe
	s_add_nc_u64 s[50:51], s[18:19], s[50:51]
	s_wait_alu 0xfffe
	s_add_co_u32 s2, s48, s50
	s_cselect_b32 s18, -1, 0
	s_wait_alu 0xfffe
	v_mul_hi_u32 v9, v5, s2
	s_cmp_lg_u32 s18, 0
	v_mad_co_u64_u32 v[19:20], null, v7, s2, 0
	s_add_co_ci_u32 s18, s49, s51
	s_wait_alu 0xfffe
	v_mad_co_u64_u32 v[17:18], null, v5, s18, 0
	v_mad_co_u64_u32 v[21:22], null, v7, s18, 0
	s_delay_alu instid0(VALU_DEP_2) | instskip(SKIP_1) | instid1(VALU_DEP_3)
	v_add_co_u32 v9, vcc_lo, v9, v17
	s_wait_alu 0xfffd
	v_add_co_ci_u32_e64 v11, null, 0, v18, vcc_lo
	s_delay_alu instid0(VALU_DEP_2) | instskip(SKIP_1) | instid1(VALU_DEP_2)
	v_add_co_u32 v9, vcc_lo, v9, v19
	s_wait_alu 0xfffd
	v_add_co_ci_u32_e32 v9, vcc_lo, v11, v20, vcc_lo
	s_wait_alu 0xfffd
	v_add_co_ci_u32_e32 v11, vcc_lo, 0, v22, vcc_lo
	s_delay_alu instid0(VALU_DEP_2) | instskip(SKIP_1) | instid1(VALU_DEP_2)
	v_add_co_u32 v9, vcc_lo, v9, v21
	s_wait_alu 0xfffd
	v_add_co_ci_u32_e64 v11, null, 0, v11, vcc_lo
	s_delay_alu instid0(VALU_DEP_2) | instskip(SKIP_1) | instid1(VALU_DEP_3)
	v_mul_lo_u32 v13, s47, v9
	v_mad_co_u64_u32 v[17:18], null, s46, v9, 0
	v_mul_lo_u32 v15, s46, v11
	s_delay_alu instid0(VALU_DEP_2) | instskip(NEXT) | instid1(VALU_DEP_2)
	v_sub_co_u32 v5, vcc_lo, v5, v17
	v_add3_u32 v13, v18, v15, v13
	v_add_co_u32 v17, s2, v9, 2
	s_wait_alu 0xf1ff
	v_add_co_ci_u32_e64 v18, null, 0, v11, s2
	s_delay_alu instid0(VALU_DEP_3) | instskip(SKIP_3) | instid1(VALU_DEP_3)
	v_sub_nc_u32_e32 v15, v7, v13
	v_sub_co_u32 v19, s2, v5, s46
	s_wait_alu 0xfffd
	v_sub_co_ci_u32_e64 v7, null, v7, v13, vcc_lo
	v_subrev_co_ci_u32_e64 v15, null, s47, v15, vcc_lo
	s_delay_alu instid0(VALU_DEP_3) | instskip(SKIP_1) | instid1(VALU_DEP_2)
	v_cmp_le_u32_e32 vcc_lo, s46, v19
	s_wait_alu 0xf1ff
	v_subrev_co_ci_u32_e64 v15, null, 0, v15, s2
	s_wait_alu 0xfffd
	v_cndmask_b32_e64 v13, 0, -1, vcc_lo
	s_delay_alu instid0(VALU_DEP_2)
	v_cmp_le_u32_e32 vcc_lo, s47, v15
	s_wait_alu 0xfffd
	v_cndmask_b32_e64 v19, 0, -1, vcc_lo
	v_cmp_le_u32_e32 vcc_lo, s46, v5
	s_wait_alu 0xfffd
	v_cndmask_b32_e64 v5, 0, -1, vcc_lo
	;; [unrolled: 3-line block ×3, first 2 shown]
	v_cmp_eq_u32_e32 vcc_lo, s47, v15
	s_wait_alu 0xfffd
	v_cndmask_b32_e32 v13, v19, v13, vcc_lo
	v_add_co_u32 v15, vcc_lo, v9, 1
	s_wait_alu 0xfffd
	v_add_co_ci_u32_e64 v19, null, 0, v11, vcc_lo
	v_cmp_eq_u32_e32 vcc_lo, s47, v7
	s_wait_alu 0xfffd
	v_cndmask_b32_e32 v5, v20, v5, vcc_lo
	v_cmp_ne_u32_e32 vcc_lo, 0, v13
	s_delay_alu instid0(VALU_DEP_2) | instskip(SKIP_4) | instid1(VALU_DEP_2)
	v_cmp_ne_u32_e64 s2, 0, v5
	s_wait_alu 0xfffd
	v_cndmask_b32_e32 v5, v15, v17, vcc_lo
	v_cndmask_b32_e32 v7, v19, v18, vcc_lo
	s_wait_alu 0xf1ff
	v_cndmask_b32_e64 v5, v9, v5, s2
	s_delay_alu instid0(VALU_DEP_2) | instskip(NEXT) | instid1(VALU_DEP_2)
	v_cndmask_b32_e64 v7, v11, v7, s2
	v_xor_b32_e32 v5, v5, v3
	s_delay_alu instid0(VALU_DEP_2) | instskip(NEXT) | instid1(VALU_DEP_2)
	v_xor_b32_e32 v7, v7, v3
	v_sub_co_u32 v18, vcc_lo, v5, v3
	s_wait_alu 0xfffd
	s_delay_alu instid0(VALU_DEP_2)
	v_sub_co_ci_u32_e64 v19, null, v7, v3, vcc_lo
.LBB60_44:                              ;   in Loop: Header=BB60_22 Depth=2
	s_wait_alu 0xfffe
	s_and_not1_saveexec_b32 s2, s27
	s_cbranch_execz .LBB60_46
; %bb.45:                               ;   in Loop: Header=BB60_22 Depth=2
	v_cvt_f32_u32_e32 v3, s40
	s_sub_co_i32 s18, 0, s40
	v_mov_b32_e32 v19, v2
	s_delay_alu instid0(VALU_DEP_2) | instskip(NEXT) | instid1(TRANS32_DEP_1)
	v_rcp_iflag_f32_e32 v3, v3
	v_mul_f32_e32 v3, 0x4f7ffffe, v3
	s_delay_alu instid0(VALU_DEP_1) | instskip(SKIP_1) | instid1(VALU_DEP_1)
	v_cvt_u32_f32_e32 v3, v3
	s_wait_alu 0xfffe
	v_mul_lo_u32 v5, s18, v3
	s_delay_alu instid0(VALU_DEP_1) | instskip(NEXT) | instid1(VALU_DEP_1)
	v_mul_hi_u32 v5, v3, v5
	v_add_nc_u32_e32 v3, v3, v5
	s_delay_alu instid0(VALU_DEP_1) | instskip(NEXT) | instid1(VALU_DEP_1)
	v_mul_hi_u32 v3, v16, v3
	v_mul_lo_u32 v5, v3, s40
	v_add_nc_u32_e32 v7, 1, v3
	s_delay_alu instid0(VALU_DEP_2) | instskip(NEXT) | instid1(VALU_DEP_1)
	v_sub_nc_u32_e32 v5, v16, v5
	v_cmp_le_u32_e32 vcc_lo, s40, v5
	v_subrev_nc_u32_e32 v9, s40, v5
	s_wait_alu 0xfffd
	v_cndmask_b32_e32 v3, v3, v7, vcc_lo
	s_delay_alu instid0(VALU_DEP_1) | instskip(NEXT) | instid1(VALU_DEP_3)
	v_add_nc_u32_e32 v7, 1, v3
	v_cndmask_b32_e32 v5, v5, v9, vcc_lo
	s_delay_alu instid0(VALU_DEP_1) | instskip(SKIP_1) | instid1(VALU_DEP_3)
	v_cmp_le_u32_e32 vcc_lo, s40, v5
	s_wait_alu 0xfffd
	v_cndmask_b32_e32 v18, v3, v7, vcc_lo
.LBB60_46:                              ;   in Loop: Header=BB60_22 Depth=2
	s_wait_alu 0xfffe
	s_or_b32 exec_lo, exec_lo, s2
	s_add_co_i32 s18, s26, 1
	s_add_nc_u64 s[44:45], s[0:1], s[44:45]
	s_wait_alu 0xfffe
	s_lshl_b64 s[48:49], s[18:19], 2
                                        ; implicit-def: $vgpr20_vgpr21
	s_mov_b32 s2, exec_lo
	s_wait_alu 0xfffe
	s_add_nc_u64 s[42:43], s[10:11], s[48:49]
	s_clause 0x1
	s_load_b32 s39, s[44:45], 0x6c
	s_load_b32 s42, s[42:43], 0x8
	s_wait_kmcnt 0x0
	s_ashr_i32 s43, s42, 31
	s_wait_alu 0xfffe
	v_or_b32_e32 v3, s43, v19
	s_delay_alu instid0(VALU_DEP_1)
	v_cmpx_ne_u64_e32 0, v[2:3]
	s_xor_b32 s27, exec_lo, s2
	s_cbranch_execz .LBB60_48
; %bb.47:                               ;   in Loop: Header=BB60_22 Depth=2
	s_ashr_i32 s44, s43, 31
	v_ashrrev_i32_e32 v3, 31, v19
	s_wait_alu 0xfffe
	s_mov_b32 s45, s44
	s_wait_alu 0xfffe
	s_add_nc_u64 s[46:47], s[42:43], s[44:45]
	v_add_co_u32 v5, vcc_lo, v18, v3
	s_wait_alu 0xfffe
	s_xor_b64 s[46:47], s[46:47], s[44:45]
	s_wait_alu 0xfffd
	v_add_co_ci_u32_e64 v7, null, v19, v3, vcc_lo
	s_wait_alu 0xfffe
	s_cvt_f32_u32 s2, s46
	s_cvt_f32_u32 s18, s47
	s_sub_nc_u64 s[58:59], 0, s[46:47]
	v_xor_b32_e32 v5, v5, v3
	v_xor_b32_e32 v7, v7, v3
	s_wait_alu 0xfffe
	s_fmamk_f32 s2, s18, 0x4f800000, s2
	v_xor_b32_e32 v3, s44, v3
	s_wait_alu 0xfffe
	s_delay_alu instid0(SALU_CYCLE_1) | instskip(NEXT) | instid1(TRANS32_DEP_1)
	v_s_rcp_f32 s2, s2
	s_mul_f32 s2, s2, 0x5f7ffffc
	s_wait_alu 0xfffe
	s_delay_alu instid0(SALU_CYCLE_2) | instskip(SKIP_1) | instid1(SALU_CYCLE_2)
	s_mul_f32 s18, s2, 0x2f800000
	s_wait_alu 0xfffe
	s_trunc_f32 s18, s18
	s_wait_alu 0xfffe
	s_delay_alu instid0(SALU_CYCLE_2) | instskip(SKIP_2) | instid1(SALU_CYCLE_1)
	s_fmamk_f32 s2, s18, 0xcf800000, s2
	s_cvt_u32_f32 s51, s18
	s_wait_alu 0xfffe
	s_cvt_u32_f32 s50, s2
	s_wait_alu 0xfffe
	s_delay_alu instid0(SALU_CYCLE_2) | instskip(NEXT) | instid1(SALU_CYCLE_1)
	s_mul_u64 s[60:61], s[58:59], s[50:51]
	s_mul_hi_u32 s63, s50, s61
	s_mul_i32 s62, s50, s61
	s_mul_hi_u32 s18, s50, s60
	s_mul_i32 s41, s51, s60
	s_wait_alu 0xfffe
	s_add_nc_u64 s[62:63], s[18:19], s[62:63]
	s_mul_hi_u32 s2, s51, s60
	s_mul_hi_u32 s43, s51, s61
	s_add_co_u32 s18, s62, s41
	s_wait_alu 0xfffe
	s_add_co_ci_u32 s18, s63, s2
	s_mul_i32 s60, s51, s61
	s_add_co_ci_u32 s61, s43, 0
	s_wait_alu 0xfffe
	s_add_nc_u64 s[60:61], s[18:19], s[60:61]
	s_delay_alu instid0(SALU_CYCLE_1)
	s_add_co_u32 s50, s50, s60
	s_cselect_b32 s2, -1, 0
	s_wait_alu 0xfffe
	s_cmp_lg_u32 s2, 0
	s_add_co_ci_u32 s51, s51, s61
	s_wait_alu 0xfffe
	s_mul_u64 s[58:59], s[58:59], s[50:51]
	s_delay_alu instid0(SALU_CYCLE_1)
	s_mul_hi_u32 s61, s50, s59
	s_mul_i32 s60, s50, s59
	s_mul_hi_u32 s18, s50, s58
	s_mul_i32 s41, s51, s58
	s_wait_alu 0xfffe
	s_add_nc_u64 s[60:61], s[18:19], s[60:61]
	s_mul_hi_u32 s2, s51, s58
	s_mul_hi_u32 s43, s51, s59
	s_add_co_u32 s18, s60, s41
	s_wait_alu 0xfffe
	s_add_co_ci_u32 s18, s61, s2
	s_mul_i32 s58, s51, s59
	s_add_co_ci_u32 s59, s43, 0
	s_wait_alu 0xfffe
	s_add_nc_u64 s[58:59], s[18:19], s[58:59]
	s_delay_alu instid0(SALU_CYCLE_1)
	s_add_co_u32 s2, s50, s58
	s_cselect_b32 s18, -1, 0
	s_wait_alu 0xfffe
	v_mul_hi_u32 v9, v5, s2
	s_cmp_lg_u32 s18, 0
	v_mad_co_u64_u32 v[21:22], null, v7, s2, 0
	s_add_co_ci_u32 s18, s51, s59
	s_wait_alu 0xfffe
	v_mad_co_u64_u32 v[19:20], null, v5, s18, 0
	v_mad_co_u64_u32 v[28:29], null, v7, s18, 0
	s_delay_alu instid0(VALU_DEP_2) | instskip(SKIP_1) | instid1(VALU_DEP_3)
	v_add_co_u32 v9, vcc_lo, v9, v19
	s_wait_alu 0xfffd
	v_add_co_ci_u32_e64 v11, null, 0, v20, vcc_lo
	s_delay_alu instid0(VALU_DEP_2) | instskip(SKIP_1) | instid1(VALU_DEP_2)
	v_add_co_u32 v9, vcc_lo, v9, v21
	s_wait_alu 0xfffd
	v_add_co_ci_u32_e32 v9, vcc_lo, v11, v22, vcc_lo
	s_wait_alu 0xfffd
	v_add_co_ci_u32_e32 v11, vcc_lo, 0, v29, vcc_lo
	s_delay_alu instid0(VALU_DEP_2) | instskip(SKIP_1) | instid1(VALU_DEP_2)
	v_add_co_u32 v9, vcc_lo, v9, v28
	s_wait_alu 0xfffd
	v_add_co_ci_u32_e64 v11, null, 0, v11, vcc_lo
	s_delay_alu instid0(VALU_DEP_2) | instskip(SKIP_1) | instid1(VALU_DEP_3)
	v_mul_lo_u32 v13, s47, v9
	v_mad_co_u64_u32 v[19:20], null, s46, v9, 0
	v_mul_lo_u32 v15, s46, v11
	v_add_co_u32 v17, s2, v9, 2
	s_delay_alu instid0(VALU_DEP_3) | instskip(NEXT) | instid1(VALU_DEP_3)
	v_sub_co_u32 v5, vcc_lo, v5, v19
	v_add3_u32 v13, v20, v15, v13
	s_wait_alu 0xf1ff
	v_add_co_ci_u32_e64 v19, null, 0, v11, s2
	s_delay_alu instid0(VALU_DEP_3) | instskip(NEXT) | instid1(VALU_DEP_3)
	v_sub_co_u32 v20, s2, v5, s46
	v_sub_nc_u32_e32 v15, v7, v13
	s_wait_alu 0xfffd
	v_sub_co_ci_u32_e64 v7, null, v7, v13, vcc_lo
	s_delay_alu instid0(VALU_DEP_2) | instskip(SKIP_2) | instid1(VALU_DEP_2)
	v_subrev_co_ci_u32_e64 v15, null, s47, v15, vcc_lo
	v_cmp_le_u32_e32 vcc_lo, s46, v20
	s_wait_alu 0xf1ff
	v_subrev_co_ci_u32_e64 v15, null, 0, v15, s2
	s_wait_alu 0xfffd
	v_cndmask_b32_e64 v13, 0, -1, vcc_lo
	s_delay_alu instid0(VALU_DEP_2)
	v_cmp_le_u32_e32 vcc_lo, s47, v15
	s_wait_alu 0xfffd
	v_cndmask_b32_e64 v20, 0, -1, vcc_lo
	v_cmp_le_u32_e32 vcc_lo, s46, v5
	s_wait_alu 0xfffd
	v_cndmask_b32_e64 v5, 0, -1, vcc_lo
	;; [unrolled: 3-line block ×3, first 2 shown]
	v_cmp_eq_u32_e32 vcc_lo, s47, v15
	s_wait_alu 0xfffd
	v_cndmask_b32_e32 v13, v20, v13, vcc_lo
	v_add_co_u32 v15, vcc_lo, v9, 1
	s_wait_alu 0xfffd
	v_add_co_ci_u32_e64 v20, null, 0, v11, vcc_lo
	v_cmp_eq_u32_e32 vcc_lo, s47, v7
	s_wait_alu 0xfffd
	v_cndmask_b32_e32 v5, v21, v5, vcc_lo
	v_cmp_ne_u32_e32 vcc_lo, 0, v13
	s_delay_alu instid0(VALU_DEP_2) | instskip(SKIP_4) | instid1(VALU_DEP_2)
	v_cmp_ne_u32_e64 s2, 0, v5
	s_wait_alu 0xfffd
	v_cndmask_b32_e32 v5, v15, v17, vcc_lo
	v_cndmask_b32_e32 v7, v20, v19, vcc_lo
	s_wait_alu 0xf1ff
	v_cndmask_b32_e64 v5, v9, v5, s2
	s_delay_alu instid0(VALU_DEP_2) | instskip(NEXT) | instid1(VALU_DEP_2)
	v_cndmask_b32_e64 v7, v11, v7, s2
	v_xor_b32_e32 v5, v5, v3
	s_delay_alu instid0(VALU_DEP_2) | instskip(NEXT) | instid1(VALU_DEP_2)
	v_xor_b32_e32 v7, v7, v3
	v_sub_co_u32 v20, vcc_lo, v5, v3
	s_wait_alu 0xfffd
	s_delay_alu instid0(VALU_DEP_2)
	v_sub_co_ci_u32_e64 v21, null, v7, v3, vcc_lo
.LBB60_48:                              ;   in Loop: Header=BB60_22 Depth=2
	s_wait_alu 0xfffe
	s_and_not1_saveexec_b32 s2, s27
	s_cbranch_execz .LBB60_50
; %bb.49:                               ;   in Loop: Header=BB60_22 Depth=2
	v_cvt_f32_u32_e32 v3, s42
	s_sub_co_i32 s18, 0, s42
	v_mov_b32_e32 v21, v2
	s_delay_alu instid0(VALU_DEP_2) | instskip(NEXT) | instid1(TRANS32_DEP_1)
	v_rcp_iflag_f32_e32 v3, v3
	v_mul_f32_e32 v3, 0x4f7ffffe, v3
	s_delay_alu instid0(VALU_DEP_1) | instskip(SKIP_1) | instid1(VALU_DEP_1)
	v_cvt_u32_f32_e32 v3, v3
	s_wait_alu 0xfffe
	v_mul_lo_u32 v5, s18, v3
	s_delay_alu instid0(VALU_DEP_1) | instskip(NEXT) | instid1(VALU_DEP_1)
	v_mul_hi_u32 v5, v3, v5
	v_add_nc_u32_e32 v3, v3, v5
	s_delay_alu instid0(VALU_DEP_1) | instskip(NEXT) | instid1(VALU_DEP_1)
	v_mul_hi_u32 v3, v18, v3
	v_mul_lo_u32 v5, v3, s42
	v_add_nc_u32_e32 v7, 1, v3
	s_delay_alu instid0(VALU_DEP_2) | instskip(NEXT) | instid1(VALU_DEP_1)
	v_sub_nc_u32_e32 v5, v18, v5
	v_cmp_le_u32_e32 vcc_lo, s42, v5
	v_subrev_nc_u32_e32 v9, s42, v5
	s_wait_alu 0xfffd
	v_cndmask_b32_e32 v3, v3, v7, vcc_lo
	s_delay_alu instid0(VALU_DEP_1) | instskip(NEXT) | instid1(VALU_DEP_3)
	v_add_nc_u32_e32 v7, 1, v3
	v_cndmask_b32_e32 v5, v5, v9, vcc_lo
	s_delay_alu instid0(VALU_DEP_1) | instskip(SKIP_1) | instid1(VALU_DEP_3)
	v_cmp_le_u32_e32 vcc_lo, s42, v5
	s_wait_alu 0xfffd
	v_cndmask_b32_e32 v20, v3, v7, vcc_lo
.LBB60_50:                              ;   in Loop: Header=BB60_22 Depth=2
	s_wait_alu 0xfffe
	s_or_b32 exec_lo, exec_lo, s2
	s_mov_b32 s27, s19
	s_add_nc_u64 s[48:49], s[0:1], s[48:49]
	s_wait_alu 0xfffe
	s_lshl_b64 s[46:47], s[26:27], 2
                                        ; implicit-def: $vgpr22_vgpr23
	s_mov_b32 s2, exec_lo
	s_wait_alu 0xfffe
	s_add_nc_u64 s[44:45], s[10:11], s[46:47]
	s_clause 0x1
	s_load_b32 s27, s[48:49], 0x6c
	s_load_b32 s44, s[44:45], 0x8
	s_wait_kmcnt 0x0
	s_ashr_i32 s45, s44, 31
	s_wait_alu 0xfffe
	v_or_b32_e32 v3, s45, v21
	s_delay_alu instid0(VALU_DEP_1)
	v_cmpx_ne_u64_e32 0, v[2:3]
	s_xor_b32 s41, exec_lo, s2
	s_cbranch_execz .LBB60_52
; %bb.51:                               ;   in Loop: Header=BB60_22 Depth=2
	s_ashr_i32 s48, s45, 31
	v_ashrrev_i32_e32 v3, 31, v21
	s_wait_alu 0xfffe
	s_mov_b32 s49, s48
	s_wait_alu 0xfffe
	s_add_nc_u64 s[50:51], s[44:45], s[48:49]
	v_add_co_u32 v5, vcc_lo, v20, v3
	s_wait_alu 0xfffe
	s_xor_b64 s[50:51], s[50:51], s[48:49]
	s_wait_alu 0xfffd
	v_add_co_ci_u32_e64 v7, null, v21, v3, vcc_lo
	s_wait_alu 0xfffe
	s_cvt_f32_u32 s2, s50
	s_cvt_f32_u32 s18, s51
	s_sub_nc_u64 s[60:61], 0, s[50:51]
	v_xor_b32_e32 v5, v5, v3
	v_xor_b32_e32 v7, v7, v3
	s_wait_alu 0xfffe
	s_fmamk_f32 s2, s18, 0x4f800000, s2
	v_xor_b32_e32 v3, s48, v3
	s_wait_alu 0xfffe
	s_delay_alu instid0(SALU_CYCLE_1) | instskip(NEXT) | instid1(TRANS32_DEP_1)
	v_s_rcp_f32 s2, s2
	s_mul_f32 s2, s2, 0x5f7ffffc
	s_wait_alu 0xfffe
	s_delay_alu instid0(SALU_CYCLE_2) | instskip(SKIP_1) | instid1(SALU_CYCLE_2)
	s_mul_f32 s18, s2, 0x2f800000
	s_wait_alu 0xfffe
	s_trunc_f32 s18, s18
	s_wait_alu 0xfffe
	s_delay_alu instid0(SALU_CYCLE_2) | instskip(SKIP_2) | instid1(SALU_CYCLE_1)
	s_fmamk_f32 s2, s18, 0xcf800000, s2
	s_cvt_u32_f32 s59, s18
	s_wait_alu 0xfffe
	s_cvt_u32_f32 s58, s2
	s_delay_alu instid0(SALU_CYCLE_3) | instskip(NEXT) | instid1(SALU_CYCLE_1)
	s_mul_u64 s[62:63], s[60:61], s[58:59]
	s_mul_hi_u32 s65, s58, s63
	s_mul_i32 s64, s58, s63
	s_mul_hi_u32 s18, s58, s62
	s_mul_i32 s43, s59, s62
	s_wait_alu 0xfffe
	s_add_nc_u64 s[64:65], s[18:19], s[64:65]
	s_mul_hi_u32 s2, s59, s62
	s_mul_hi_u32 s45, s59, s63
	s_add_co_u32 s18, s64, s43
	s_wait_alu 0xfffe
	s_add_co_ci_u32 s18, s65, s2
	s_mul_i32 s62, s59, s63
	s_add_co_ci_u32 s63, s45, 0
	s_wait_alu 0xfffe
	s_add_nc_u64 s[62:63], s[18:19], s[62:63]
	s_delay_alu instid0(SALU_CYCLE_1) | instskip(SKIP_4) | instid1(SALU_CYCLE_1)
	s_add_co_u32 s58, s58, s62
	s_cselect_b32 s2, -1, 0
	s_wait_alu 0xfffe
	s_cmp_lg_u32 s2, 0
	s_add_co_ci_u32 s59, s59, s63
	s_mul_u64 s[60:61], s[60:61], s[58:59]
	s_delay_alu instid0(SALU_CYCLE_1)
	s_mul_hi_u32 s63, s58, s61
	s_mul_i32 s62, s58, s61
	s_mul_hi_u32 s18, s58, s60
	s_mul_i32 s43, s59, s60
	s_wait_alu 0xfffe
	s_add_nc_u64 s[62:63], s[18:19], s[62:63]
	s_mul_hi_u32 s2, s59, s60
	s_mul_hi_u32 s45, s59, s61
	s_add_co_u32 s18, s62, s43
	s_wait_alu 0xfffe
	s_add_co_ci_u32 s18, s63, s2
	s_mul_i32 s60, s59, s61
	s_add_co_ci_u32 s61, s45, 0
	s_wait_alu 0xfffe
	s_add_nc_u64 s[60:61], s[18:19], s[60:61]
	s_delay_alu instid0(SALU_CYCLE_1)
	s_add_co_u32 s2, s58, s60
	s_cselect_b32 s18, -1, 0
	s_wait_alu 0xfffe
	v_mul_hi_u32 v9, v5, s2
	s_cmp_lg_u32 s18, 0
	v_mad_co_u64_u32 v[28:29], null, v7, s2, 0
	s_add_co_ci_u32 s18, s59, s61
	s_wait_alu 0xfffe
	v_mad_co_u64_u32 v[21:22], null, v5, s18, 0
	v_mad_co_u64_u32 v[30:31], null, v7, s18, 0
	s_delay_alu instid0(VALU_DEP_2) | instskip(SKIP_1) | instid1(VALU_DEP_3)
	v_add_co_u32 v9, vcc_lo, v9, v21
	s_wait_alu 0xfffd
	v_add_co_ci_u32_e64 v11, null, 0, v22, vcc_lo
	s_delay_alu instid0(VALU_DEP_2) | instskip(SKIP_1) | instid1(VALU_DEP_2)
	v_add_co_u32 v9, vcc_lo, v9, v28
	s_wait_alu 0xfffd
	v_add_co_ci_u32_e32 v9, vcc_lo, v11, v29, vcc_lo
	s_wait_alu 0xfffd
	v_add_co_ci_u32_e32 v11, vcc_lo, 0, v31, vcc_lo
	s_delay_alu instid0(VALU_DEP_2) | instskip(SKIP_1) | instid1(VALU_DEP_2)
	v_add_co_u32 v9, vcc_lo, v9, v30
	s_wait_alu 0xfffd
	v_add_co_ci_u32_e64 v11, null, 0, v11, vcc_lo
	s_delay_alu instid0(VALU_DEP_2) | instskip(SKIP_1) | instid1(VALU_DEP_3)
	v_mul_lo_u32 v13, s51, v9
	v_mad_co_u64_u32 v[21:22], null, s50, v9, 0
	v_mul_lo_u32 v15, s50, v11
	v_add_co_u32 v17, s2, v9, 2
	s_wait_alu 0xf1ff
	v_add_co_ci_u32_e64 v19, null, 0, v11, s2
	s_delay_alu instid0(VALU_DEP_4) | instskip(NEXT) | instid1(VALU_DEP_4)
	v_sub_co_u32 v5, vcc_lo, v5, v21
	v_add3_u32 v13, v22, v15, v13
	s_delay_alu instid0(VALU_DEP_2) | instskip(NEXT) | instid1(VALU_DEP_2)
	v_sub_co_u32 v21, s2, v5, s50
	v_sub_nc_u32_e32 v15, v7, v13
	s_wait_alu 0xfffd
	v_sub_co_ci_u32_e64 v7, null, v7, v13, vcc_lo
	s_delay_alu instid0(VALU_DEP_2) | instskip(SKIP_2) | instid1(VALU_DEP_2)
	v_subrev_co_ci_u32_e64 v15, null, s51, v15, vcc_lo
	v_cmp_le_u32_e32 vcc_lo, s50, v21
	s_wait_alu 0xf1ff
	v_subrev_co_ci_u32_e64 v15, null, 0, v15, s2
	s_wait_alu 0xfffd
	v_cndmask_b32_e64 v13, 0, -1, vcc_lo
	s_delay_alu instid0(VALU_DEP_2)
	v_cmp_le_u32_e32 vcc_lo, s51, v15
	s_wait_alu 0xfffd
	v_cndmask_b32_e64 v21, 0, -1, vcc_lo
	v_cmp_le_u32_e32 vcc_lo, s50, v5
	s_wait_alu 0xfffd
	v_cndmask_b32_e64 v5, 0, -1, vcc_lo
	;; [unrolled: 3-line block ×3, first 2 shown]
	v_cmp_eq_u32_e32 vcc_lo, s51, v15
	s_wait_alu 0xfffd
	v_cndmask_b32_e32 v13, v21, v13, vcc_lo
	v_add_co_u32 v15, vcc_lo, v9, 1
	s_wait_alu 0xfffd
	v_add_co_ci_u32_e64 v21, null, 0, v11, vcc_lo
	v_cmp_eq_u32_e32 vcc_lo, s51, v7
	s_wait_alu 0xfffd
	v_cndmask_b32_e32 v5, v22, v5, vcc_lo
	v_cmp_ne_u32_e32 vcc_lo, 0, v13
	s_delay_alu instid0(VALU_DEP_2) | instskip(SKIP_4) | instid1(VALU_DEP_2)
	v_cmp_ne_u32_e64 s2, 0, v5
	s_wait_alu 0xfffd
	v_cndmask_b32_e32 v5, v15, v17, vcc_lo
	v_cndmask_b32_e32 v7, v21, v19, vcc_lo
	s_wait_alu 0xf1ff
	v_cndmask_b32_e64 v5, v9, v5, s2
	s_delay_alu instid0(VALU_DEP_2) | instskip(NEXT) | instid1(VALU_DEP_2)
	v_cndmask_b32_e64 v7, v11, v7, s2
	v_xor_b32_e32 v5, v5, v3
	s_delay_alu instid0(VALU_DEP_2) | instskip(NEXT) | instid1(VALU_DEP_2)
	v_xor_b32_e32 v7, v7, v3
	v_sub_co_u32 v22, vcc_lo, v5, v3
	s_wait_alu 0xfffd
	s_delay_alu instid0(VALU_DEP_2)
	v_sub_co_ci_u32_e64 v23, null, v7, v3, vcc_lo
.LBB60_52:                              ;   in Loop: Header=BB60_22 Depth=2
	s_wait_alu 0xfffe
	s_and_not1_saveexec_b32 s2, s41
	s_cbranch_execz .LBB60_54
; %bb.53:                               ;   in Loop: Header=BB60_22 Depth=2
	v_cvt_f32_u32_e32 v3, s44
	s_sub_co_i32 s18, 0, s44
	v_mov_b32_e32 v23, v2
	s_delay_alu instid0(VALU_DEP_2) | instskip(NEXT) | instid1(TRANS32_DEP_1)
	v_rcp_iflag_f32_e32 v3, v3
	v_mul_f32_e32 v3, 0x4f7ffffe, v3
	s_delay_alu instid0(VALU_DEP_1) | instskip(SKIP_1) | instid1(VALU_DEP_1)
	v_cvt_u32_f32_e32 v3, v3
	s_wait_alu 0xfffe
	v_mul_lo_u32 v5, s18, v3
	s_delay_alu instid0(VALU_DEP_1) | instskip(NEXT) | instid1(VALU_DEP_1)
	v_mul_hi_u32 v5, v3, v5
	v_add_nc_u32_e32 v3, v3, v5
	s_delay_alu instid0(VALU_DEP_1) | instskip(NEXT) | instid1(VALU_DEP_1)
	v_mul_hi_u32 v3, v20, v3
	v_mul_lo_u32 v5, v3, s44
	v_add_nc_u32_e32 v7, 1, v3
	s_delay_alu instid0(VALU_DEP_2) | instskip(NEXT) | instid1(VALU_DEP_1)
	v_sub_nc_u32_e32 v5, v20, v5
	v_cmp_le_u32_e32 vcc_lo, s44, v5
	v_subrev_nc_u32_e32 v9, s44, v5
	s_wait_alu 0xfffd
	v_cndmask_b32_e32 v3, v3, v7, vcc_lo
	s_delay_alu instid0(VALU_DEP_1) | instskip(NEXT) | instid1(VALU_DEP_3)
	v_add_nc_u32_e32 v7, 1, v3
	v_cndmask_b32_e32 v5, v5, v9, vcc_lo
	s_delay_alu instid0(VALU_DEP_1) | instskip(SKIP_1) | instid1(VALU_DEP_3)
	v_cmp_le_u32_e32 vcc_lo, s44, v5
	s_wait_alu 0xfffd
	v_cndmask_b32_e32 v22, v3, v7, vcc_lo
.LBB60_54:                              ;   in Loop: Header=BB60_22 Depth=2
	s_wait_alu 0xfffe
	s_or_b32 exec_lo, exec_lo, s2
	v_mul_lo_u32 v3, v8, s28
	v_mul_lo_u32 v5, v10, s30
	;; [unrolled: 1-line block ×5, first 2 shown]
	s_add_nc_u64 s[40:41], s[0:1], s[46:47]
	v_mul_lo_u32 v11, v16, s38
	s_load_b32 s2, s[40:41], 0x6c
	v_sub_nc_u32_e32 v3, v6, v3
	v_sub_nc_u32_e32 v5, v8, v5
	;; [unrolled: 1-line block ×4, first 2 shown]
	v_mul_lo_u32 v8, v20, s42
	v_mul_lo_u32 v3, s25, v3
	;; [unrolled: 1-line block ×4, first 2 shown]
	v_sub_nc_u32_e32 v10, v14, v11
	v_sub_nc_u32_e32 v11, v16, v13
	v_mul_lo_u32 v6, s31, v6
	v_mul_lo_u32 v7, s35, v7
	s_add_co_i32 s26, s26, -8
	v_mul_lo_u32 v10, s37, v10
	v_add3_u32 v3, v3, v4, v5
	v_sub_nc_u32_e32 v4, v18, v8
	v_sub_nc_u32_e32 v5, v20, v9
	v_mul_lo_u32 v8, s39, v11
	s_wait_alu 0xfffe
	s_cmp_eq_u32 s26, -8
	v_add3_u32 v3, v6, v3, v7
	v_mul_lo_u32 v4, s27, v4
	s_wait_kmcnt 0x0
	v_mul_lo_u32 v5, s2, v5
	s_delay_alu instid0(VALU_DEP_3) | instskip(NEXT) | instid1(VALU_DEP_1)
	v_add3_u32 v3, v10, v3, v8
	v_add3_u32 v4, v4, v3, v5
	s_cbranch_scc1 .LBB60_56
; %bb.55:                               ;   in Loop: Header=BB60_22 Depth=2
	v_dual_mov_b32 v6, v22 :: v_dual_mov_b32 v7, v23
	s_branch .LBB60_22
.LBB60_56:                              ;   in Loop: Header=BB60_3 Depth=1
	s_load_b32 s2, s[12:13], 0x4
	s_wait_kmcnt 0x0
	v_cmp_gt_i32_e32 vcc_lo, s2, v27
	s_and_b32 exec_lo, exec_lo, vcc_lo
	s_cbranch_execz .LBB60_2
; %bb.57:                               ;   in Loop: Header=BB60_3 Depth=1
	v_ashrrev_i32_e32 v5, 31, v4
	v_add_nc_u32_e32 v3, 1, v27
	s_delay_alu instid0(VALU_DEP_2) | instskip(NEXT) | instid1(VALU_DEP_1)
	v_lshlrev_b64_e32 v[5:6], 2, v[4:5]
	v_add_co_u32 v5, vcc_lo, s16, v5
	s_wait_alu 0xfffd
	s_delay_alu instid0(VALU_DEP_2)
	v_add_co_ci_u32_e64 v6, null, s17, v6, vcc_lo
	v_cmp_gt_i32_e32 vcc_lo, s2, v3
	global_store_b32 v[5:6], v2, off
	s_and_b32 exec_lo, exec_lo, vcc_lo
	s_cbranch_execz .LBB60_2
; %bb.58:                               ;   in Loop: Header=BB60_3 Depth=1
	v_sub_nc_u32_e32 v5, v3, v26
	s_delay_alu instid0(VALU_DEP_1) | instskip(NEXT) | instid1(VALU_DEP_1)
	v_ashrrev_i32_e32 v6, 31, v5
	v_cmp_gt_i64_e32 vcc_lo, s[4:5], v[5:6]
	s_and_b32 exec_lo, exec_lo, vcc_lo
	s_cbranch_execz .LBB60_2
; %bb.59:                               ;   in Loop: Header=BB60_3 Depth=1
	v_add_nc_u32_e32 v3, s3, v4
	s_delay_alu instid0(VALU_DEP_1) | instskip(NEXT) | instid1(VALU_DEP_1)
	v_ashrrev_i32_e32 v4, 31, v3
	v_lshlrev_b64_e32 v[3:4], 2, v[3:4]
	s_delay_alu instid0(VALU_DEP_1) | instskip(SKIP_1) | instid1(VALU_DEP_2)
	v_add_co_u32 v3, vcc_lo, s16, v3
	s_wait_alu 0xfffd
	v_add_co_ci_u32_e64 v4, null, s17, v4, vcc_lo
	global_store_b32 v[3:4], v2, off
	s_branch .LBB60_2
.LBB60_60:
	s_endpgm
	.section	.rodata,"a",@progbits
	.p2align	6, 0x0
	.amdhsa_kernel _ZN2at6native16triu_tril_kernelIiiLb1ELi2ELb1EEEvNS_4cuda6detail10TensorInfoIT_T0_EENS4_IKS5_S6_EEllS6_
		.amdhsa_group_segment_fixed_size 0
		.amdhsa_private_segment_fixed_size 0
		.amdhsa_kernarg_size 712
		.amdhsa_user_sgpr_count 2
		.amdhsa_user_sgpr_dispatch_ptr 0
		.amdhsa_user_sgpr_queue_ptr 0
		.amdhsa_user_sgpr_kernarg_segment_ptr 1
		.amdhsa_user_sgpr_dispatch_id 0
		.amdhsa_user_sgpr_private_segment_size 0
		.amdhsa_wavefront_size32 1
		.amdhsa_uses_dynamic_stack 0
		.amdhsa_enable_private_segment 0
		.amdhsa_system_sgpr_workgroup_id_x 1
		.amdhsa_system_sgpr_workgroup_id_y 0
		.amdhsa_system_sgpr_workgroup_id_z 0
		.amdhsa_system_sgpr_workgroup_info 0
		.amdhsa_system_vgpr_workitem_id 0
		.amdhsa_next_free_vgpr 32
		.amdhsa_next_free_sgpr 66
		.amdhsa_reserve_vcc 1
		.amdhsa_float_round_mode_32 0
		.amdhsa_float_round_mode_16_64 0
		.amdhsa_float_denorm_mode_32 3
		.amdhsa_float_denorm_mode_16_64 3
		.amdhsa_fp16_overflow 0
		.amdhsa_workgroup_processor_mode 1
		.amdhsa_memory_ordered 1
		.amdhsa_forward_progress 1
		.amdhsa_inst_pref_size 95
		.amdhsa_round_robin_scheduling 0
		.amdhsa_exception_fp_ieee_invalid_op 0
		.amdhsa_exception_fp_denorm_src 0
		.amdhsa_exception_fp_ieee_div_zero 0
		.amdhsa_exception_fp_ieee_overflow 0
		.amdhsa_exception_fp_ieee_underflow 0
		.amdhsa_exception_fp_ieee_inexact 0
		.amdhsa_exception_int_div_zero 0
	.end_amdhsa_kernel
	.section	.text._ZN2at6native16triu_tril_kernelIiiLb1ELi2ELb1EEEvNS_4cuda6detail10TensorInfoIT_T0_EENS4_IKS5_S6_EEllS6_,"axG",@progbits,_ZN2at6native16triu_tril_kernelIiiLb1ELi2ELb1EEEvNS_4cuda6detail10TensorInfoIT_T0_EENS4_IKS5_S6_EEllS6_,comdat
.Lfunc_end60:
	.size	_ZN2at6native16triu_tril_kernelIiiLb1ELi2ELb1EEEvNS_4cuda6detail10TensorInfoIT_T0_EENS4_IKS5_S6_EEllS6_, .Lfunc_end60-_ZN2at6native16triu_tril_kernelIiiLb1ELi2ELb1EEEvNS_4cuda6detail10TensorInfoIT_T0_EENS4_IKS5_S6_EEllS6_
                                        ; -- End function
	.set _ZN2at6native16triu_tril_kernelIiiLb1ELi2ELb1EEEvNS_4cuda6detail10TensorInfoIT_T0_EENS4_IKS5_S6_EEllS6_.num_vgpr, 32
	.set _ZN2at6native16triu_tril_kernelIiiLb1ELi2ELb1EEEvNS_4cuda6detail10TensorInfoIT_T0_EENS4_IKS5_S6_EEllS6_.num_agpr, 0
	.set _ZN2at6native16triu_tril_kernelIiiLb1ELi2ELb1EEEvNS_4cuda6detail10TensorInfoIT_T0_EENS4_IKS5_S6_EEllS6_.numbered_sgpr, 66
	.set _ZN2at6native16triu_tril_kernelIiiLb1ELi2ELb1EEEvNS_4cuda6detail10TensorInfoIT_T0_EENS4_IKS5_S6_EEllS6_.num_named_barrier, 0
	.set _ZN2at6native16triu_tril_kernelIiiLb1ELi2ELb1EEEvNS_4cuda6detail10TensorInfoIT_T0_EENS4_IKS5_S6_EEllS6_.private_seg_size, 0
	.set _ZN2at6native16triu_tril_kernelIiiLb1ELi2ELb1EEEvNS_4cuda6detail10TensorInfoIT_T0_EENS4_IKS5_S6_EEllS6_.uses_vcc, 1
	.set _ZN2at6native16triu_tril_kernelIiiLb1ELi2ELb1EEEvNS_4cuda6detail10TensorInfoIT_T0_EENS4_IKS5_S6_EEllS6_.uses_flat_scratch, 0
	.set _ZN2at6native16triu_tril_kernelIiiLb1ELi2ELb1EEEvNS_4cuda6detail10TensorInfoIT_T0_EENS4_IKS5_S6_EEllS6_.has_dyn_sized_stack, 0
	.set _ZN2at6native16triu_tril_kernelIiiLb1ELi2ELb1EEEvNS_4cuda6detail10TensorInfoIT_T0_EENS4_IKS5_S6_EEllS6_.has_recursion, 0
	.set _ZN2at6native16triu_tril_kernelIiiLb1ELi2ELb1EEEvNS_4cuda6detail10TensorInfoIT_T0_EENS4_IKS5_S6_EEllS6_.has_indirect_call, 0
	.section	.AMDGPU.csdata,"",@progbits
; Kernel info:
; codeLenInByte = 12148
; TotalNumSgprs: 68
; NumVgprs: 32
; ScratchSize: 0
; MemoryBound: 0
; FloatMode: 240
; IeeeMode: 1
; LDSByteSize: 0 bytes/workgroup (compile time only)
; SGPRBlocks: 0
; VGPRBlocks: 3
; NumSGPRsForWavesPerEU: 68
; NumVGPRsForWavesPerEU: 32
; Occupancy: 16
; WaveLimiterHint : 0
; COMPUTE_PGM_RSRC2:SCRATCH_EN: 0
; COMPUTE_PGM_RSRC2:USER_SGPR: 2
; COMPUTE_PGM_RSRC2:TRAP_HANDLER: 0
; COMPUTE_PGM_RSRC2:TGID_X_EN: 1
; COMPUTE_PGM_RSRC2:TGID_Y_EN: 0
; COMPUTE_PGM_RSRC2:TGID_Z_EN: 0
; COMPUTE_PGM_RSRC2:TIDIG_COMP_CNT: 0
	.section	.text._ZN2at6native16triu_tril_kernelIiiLb1ELi2ELb0EEEvNS_4cuda6detail10TensorInfoIT_T0_EENS4_IKS5_S6_EEllS6_,"axG",@progbits,_ZN2at6native16triu_tril_kernelIiiLb1ELi2ELb0EEEvNS_4cuda6detail10TensorInfoIT_T0_EENS4_IKS5_S6_EEllS6_,comdat
	.protected	_ZN2at6native16triu_tril_kernelIiiLb1ELi2ELb0EEEvNS_4cuda6detail10TensorInfoIT_T0_EENS4_IKS5_S6_EEllS6_ ; -- Begin function _ZN2at6native16triu_tril_kernelIiiLb1ELi2ELb0EEEvNS_4cuda6detail10TensorInfoIT_T0_EENS4_IKS5_S6_EEllS6_
	.globl	_ZN2at6native16triu_tril_kernelIiiLb1ELi2ELb0EEEvNS_4cuda6detail10TensorInfoIT_T0_EENS4_IKS5_S6_EEllS6_
	.p2align	8
	.type	_ZN2at6native16triu_tril_kernelIiiLb1ELi2ELb0EEEvNS_4cuda6detail10TensorInfoIT_T0_EENS4_IKS5_S6_EEllS6_,@function
_ZN2at6native16triu_tril_kernelIiiLb1ELi2ELb0EEEvNS_4cuda6detail10TensorInfoIT_T0_EENS4_IKS5_S6_EEllS6_: ; @_ZN2at6native16triu_tril_kernelIiiLb1ELi2ELb0EEEvNS_4cuda6detail10TensorInfoIT_T0_EENS4_IKS5_S6_EEllS6_
; %bb.0:
	s_clause 0x1
	s_load_b32 s2, s[0:1], 0x1d4
	s_load_b128 s[4:7], s[0:1], 0x1b0
	v_mov_b32_e32 v2, 0
	s_delay_alu instid0(VALU_DEP_1) | instskip(SKIP_3) | instid1(VALU_DEP_1)
	v_mov_b32_e32 v1, v2
	s_wait_kmcnt 0x0
	s_and_b32 s21, s2, 0xffff
	s_mov_b32 s2, exec_lo
	v_mad_co_u64_u32 v[0:1], null, s21, ttmp9, v[0:1]
	s_delay_alu instid0(VALU_DEP_1) | instskip(NEXT) | instid1(VALU_DEP_1)
	v_lshlrev_b64_e32 v[0:1], 1, v[0:1]
	v_cmpx_gt_i64_e64 s[6:7], v[0:1]
	s_cbranch_execz .LBB61_47
; %bb.1:
	s_clause 0x2
	s_load_b32 s24, s[0:1], 0x1a8
	s_load_b32 s8, s[0:1], 0x1c0
	s_load_b64 s[10:11], s[0:1], 0xd8
	s_add_nc_u64 s[12:13], s[0:1], 0xd8
	s_add_nc_u64 s[14:15], s[0:1], 0x1c8
	s_load_b32 s26, s[14:15], 0x0
	s_load_b64 s[14:15], s[0:1], 0x0
	s_wait_kmcnt 0x0
	s_ashr_i32 s25, s24, 31
	v_cvt_f32_u32_e32 v3, s8
	s_lshl_b64 s[16:17], s[24:25], 2
	s_and_b32 s48, s24, 3
	s_add_nc_u64 s[18:19], s[12:13], s[16:17]
	s_add_nc_u64 s[22:23], s[0:1], s[16:17]
	s_load_b64 s[2:3], s[18:19], 0x0
	v_rcp_iflag_f32_e32 v3, v3
	s_clause 0x1
	s_load_b64 s[16:17], s[18:19], 0x64
	s_load_b64 s[18:19], s[22:23], 0x64
	s_mul_i32 s26, s26, s21
	s_ashr_i32 s9, s8, 31
	s_add_co_i32 s33, s24, -3
	s_lshl_b32 s50, s26, 1
	v_cmp_gt_i64_e64 s49, s[24:25], 2
	s_mov_b32 s23, 0
	v_mul_f32_e32 v3, 0x4f7ffffe, v3
	s_delay_alu instid0(VALU_DEP_1)
	v_cvt_u32_f32_e32 v18, v3
	s_wait_kmcnt 0x0
	s_mov_b32 s20, s2
	s_ashr_i32 s21, s2, 31
	s_wait_alu 0xfffe
	v_cvt_f32_u32_e32 v4, s20
	s_cmp_lg_u32 s48, 2
	s_mov_b32 s24, s17
	s_cselect_b32 s51, -1, 0
	s_cmp_gt_u32 s33, 2
	v_rcp_iflag_f32_e32 v4, v4
	s_cselect_b32 s52, -1, 0
	s_ashr_i32 s25, s17, 31
	s_ashr_i32 s27, s19, 31
	s_mov_b32 s26, s19
	s_ashr_i32 s28, s9, 31
	s_mov_b32 s17, 0
	s_delay_alu instid0(TRANS32_DEP_1) | instskip(NEXT) | instid1(VALU_DEP_1)
	v_mul_f32_e32 v3, 0x4f7ffffe, v4
	v_cvt_u32_f32_e32 v19, v3
	s_branch .LBB61_3
.LBB61_2:                               ;   in Loop: Header=BB61_3 Depth=1
	s_wait_alu 0xfffe
	s_or_b32 exec_lo, exec_lo, s2
	v_add_co_u32 v0, vcc_lo, v0, s50
	s_wait_alu 0xfffd
	v_add_co_ci_u32_e64 v1, null, 0, v1, vcc_lo
	s_delay_alu instid0(VALU_DEP_1)
	v_cmp_le_i64_e32 vcc_lo, s[6:7], v[0:1]
	s_or_b32 s17, vcc_lo, s17
	s_wait_alu 0xfffe
	s_and_not1_b32 exec_lo, exec_lo, s17
	s_cbranch_execz .LBB61_47
.LBB61_3:                               ; =>This Loop Header: Depth=1
                                        ;     Child Loop BB61_15 Depth 2
                                        ;     Child Loop BB61_20 Depth 2
	v_or_b32_e32 v3, s9, v1
                                        ; implicit-def: $vgpr4_vgpr5
	s_mov_b32 s2, exec_lo
	s_delay_alu instid0(VALU_DEP_1)
	v_cmpx_ne_u64_e32 0, v[2:3]
	s_wait_alu 0xfffe
	s_xor_b32 s19, exec_lo, s2
	s_cbranch_execz .LBB61_5
; %bb.4:                                ;   in Loop: Header=BB61_3 Depth=1
	s_mov_b32 s29, s28
	v_ashrrev_i32_e32 v9, 31, v1
	s_wait_alu 0xfffe
	s_add_nc_u64 s[30:31], s[8:9], s[28:29]
	s_wait_alu 0xfffe
	s_xor_b64 s[30:31], s[30:31], s[28:29]
	v_add_co_u32 v3, vcc_lo, v0, v9
	s_wait_alu 0xfffe
	s_cvt_f32_u32 s2, s30
	s_cvt_f32_u32 s22, s31
	s_sub_nc_u64 s[36:37], 0, s[30:31]
	s_wait_alu 0xfffd
	v_add_co_ci_u32_e64 v4, null, v1, v9, vcc_lo
	s_wait_alu 0xfffe
	s_fmamk_f32 s2, s22, 0x4f800000, s2
	v_xor_b32_e32 v10, v3, v9
	s_delay_alu instid0(VALU_DEP_2) | instskip(SKIP_2) | instid1(TRANS32_DEP_1)
	v_xor_b32_e32 v11, v4, v9
	s_wait_alu 0xfffe
	v_s_rcp_f32 s2, s2
	s_mul_f32 s2, s2, 0x5f7ffffc
	s_wait_alu 0xfffe
	s_delay_alu instid0(SALU_CYCLE_2) | instskip(SKIP_1) | instid1(SALU_CYCLE_2)
	s_mul_f32 s22, s2, 0x2f800000
	s_wait_alu 0xfffe
	s_trunc_f32 s22, s22
	s_wait_alu 0xfffe
	s_delay_alu instid0(SALU_CYCLE_2) | instskip(SKIP_2) | instid1(SALU_CYCLE_1)
	s_fmamk_f32 s2, s22, 0xcf800000, s2
	s_cvt_u32_f32 s35, s22
	s_wait_alu 0xfffe
	s_cvt_u32_f32 s34, s2
	s_wait_alu 0xfffe
	s_delay_alu instid0(SALU_CYCLE_2)
	s_mul_u64 s[38:39], s[36:37], s[34:35]
	s_wait_alu 0xfffe
	s_mul_hi_u32 s41, s34, s39
	s_mul_i32 s40, s34, s39
	s_mul_hi_u32 s22, s34, s38
	s_mul_i32 s29, s35, s38
	s_wait_alu 0xfffe
	s_add_nc_u64 s[40:41], s[22:23], s[40:41]
	s_mul_hi_u32 s2, s35, s38
	s_mul_hi_u32 s42, s35, s39
	s_wait_alu 0xfffe
	s_add_co_u32 s22, s40, s29
	s_add_co_ci_u32 s22, s41, s2
	s_mul_i32 s38, s35, s39
	s_add_co_ci_u32 s39, s42, 0
	s_wait_alu 0xfffe
	s_add_nc_u64 s[38:39], s[22:23], s[38:39]
	s_wait_alu 0xfffe
	s_add_co_u32 s34, s34, s38
	s_cselect_b32 s2, -1, 0
	s_wait_alu 0xfffe
	s_cmp_lg_u32 s2, 0
	s_add_co_ci_u32 s35, s35, s39
	s_wait_alu 0xfffe
	s_mul_u64 s[36:37], s[36:37], s[34:35]
	s_wait_alu 0xfffe
	s_mul_hi_u32 s39, s34, s37
	s_mul_i32 s38, s34, s37
	s_mul_hi_u32 s22, s34, s36
	s_mul_i32 s29, s35, s36
	s_wait_alu 0xfffe
	s_add_nc_u64 s[38:39], s[22:23], s[38:39]
	s_mul_hi_u32 s2, s35, s36
	s_mul_hi_u32 s40, s35, s37
	s_wait_alu 0xfffe
	s_add_co_u32 s22, s38, s29
	s_add_co_ci_u32 s22, s39, s2
	s_mul_i32 s36, s35, s37
	s_add_co_ci_u32 s37, s40, 0
	s_wait_alu 0xfffe
	s_add_nc_u64 s[36:37], s[22:23], s[36:37]
	s_wait_alu 0xfffe
	s_add_co_u32 s2, s34, s36
	s_cselect_b32 s22, -1, 0
	s_wait_alu 0xfffe
	v_mul_hi_u32 v12, v10, s2
	s_cmp_lg_u32 s22, 0
	v_mad_co_u64_u32 v[5:6], null, v11, s2, 0
	s_add_co_ci_u32 s22, s35, s37
	s_wait_alu 0xfffe
	v_mad_co_u64_u32 v[3:4], null, v10, s22, 0
	v_mad_co_u64_u32 v[7:8], null, v11, s22, 0
	s_delay_alu instid0(VALU_DEP_2) | instskip(SKIP_1) | instid1(VALU_DEP_3)
	v_add_co_u32 v3, vcc_lo, v12, v3
	s_wait_alu 0xfffd
	v_add_co_ci_u32_e64 v4, null, 0, v4, vcc_lo
	s_delay_alu instid0(VALU_DEP_2) | instskip(SKIP_1) | instid1(VALU_DEP_2)
	v_add_co_u32 v3, vcc_lo, v3, v5
	s_wait_alu 0xfffd
	v_add_co_ci_u32_e32 v3, vcc_lo, v4, v6, vcc_lo
	s_wait_alu 0xfffd
	v_add_co_ci_u32_e32 v4, vcc_lo, 0, v8, vcc_lo
	s_delay_alu instid0(VALU_DEP_2) | instskip(SKIP_1) | instid1(VALU_DEP_2)
	v_add_co_u32 v5, vcc_lo, v3, v7
	s_wait_alu 0xfffd
	v_add_co_ci_u32_e64 v6, null, 0, v4, vcc_lo
	s_delay_alu instid0(VALU_DEP_2) | instskip(SKIP_1) | instid1(VALU_DEP_3)
	v_mul_lo_u32 v7, s31, v5
	v_mad_co_u64_u32 v[3:4], null, s30, v5, 0
	v_mul_lo_u32 v8, s30, v6
	s_delay_alu instid0(VALU_DEP_2) | instskip(NEXT) | instid1(VALU_DEP_2)
	v_sub_co_u32 v3, vcc_lo, v10, v3
	v_add3_u32 v4, v4, v8, v7
	v_add_co_u32 v8, s2, v5, 2
	s_wait_alu 0xf1ff
	v_add_co_ci_u32_e64 v10, null, 0, v6, s2
	s_delay_alu instid0(VALU_DEP_3) | instskip(SKIP_3) | instid1(VALU_DEP_3)
	v_sub_nc_u32_e32 v7, v11, v4
	v_sub_co_u32 v12, s2, v3, s30
	s_wait_alu 0xfffd
	v_sub_co_ci_u32_e64 v4, null, v11, v4, vcc_lo
	v_subrev_co_ci_u32_e64 v7, null, s31, v7, vcc_lo
	s_delay_alu instid0(VALU_DEP_3) | instskip(SKIP_1) | instid1(VALU_DEP_2)
	v_cmp_le_u32_e32 vcc_lo, s30, v12
	s_wait_alu 0xf1ff
	v_subrev_co_ci_u32_e64 v7, null, 0, v7, s2
	s_wait_alu 0xfffd
	v_cndmask_b32_e64 v11, 0, -1, vcc_lo
	s_delay_alu instid0(VALU_DEP_2)
	v_cmp_le_u32_e32 vcc_lo, s31, v7
	s_wait_alu 0xfffd
	v_cndmask_b32_e64 v12, 0, -1, vcc_lo
	v_cmp_le_u32_e32 vcc_lo, s30, v3
	s_wait_alu 0xfffd
	v_cndmask_b32_e64 v3, 0, -1, vcc_lo
	;; [unrolled: 3-line block ×3, first 2 shown]
	v_cmp_eq_u32_e32 vcc_lo, s31, v7
	s_wait_alu 0xfffd
	v_cndmask_b32_e32 v7, v12, v11, vcc_lo
	v_add_co_u32 v11, vcc_lo, v5, 1
	s_wait_alu 0xfffd
	v_add_co_ci_u32_e64 v12, null, 0, v6, vcc_lo
	v_cmp_eq_u32_e32 vcc_lo, s31, v4
	s_wait_alu 0xfffd
	v_cndmask_b32_e32 v3, v13, v3, vcc_lo
	v_cmp_ne_u32_e32 vcc_lo, 0, v7
	v_xor_b32_e32 v7, s28, v9
	s_wait_alu 0xfffd
	v_cndmask_b32_e32 v4, v12, v10, vcc_lo
	v_cmp_ne_u32_e64 s2, 0, v3
	v_cndmask_b32_e32 v3, v11, v8, vcc_lo
	s_wait_alu 0xf1ff
	s_delay_alu instid0(VALU_DEP_2) | instskip(NEXT) | instid1(VALU_DEP_2)
	v_cndmask_b32_e64 v4, v6, v4, s2
	v_cndmask_b32_e64 v3, v5, v3, s2
	s_delay_alu instid0(VALU_DEP_2) | instskip(NEXT) | instid1(VALU_DEP_2)
	v_xor_b32_e32 v5, v4, v7
	v_xor_b32_e32 v3, v3, v7
	s_delay_alu instid0(VALU_DEP_1) | instskip(SKIP_1) | instid1(VALU_DEP_3)
	v_sub_co_u32 v4, vcc_lo, v3, v7
	s_wait_alu 0xfffd
	v_sub_co_ci_u32_e64 v5, null, v5, v7, vcc_lo
.LBB61_5:                               ;   in Loop: Header=BB61_3 Depth=1
	s_wait_alu 0xfffe
	s_and_not1_saveexec_b32 s2, s19
	s_cbranch_execz .LBB61_7
; %bb.6:                                ;   in Loop: Header=BB61_3 Depth=1
	s_sub_co_i32 s19, 0, s8
	s_wait_alu 0xfffe
	v_mul_lo_u32 v3, s19, v18
	s_delay_alu instid0(VALU_DEP_1) | instskip(NEXT) | instid1(VALU_DEP_1)
	v_mul_hi_u32 v3, v18, v3
	v_add_nc_u32_e32 v3, v18, v3
	s_delay_alu instid0(VALU_DEP_1) | instskip(NEXT) | instid1(VALU_DEP_1)
	v_mul_hi_u32 v3, v0, v3
	v_mul_lo_u32 v4, v3, s8
	v_add_nc_u32_e32 v5, 1, v3
	s_delay_alu instid0(VALU_DEP_2) | instskip(NEXT) | instid1(VALU_DEP_1)
	v_sub_nc_u32_e32 v4, v0, v4
	v_subrev_nc_u32_e32 v6, s8, v4
	v_cmp_le_u32_e32 vcc_lo, s8, v4
	s_wait_alu 0xfffd
	s_delay_alu instid0(VALU_DEP_2) | instskip(NEXT) | instid1(VALU_DEP_1)
	v_dual_cndmask_b32 v4, v4, v6 :: v_dual_cndmask_b32 v3, v3, v5
	v_cmp_le_u32_e32 vcc_lo, s8, v4
	s_delay_alu instid0(VALU_DEP_2) | instskip(SKIP_1) | instid1(VALU_DEP_1)
	v_add_nc_u32_e32 v5, 1, v3
	s_wait_alu 0xfffd
	v_dual_cndmask_b32 v4, v3, v5 :: v_dual_mov_b32 v5, v2
.LBB61_7:                               ;   in Loop: Header=BB61_3 Depth=1
	s_wait_alu 0xfffe
	s_or_b32 exec_lo, exec_lo, s2
	s_delay_alu instid0(VALU_DEP_1) | instskip(SKIP_1) | instid1(VALU_DEP_1)
	v_or_b32_e32 v3, s21, v5
                                        ; implicit-def: $vgpr8_vgpr9
	s_mov_b32 s2, exec_lo
	v_cmpx_ne_u64_e32 0, v[2:3]
	s_wait_alu 0xfffe
	s_xor_b32 s19, exec_lo, s2
	s_cbranch_execz .LBB61_9
; %bb.8:                                ;   in Loop: Header=BB61_3 Depth=1
	s_ashr_i32 s30, s21, 31
	v_ashrrev_i32_e32 v3, 31, v5
	s_wait_alu 0xfffe
	s_mov_b32 s31, s30
	s_wait_alu 0xfffe
	s_add_nc_u64 s[34:35], s[20:21], s[30:31]
	v_add_co_u32 v6, vcc_lo, v4, v3
	s_wait_alu 0xfffe
	s_xor_b64 s[34:35], s[34:35], s[30:31]
	s_wait_alu 0xfffd
	v_add_co_ci_u32_e64 v5, null, v5, v3, vcc_lo
	s_wait_alu 0xfffe
	s_cvt_f32_u32 s2, s34
	s_cvt_f32_u32 s22, s35
	s_sub_nc_u64 s[38:39], 0, s[34:35]
	v_xor_b32_e32 v11, v6, v3
	v_xor_b32_e32 v12, v5, v3
	s_wait_alu 0xfffe
	s_fmamk_f32 s2, s22, 0x4f800000, s2
	v_xor_b32_e32 v3, s30, v3
	s_wait_alu 0xfffe
	s_delay_alu instid0(SALU_CYCLE_1) | instskip(NEXT) | instid1(TRANS32_DEP_1)
	v_s_rcp_f32 s2, s2
	s_mul_f32 s2, s2, 0x5f7ffffc
	s_wait_alu 0xfffe
	s_delay_alu instid0(SALU_CYCLE_2) | instskip(SKIP_1) | instid1(SALU_CYCLE_2)
	s_mul_f32 s22, s2, 0x2f800000
	s_wait_alu 0xfffe
	s_trunc_f32 s22, s22
	s_wait_alu 0xfffe
	s_delay_alu instid0(SALU_CYCLE_2) | instskip(SKIP_2) | instid1(SALU_CYCLE_1)
	s_fmamk_f32 s2, s22, 0xcf800000, s2
	s_cvt_u32_f32 s37, s22
	s_wait_alu 0xfffe
	s_cvt_u32_f32 s36, s2
	s_wait_alu 0xfffe
	s_delay_alu instid0(SALU_CYCLE_2)
	s_mul_u64 s[40:41], s[38:39], s[36:37]
	s_wait_alu 0xfffe
	s_mul_hi_u32 s43, s36, s41
	s_mul_i32 s42, s36, s41
	s_mul_hi_u32 s22, s36, s40
	s_mul_i32 s29, s37, s40
	s_wait_alu 0xfffe
	s_add_nc_u64 s[42:43], s[22:23], s[42:43]
	s_mul_hi_u32 s2, s37, s40
	s_mul_hi_u32 s31, s37, s41
	s_wait_alu 0xfffe
	s_add_co_u32 s22, s42, s29
	s_add_co_ci_u32 s22, s43, s2
	s_mul_i32 s40, s37, s41
	s_add_co_ci_u32 s41, s31, 0
	s_wait_alu 0xfffe
	s_add_nc_u64 s[40:41], s[22:23], s[40:41]
	s_wait_alu 0xfffe
	s_add_co_u32 s36, s36, s40
	s_cselect_b32 s2, -1, 0
	s_wait_alu 0xfffe
	s_cmp_lg_u32 s2, 0
	s_add_co_ci_u32 s37, s37, s41
	s_wait_alu 0xfffe
	s_mul_u64 s[38:39], s[38:39], s[36:37]
	s_wait_alu 0xfffe
	s_mul_hi_u32 s41, s36, s39
	s_mul_i32 s40, s36, s39
	s_mul_hi_u32 s22, s36, s38
	s_mul_i32 s29, s37, s38
	s_wait_alu 0xfffe
	s_add_nc_u64 s[40:41], s[22:23], s[40:41]
	s_mul_hi_u32 s2, s37, s38
	s_mul_hi_u32 s31, s37, s39
	s_wait_alu 0xfffe
	s_add_co_u32 s22, s40, s29
	s_add_co_ci_u32 s22, s41, s2
	s_mul_i32 s38, s37, s39
	s_add_co_ci_u32 s39, s31, 0
	s_wait_alu 0xfffe
	s_add_nc_u64 s[38:39], s[22:23], s[38:39]
	s_wait_alu 0xfffe
	s_add_co_u32 s2, s36, s38
	s_cselect_b32 s22, -1, 0
	s_wait_alu 0xfffe
	v_mul_hi_u32 v13, v11, s2
	s_cmp_lg_u32 s22, 0
	v_mad_co_u64_u32 v[7:8], null, v12, s2, 0
	s_add_co_ci_u32 s22, s37, s39
	s_wait_alu 0xfffe
	v_mad_co_u64_u32 v[5:6], null, v11, s22, 0
	v_mad_co_u64_u32 v[9:10], null, v12, s22, 0
	s_delay_alu instid0(VALU_DEP_2) | instskip(SKIP_1) | instid1(VALU_DEP_3)
	v_add_co_u32 v5, vcc_lo, v13, v5
	s_wait_alu 0xfffd
	v_add_co_ci_u32_e64 v6, null, 0, v6, vcc_lo
	s_delay_alu instid0(VALU_DEP_2) | instskip(SKIP_1) | instid1(VALU_DEP_2)
	v_add_co_u32 v5, vcc_lo, v5, v7
	s_wait_alu 0xfffd
	v_add_co_ci_u32_e32 v5, vcc_lo, v6, v8, vcc_lo
	s_wait_alu 0xfffd
	v_add_co_ci_u32_e32 v6, vcc_lo, 0, v10, vcc_lo
	s_delay_alu instid0(VALU_DEP_2) | instskip(SKIP_1) | instid1(VALU_DEP_2)
	v_add_co_u32 v7, vcc_lo, v5, v9
	s_wait_alu 0xfffd
	v_add_co_ci_u32_e64 v8, null, 0, v6, vcc_lo
	s_delay_alu instid0(VALU_DEP_2) | instskip(SKIP_1) | instid1(VALU_DEP_3)
	v_mul_lo_u32 v9, s35, v7
	v_mad_co_u64_u32 v[5:6], null, s34, v7, 0
	v_mul_lo_u32 v10, s34, v8
	s_delay_alu instid0(VALU_DEP_2) | instskip(NEXT) | instid1(VALU_DEP_2)
	v_sub_co_u32 v5, vcc_lo, v11, v5
	v_add3_u32 v6, v6, v10, v9
	v_add_co_u32 v10, s2, v7, 2
	s_wait_alu 0xf1ff
	v_add_co_ci_u32_e64 v11, null, 0, v8, s2
	s_delay_alu instid0(VALU_DEP_3) | instskip(SKIP_3) | instid1(VALU_DEP_3)
	v_sub_nc_u32_e32 v9, v12, v6
	v_sub_co_u32 v13, s2, v5, s34
	s_wait_alu 0xfffd
	v_sub_co_ci_u32_e64 v6, null, v12, v6, vcc_lo
	v_subrev_co_ci_u32_e64 v9, null, s35, v9, vcc_lo
	s_delay_alu instid0(VALU_DEP_3) | instskip(SKIP_1) | instid1(VALU_DEP_2)
	v_cmp_le_u32_e32 vcc_lo, s34, v13
	s_wait_alu 0xf1ff
	v_subrev_co_ci_u32_e64 v9, null, 0, v9, s2
	s_wait_alu 0xfffd
	v_cndmask_b32_e64 v12, 0, -1, vcc_lo
	s_delay_alu instid0(VALU_DEP_2)
	v_cmp_le_u32_e32 vcc_lo, s35, v9
	s_wait_alu 0xfffd
	v_cndmask_b32_e64 v13, 0, -1, vcc_lo
	v_cmp_le_u32_e32 vcc_lo, s34, v5
	s_wait_alu 0xfffd
	v_cndmask_b32_e64 v5, 0, -1, vcc_lo
	v_cmp_le_u32_e32 vcc_lo, s35, v6
	s_wait_alu 0xfffd
	v_cndmask_b32_e64 v14, 0, -1, vcc_lo
	v_cmp_eq_u32_e32 vcc_lo, s35, v9
	s_wait_alu 0xfffd
	v_cndmask_b32_e32 v9, v13, v12, vcc_lo
	v_add_co_u32 v12, vcc_lo, v7, 1
	s_wait_alu 0xfffd
	v_add_co_ci_u32_e64 v13, null, 0, v8, vcc_lo
	v_cmp_eq_u32_e32 vcc_lo, s35, v6
	s_wait_alu 0xfffd
	v_cndmask_b32_e32 v5, v14, v5, vcc_lo
	v_cmp_ne_u32_e32 vcc_lo, 0, v9
	s_wait_alu 0xfffd
	v_cndmask_b32_e32 v6, v13, v11, vcc_lo
	s_delay_alu instid0(VALU_DEP_3) | instskip(SKIP_2) | instid1(VALU_DEP_2)
	v_cmp_ne_u32_e64 s2, 0, v5
	v_cndmask_b32_e32 v5, v12, v10, vcc_lo
	s_wait_alu 0xf1ff
	v_cndmask_b32_e64 v6, v8, v6, s2
	s_delay_alu instid0(VALU_DEP_2) | instskip(NEXT) | instid1(VALU_DEP_2)
	v_cndmask_b32_e64 v5, v7, v5, s2
	v_xor_b32_e32 v6, v6, v3
	s_delay_alu instid0(VALU_DEP_2) | instskip(NEXT) | instid1(VALU_DEP_1)
	v_xor_b32_e32 v5, v5, v3
	v_sub_co_u32 v8, vcc_lo, v5, v3
	s_wait_alu 0xfffd
	s_delay_alu instid0(VALU_DEP_3)
	v_sub_co_ci_u32_e64 v9, null, v6, v3, vcc_lo
.LBB61_9:                               ;   in Loop: Header=BB61_3 Depth=1
	s_wait_alu 0xfffe
	s_and_not1_saveexec_b32 s2, s19
	s_cbranch_execz .LBB61_11
; %bb.10:                               ;   in Loop: Header=BB61_3 Depth=1
	s_sub_co_i32 s19, 0, s20
	v_mov_b32_e32 v9, v2
	s_wait_alu 0xfffe
	v_mul_lo_u32 v3, s19, v19
	s_delay_alu instid0(VALU_DEP_1) | instskip(NEXT) | instid1(VALU_DEP_1)
	v_mul_hi_u32 v3, v19, v3
	v_add_nc_u32_e32 v3, v19, v3
	s_delay_alu instid0(VALU_DEP_1) | instskip(NEXT) | instid1(VALU_DEP_1)
	v_mul_hi_u32 v3, v4, v3
	v_mul_lo_u32 v5, v3, s20
	v_add_nc_u32_e32 v6, 1, v3
	s_delay_alu instid0(VALU_DEP_2) | instskip(NEXT) | instid1(VALU_DEP_1)
	v_sub_nc_u32_e32 v5, v4, v5
	v_cmp_le_u32_e32 vcc_lo, s20, v5
	v_subrev_nc_u32_e32 v7, s20, v5
	s_wait_alu 0xfffd
	v_cndmask_b32_e32 v3, v3, v6, vcc_lo
	s_delay_alu instid0(VALU_DEP_1) | instskip(NEXT) | instid1(VALU_DEP_3)
	v_add_nc_u32_e32 v6, 1, v3
	v_cndmask_b32_e32 v5, v5, v7, vcc_lo
	s_delay_alu instid0(VALU_DEP_1) | instskip(SKIP_1) | instid1(VALU_DEP_3)
	v_cmp_le_u32_e32 vcc_lo, s20, v5
	s_wait_alu 0xfffd
	v_cndmask_b32_e32 v8, v3, v6, vcc_lo
.LBB61_11:                              ;   in Loop: Header=BB61_3 Depth=1
	s_wait_alu 0xfffe
	s_or_b32 exec_lo, exec_lo, s2
	v_mad_co_u64_u32 v[5:6], null, v4, s8, 0
	s_delay_alu instid0(VALU_DEP_2) | instskip(SKIP_3) | instid1(VALU_DEP_2)
	v_mad_co_u64_u32 v[6:7], null, v8, s20, 0
	s_and_not1_b32 vcc_lo, exec_lo, s49
	v_sub_co_u32 v20, null, v0, v5
	v_sub_co_u32 v21, null, v4, v6
	v_mul_lo_u32 v3, s24, v20
	v_mul_lo_u32 v5, s26, v20
	s_delay_alu instid0(VALU_DEP_2) | instskip(NEXT) | instid1(VALU_DEP_1)
	v_mad_co_u64_u32 v[6:7], null, s16, v21, v[3:4]
	v_mad_co_u64_u32 v[4:5], null, s18, v21, v[5:6]
	s_wait_alu 0xfffe
	s_cbranch_vccnz .LBB61_38
; %bb.12:                               ;   in Loop: Header=BB61_3 Depth=1
	s_mov_b32 s19, 1
	s_and_not1_b32 vcc_lo, exec_lo, s51
	s_mov_b32 s22, s33
	s_mov_b32 s2, s33
	s_wait_alu 0xfffe
	s_cbranch_vccz .LBB61_15
; %bb.13:                               ;   in Loop: Header=BB61_3 Depth=1
	s_and_b32 vcc_lo, exec_lo, s52
	s_mov_b32 s22, s2
	s_wait_alu 0xfffe
	s_cbranch_vccnz .LBB61_20
	s_branch .LBB61_38
.LBB61_14:                              ;   in Loop: Header=BB61_15 Depth=2
	s_wait_alu 0xfffe
	s_or_b32 exec_lo, exec_lo, s2
	s_add_nc_u64 s[36:37], s[0:1], s[36:37]
	s_clause 0x1
	s_load_b32 s2, s[34:35], 0x6c
	s_load_b32 s29, s[36:37], 0x6c
	v_mul_lo_u32 v3, v10, s30
	s_add_co_i32 s22, s22, -1
	s_delay_alu instid0(VALU_DEP_1) | instskip(SKIP_2) | instid1(VALU_DEP_2)
	v_sub_nc_u32_e32 v3, v8, v3
	v_dual_mov_b32 v8, v10 :: v_dual_mov_b32 v9, v11
	s_wait_kmcnt 0x0
	v_mad_co_u64_u32 v[6:7], null, s2, v3, v[6:7]
	v_mad_co_u64_u32 v[4:5], null, s29, v3, v[4:5]
	s_xor_b32 s2, s48, s19
	s_add_co_i32 s19, s19, 1
	s_wait_alu 0xfffe
	s_cmp_lg_u32 s2, 2
	s_cbranch_scc0 .LBB61_19
.LBB61_15:                              ;   Parent Loop BB61_3 Depth=1
                                        ; =>  This Inner Loop Header: Depth=2
	s_lshl_b64 s[36:37], s[22:23], 2
                                        ; implicit-def: $vgpr10_vgpr11
	s_mov_b32 s2, exec_lo
	s_wait_alu 0xfffe
	s_add_nc_u64 s[34:35], s[12:13], s[36:37]
	s_load_b32 s30, s[34:35], 0x8
	s_wait_kmcnt 0x0
	s_ashr_i32 s31, s30, 31
	s_wait_alu 0xfffe
	v_or_b32_e32 v3, s31, v9
	s_delay_alu instid0(VALU_DEP_1)
	v_cmpx_ne_u64_e32 0, v[2:3]
	s_xor_b32 s29, exec_lo, s2
	s_cbranch_execz .LBB61_17
; %bb.16:                               ;   in Loop: Header=BB61_15 Depth=2
	s_ashr_i32 s38, s31, 31
	s_mov_b32 s47, s23
	s_wait_alu 0xfffe
	s_mov_b32 s39, s38
	s_mov_b32 s57, s23
	s_wait_alu 0xfffe
	s_add_nc_u64 s[40:41], s[30:31], s[38:39]
	v_ashrrev_i32_e32 v3, 31, v9
	s_wait_alu 0xfffe
	s_xor_b64 s[40:41], s[40:41], s[38:39]
	s_wait_alu 0xfffe
	s_cvt_f32_u32 s2, s40
	s_cvt_f32_u32 s31, s41
	s_sub_nc_u64 s[44:45], 0, s[40:41]
	v_add_co_u32 v5, vcc_lo, v8, v3
	s_wait_alu 0xfffe
	s_fmamk_f32 s2, s31, 0x4f800000, s2
	s_wait_alu 0xfffd
	v_add_co_ci_u32_e64 v7, null, v9, v3, vcc_lo
	v_xor_b32_e32 v5, v5, v3
	s_wait_alu 0xfffe
	v_s_rcp_f32 s2, s2
	s_delay_alu instid0(VALU_DEP_2) | instskip(SKIP_1) | instid1(TRANS32_DEP_1)
	v_xor_b32_e32 v7, v7, v3
	v_xor_b32_e32 v3, s38, v3
	s_mul_f32 s2, s2, 0x5f7ffffc
	s_wait_alu 0xfffe
	s_delay_alu instid0(SALU_CYCLE_2) | instskip(SKIP_1) | instid1(SALU_CYCLE_2)
	s_mul_f32 s31, s2, 0x2f800000
	s_wait_alu 0xfffe
	s_trunc_f32 s31, s31
	s_wait_alu 0xfffe
	s_delay_alu instid0(SALU_CYCLE_2) | instskip(SKIP_2) | instid1(SALU_CYCLE_1)
	s_fmamk_f32 s2, s31, 0xcf800000, s2
	s_cvt_u32_f32 s43, s31
	s_wait_alu 0xfffe
	s_cvt_u32_f32 s42, s2
	s_wait_alu 0xfffe
	s_delay_alu instid0(SALU_CYCLE_2) | instskip(NEXT) | instid1(SALU_CYCLE_1)
	s_mul_u64 s[54:55], s[44:45], s[42:43]
	s_mul_hi_u32 s59, s42, s55
	s_mul_i32 s58, s42, s55
	s_mul_hi_u32 s46, s42, s54
	s_mul_i32 s31, s43, s54
	s_wait_alu 0xfffe
	s_add_nc_u64 s[46:47], s[46:47], s[58:59]
	s_mul_hi_u32 s2, s43, s54
	s_mul_hi_u32 s39, s43, s55
	s_wait_alu 0xfffe
	s_add_co_u32 s31, s46, s31
	s_add_co_ci_u32 s56, s47, s2
	s_mul_i32 s54, s43, s55
	s_add_co_ci_u32 s55, s39, 0
	s_delay_alu instid0(SALU_CYCLE_1)
	s_add_nc_u64 s[46:47], s[56:57], s[54:55]
	s_mov_b32 s55, s23
	s_wait_alu 0xfffe
	s_add_co_u32 s42, s42, s46
	s_cselect_b32 s2, -1, 0
	s_wait_alu 0xfffe
	s_cmp_lg_u32 s2, 0
	s_add_co_ci_u32 s43, s43, s47
	s_mov_b32 s47, s23
	s_wait_alu 0xfffe
	s_mul_u64 s[44:45], s[44:45], s[42:43]
	s_wait_alu 0xfffe
	s_mul_hi_u32 s57, s42, s45
	s_mul_i32 s56, s42, s45
	s_mul_hi_u32 s54, s42, s44
	s_mul_i32 s31, s43, s44
	s_add_nc_u64 s[54:55], s[54:55], s[56:57]
	s_mul_hi_u32 s2, s43, s44
	s_mul_hi_u32 s39, s43, s45
	s_wait_alu 0xfffe
	s_add_co_u32 s31, s54, s31
	s_add_co_ci_u32 s46, s55, s2
	s_mul_i32 s44, s43, s45
	s_add_co_ci_u32 s45, s39, 0
	s_wait_alu 0xfffe
	s_add_nc_u64 s[44:45], s[46:47], s[44:45]
	s_wait_alu 0xfffe
	s_add_co_u32 s2, s42, s44
	s_cselect_b32 s31, -1, 0
	s_wait_alu 0xfffe
	v_mul_hi_u32 v15, v5, s2
	s_cmp_lg_u32 s31, 0
	v_mad_co_u64_u32 v[11:12], null, v7, s2, 0
	s_add_co_ci_u32 s31, s43, s45
	s_wait_alu 0xfffe
	v_mad_co_u64_u32 v[9:10], null, v5, s31, 0
	v_mad_co_u64_u32 v[13:14], null, v7, s31, 0
	s_delay_alu instid0(VALU_DEP_2) | instskip(SKIP_1) | instid1(VALU_DEP_3)
	v_add_co_u32 v9, vcc_lo, v15, v9
	s_wait_alu 0xfffd
	v_add_co_ci_u32_e64 v10, null, 0, v10, vcc_lo
	s_delay_alu instid0(VALU_DEP_2) | instskip(SKIP_1) | instid1(VALU_DEP_2)
	v_add_co_u32 v9, vcc_lo, v9, v11
	s_wait_alu 0xfffd
	v_add_co_ci_u32_e32 v9, vcc_lo, v10, v12, vcc_lo
	s_wait_alu 0xfffd
	v_add_co_ci_u32_e32 v10, vcc_lo, 0, v14, vcc_lo
	s_delay_alu instid0(VALU_DEP_2) | instskip(SKIP_1) | instid1(VALU_DEP_2)
	v_add_co_u32 v11, vcc_lo, v9, v13
	s_wait_alu 0xfffd
	v_add_co_ci_u32_e64 v12, null, 0, v10, vcc_lo
	s_delay_alu instid0(VALU_DEP_2) | instskip(SKIP_1) | instid1(VALU_DEP_3)
	v_mul_lo_u32 v13, s41, v11
	v_mad_co_u64_u32 v[9:10], null, s40, v11, 0
	v_mul_lo_u32 v14, s40, v12
	s_delay_alu instid0(VALU_DEP_2) | instskip(NEXT) | instid1(VALU_DEP_2)
	v_sub_co_u32 v5, vcc_lo, v5, v9
	v_add3_u32 v10, v10, v14, v13
	s_delay_alu instid0(VALU_DEP_1) | instskip(SKIP_2) | instid1(VALU_DEP_2)
	v_sub_nc_u32_e32 v13, v7, v10
	s_wait_alu 0xfffd
	v_sub_co_ci_u32_e64 v7, null, v7, v10, vcc_lo
	v_subrev_co_ci_u32_e64 v9, null, s41, v13, vcc_lo
	v_add_co_u32 v13, s2, v11, 2
	s_wait_alu 0xf1ff
	v_add_co_ci_u32_e64 v14, null, 0, v12, s2
	v_sub_co_u32 v15, s2, v5, s40
	s_wait_alu 0xf1ff
	v_subrev_co_ci_u32_e64 v9, null, 0, v9, s2
	s_delay_alu instid0(VALU_DEP_2) | instskip(SKIP_2) | instid1(VALU_DEP_3)
	v_cmp_le_u32_e32 vcc_lo, s40, v15
	s_wait_alu 0xfffd
	v_cndmask_b32_e64 v10, 0, -1, vcc_lo
	v_cmp_le_u32_e32 vcc_lo, s41, v9
	s_wait_alu 0xfffd
	v_cndmask_b32_e64 v15, 0, -1, vcc_lo
	;; [unrolled: 3-line block ×4, first 2 shown]
	v_cmp_eq_u32_e32 vcc_lo, s41, v9
	s_wait_alu 0xfffd
	v_cndmask_b32_e32 v9, v15, v10, vcc_lo
	v_add_co_u32 v10, vcc_lo, v11, 1
	s_wait_alu 0xfffd
	v_add_co_ci_u32_e64 v15, null, 0, v12, vcc_lo
	v_cmp_eq_u32_e32 vcc_lo, s41, v7
	s_wait_alu 0xfffd
	v_cndmask_b32_e32 v5, v16, v5, vcc_lo
	v_cmp_ne_u32_e32 vcc_lo, 0, v9
	s_delay_alu instid0(VALU_DEP_2) | instskip(SKIP_4) | instid1(VALU_DEP_2)
	v_cmp_ne_u32_e64 s2, 0, v5
	s_wait_alu 0xfffd
	v_cndmask_b32_e32 v5, v10, v13, vcc_lo
	v_cndmask_b32_e32 v7, v15, v14, vcc_lo
	s_wait_alu 0xf1ff
	v_cndmask_b32_e64 v5, v11, v5, s2
	s_delay_alu instid0(VALU_DEP_2) | instskip(NEXT) | instid1(VALU_DEP_2)
	v_cndmask_b32_e64 v7, v12, v7, s2
	v_xor_b32_e32 v5, v5, v3
	s_delay_alu instid0(VALU_DEP_2) | instskip(NEXT) | instid1(VALU_DEP_2)
	v_xor_b32_e32 v7, v7, v3
	v_sub_co_u32 v10, vcc_lo, v5, v3
	s_wait_alu 0xfffd
	s_delay_alu instid0(VALU_DEP_2)
	v_sub_co_ci_u32_e64 v11, null, v7, v3, vcc_lo
.LBB61_17:                              ;   in Loop: Header=BB61_15 Depth=2
	s_wait_alu 0xfffe
	s_and_not1_saveexec_b32 s2, s29
	s_cbranch_execz .LBB61_14
; %bb.18:                               ;   in Loop: Header=BB61_15 Depth=2
	v_cvt_f32_u32_e32 v3, s30
	s_sub_co_i32 s29, 0, s30
	v_mov_b32_e32 v11, v2
	s_delay_alu instid0(VALU_DEP_2) | instskip(NEXT) | instid1(TRANS32_DEP_1)
	v_rcp_iflag_f32_e32 v3, v3
	v_mul_f32_e32 v3, 0x4f7ffffe, v3
	s_delay_alu instid0(VALU_DEP_1) | instskip(SKIP_1) | instid1(VALU_DEP_1)
	v_cvt_u32_f32_e32 v3, v3
	s_wait_alu 0xfffe
	v_mul_lo_u32 v5, s29, v3
	s_delay_alu instid0(VALU_DEP_1) | instskip(NEXT) | instid1(VALU_DEP_1)
	v_mul_hi_u32 v5, v3, v5
	v_add_nc_u32_e32 v3, v3, v5
	s_delay_alu instid0(VALU_DEP_1) | instskip(NEXT) | instid1(VALU_DEP_1)
	v_mul_hi_u32 v3, v8, v3
	v_mul_lo_u32 v5, v3, s30
	v_add_nc_u32_e32 v7, 1, v3
	s_delay_alu instid0(VALU_DEP_2) | instskip(NEXT) | instid1(VALU_DEP_1)
	v_sub_nc_u32_e32 v5, v8, v5
	v_cmp_le_u32_e32 vcc_lo, s30, v5
	v_subrev_nc_u32_e32 v9, s30, v5
	s_wait_alu 0xfffd
	v_cndmask_b32_e32 v3, v3, v7, vcc_lo
	s_delay_alu instid0(VALU_DEP_1) | instskip(NEXT) | instid1(VALU_DEP_3)
	v_add_nc_u32_e32 v7, 1, v3
	v_cndmask_b32_e32 v5, v5, v9, vcc_lo
	s_delay_alu instid0(VALU_DEP_1) | instskip(SKIP_1) | instid1(VALU_DEP_3)
	v_cmp_le_u32_e32 vcc_lo, s30, v5
	s_wait_alu 0xfffd
	v_cndmask_b32_e32 v10, v3, v7, vcc_lo
	s_branch .LBB61_14
.LBB61_19:                              ;   in Loop: Header=BB61_3 Depth=1
	s_mov_b32 s2, s22
	s_and_b32 vcc_lo, exec_lo, s52
	s_wait_alu 0xfffe
	s_mov_b32 s22, s2
	s_cbranch_vccz .LBB61_38
.LBB61_20:                              ;   Parent Loop BB61_3 Depth=1
                                        ; =>  This Inner Loop Header: Depth=2
	s_wait_alu 0xfffe
	s_lshl_b64 s[42:43], s[22:23], 2
                                        ; implicit-def: $vgpr10_vgpr11
	s_mov_b32 s2, exec_lo
	s_wait_alu 0xfffe
	s_add_nc_u64 s[36:37], s[12:13], s[42:43]
	s_load_b32 s30, s[36:37], 0x8
	s_wait_kmcnt 0x0
	s_ashr_i32 s31, s30, 31
	s_wait_alu 0xfffe
	v_or_b32_e32 v3, s31, v9
	s_delay_alu instid0(VALU_DEP_1)
	v_cmpx_ne_u64_e32 0, v[2:3]
	s_xor_b32 s19, exec_lo, s2
	s_cbranch_execz .LBB61_22
; %bb.21:                               ;   in Loop: Header=BB61_20 Depth=2
	s_ashr_i32 s34, s31, 31
	s_mov_b32 s47, s23
	s_wait_alu 0xfffe
	s_mov_b32 s35, s34
	s_mov_b32 s57, s23
	s_wait_alu 0xfffe
	s_add_nc_u64 s[38:39], s[30:31], s[34:35]
	v_ashrrev_i32_e32 v3, 31, v9
	s_wait_alu 0xfffe
	s_xor_b64 s[38:39], s[38:39], s[34:35]
	s_wait_alu 0xfffe
	s_cvt_f32_u32 s2, s38
	s_cvt_f32_u32 s29, s39
	s_sub_nc_u64 s[44:45], 0, s[38:39]
	v_add_co_u32 v5, vcc_lo, v8, v3
	s_wait_alu 0xfffe
	s_fmamk_f32 s2, s29, 0x4f800000, s2
	s_wait_alu 0xfffd
	v_add_co_ci_u32_e64 v7, null, v9, v3, vcc_lo
	v_xor_b32_e32 v5, v5, v3
	s_wait_alu 0xfffe
	v_s_rcp_f32 s2, s2
	s_delay_alu instid0(VALU_DEP_2) | instskip(SKIP_1) | instid1(TRANS32_DEP_1)
	v_xor_b32_e32 v7, v7, v3
	v_xor_b32_e32 v3, s34, v3
	s_mul_f32 s2, s2, 0x5f7ffffc
	s_wait_alu 0xfffe
	s_delay_alu instid0(SALU_CYCLE_2) | instskip(SKIP_1) | instid1(SALU_CYCLE_2)
	s_mul_f32 s29, s2, 0x2f800000
	s_wait_alu 0xfffe
	s_trunc_f32 s29, s29
	s_wait_alu 0xfffe
	s_delay_alu instid0(SALU_CYCLE_2) | instskip(SKIP_2) | instid1(SALU_CYCLE_1)
	s_fmamk_f32 s2, s29, 0xcf800000, s2
	s_cvt_u32_f32 s41, s29
	s_wait_alu 0xfffe
	s_cvt_u32_f32 s40, s2
	s_wait_alu 0xfffe
	s_delay_alu instid0(SALU_CYCLE_2) | instskip(NEXT) | instid1(SALU_CYCLE_1)
	s_mul_u64 s[54:55], s[44:45], s[40:41]
	s_mul_hi_u32 s59, s40, s55
	s_mul_i32 s58, s40, s55
	s_mul_hi_u32 s46, s40, s54
	s_mul_i32 s29, s41, s54
	s_wait_alu 0xfffe
	s_add_nc_u64 s[46:47], s[46:47], s[58:59]
	s_mul_hi_u32 s2, s41, s54
	s_mul_hi_u32 s31, s41, s55
	s_wait_alu 0xfffe
	s_add_co_u32 s29, s46, s29
	s_add_co_ci_u32 s56, s47, s2
	s_mul_i32 s54, s41, s55
	s_add_co_ci_u32 s55, s31, 0
	s_delay_alu instid0(SALU_CYCLE_1)
	s_add_nc_u64 s[46:47], s[56:57], s[54:55]
	s_mov_b32 s55, s23
	s_wait_alu 0xfffe
	s_add_co_u32 s40, s40, s46
	s_cselect_b32 s2, -1, 0
	s_wait_alu 0xfffe
	s_cmp_lg_u32 s2, 0
	s_add_co_ci_u32 s41, s41, s47
	s_mov_b32 s47, s23
	s_wait_alu 0xfffe
	s_mul_u64 s[44:45], s[44:45], s[40:41]
	s_wait_alu 0xfffe
	s_mul_hi_u32 s57, s40, s45
	s_mul_i32 s56, s40, s45
	s_mul_hi_u32 s54, s40, s44
	s_mul_i32 s29, s41, s44
	s_add_nc_u64 s[54:55], s[54:55], s[56:57]
	s_mul_hi_u32 s2, s41, s44
	s_mul_hi_u32 s31, s41, s45
	s_wait_alu 0xfffe
	s_add_co_u32 s29, s54, s29
	s_add_co_ci_u32 s46, s55, s2
	s_mul_i32 s44, s41, s45
	s_add_co_ci_u32 s45, s31, 0
	s_wait_alu 0xfffe
	s_add_nc_u64 s[44:45], s[46:47], s[44:45]
	s_wait_alu 0xfffe
	s_add_co_u32 s2, s40, s44
	s_cselect_b32 s29, -1, 0
	s_wait_alu 0xfffe
	v_mul_hi_u32 v15, v5, s2
	s_cmp_lg_u32 s29, 0
	v_mad_co_u64_u32 v[11:12], null, v7, s2, 0
	s_add_co_ci_u32 s29, s41, s45
	s_wait_alu 0xfffe
	v_mad_co_u64_u32 v[9:10], null, v5, s29, 0
	v_mad_co_u64_u32 v[13:14], null, v7, s29, 0
	s_delay_alu instid0(VALU_DEP_2) | instskip(SKIP_1) | instid1(VALU_DEP_3)
	v_add_co_u32 v9, vcc_lo, v15, v9
	s_wait_alu 0xfffd
	v_add_co_ci_u32_e64 v10, null, 0, v10, vcc_lo
	s_delay_alu instid0(VALU_DEP_2) | instskip(SKIP_1) | instid1(VALU_DEP_2)
	v_add_co_u32 v9, vcc_lo, v9, v11
	s_wait_alu 0xfffd
	v_add_co_ci_u32_e32 v9, vcc_lo, v10, v12, vcc_lo
	s_wait_alu 0xfffd
	v_add_co_ci_u32_e32 v10, vcc_lo, 0, v14, vcc_lo
	s_delay_alu instid0(VALU_DEP_2) | instskip(SKIP_1) | instid1(VALU_DEP_2)
	v_add_co_u32 v11, vcc_lo, v9, v13
	s_wait_alu 0xfffd
	v_add_co_ci_u32_e64 v12, null, 0, v10, vcc_lo
	s_delay_alu instid0(VALU_DEP_2) | instskip(SKIP_1) | instid1(VALU_DEP_3)
	v_mul_lo_u32 v13, s39, v11
	v_mad_co_u64_u32 v[9:10], null, s38, v11, 0
	v_mul_lo_u32 v14, s38, v12
	s_delay_alu instid0(VALU_DEP_2) | instskip(NEXT) | instid1(VALU_DEP_2)
	v_sub_co_u32 v5, vcc_lo, v5, v9
	v_add3_u32 v10, v10, v14, v13
	s_delay_alu instid0(VALU_DEP_1) | instskip(SKIP_2) | instid1(VALU_DEP_2)
	v_sub_nc_u32_e32 v13, v7, v10
	s_wait_alu 0xfffd
	v_sub_co_ci_u32_e64 v7, null, v7, v10, vcc_lo
	v_subrev_co_ci_u32_e64 v9, null, s39, v13, vcc_lo
	v_add_co_u32 v13, s2, v11, 2
	s_wait_alu 0xf1ff
	v_add_co_ci_u32_e64 v14, null, 0, v12, s2
	v_sub_co_u32 v15, s2, v5, s38
	s_wait_alu 0xf1ff
	v_subrev_co_ci_u32_e64 v9, null, 0, v9, s2
	s_delay_alu instid0(VALU_DEP_2) | instskip(SKIP_2) | instid1(VALU_DEP_3)
	v_cmp_le_u32_e32 vcc_lo, s38, v15
	s_wait_alu 0xfffd
	v_cndmask_b32_e64 v10, 0, -1, vcc_lo
	v_cmp_le_u32_e32 vcc_lo, s39, v9
	s_wait_alu 0xfffd
	v_cndmask_b32_e64 v15, 0, -1, vcc_lo
	;; [unrolled: 3-line block ×4, first 2 shown]
	v_cmp_eq_u32_e32 vcc_lo, s39, v9
	s_wait_alu 0xfffd
	v_cndmask_b32_e32 v9, v15, v10, vcc_lo
	v_add_co_u32 v10, vcc_lo, v11, 1
	s_wait_alu 0xfffd
	v_add_co_ci_u32_e64 v15, null, 0, v12, vcc_lo
	v_cmp_eq_u32_e32 vcc_lo, s39, v7
	s_wait_alu 0xfffd
	v_cndmask_b32_e32 v5, v16, v5, vcc_lo
	v_cmp_ne_u32_e32 vcc_lo, 0, v9
	s_delay_alu instid0(VALU_DEP_2) | instskip(SKIP_4) | instid1(VALU_DEP_2)
	v_cmp_ne_u32_e64 s2, 0, v5
	s_wait_alu 0xfffd
	v_cndmask_b32_e32 v5, v10, v13, vcc_lo
	v_cndmask_b32_e32 v7, v15, v14, vcc_lo
	s_wait_alu 0xf1ff
	v_cndmask_b32_e64 v5, v11, v5, s2
	s_delay_alu instid0(VALU_DEP_2) | instskip(NEXT) | instid1(VALU_DEP_2)
	v_cndmask_b32_e64 v7, v12, v7, s2
	v_xor_b32_e32 v5, v5, v3
	s_delay_alu instid0(VALU_DEP_2) | instskip(NEXT) | instid1(VALU_DEP_2)
	v_xor_b32_e32 v7, v7, v3
	v_sub_co_u32 v10, vcc_lo, v5, v3
	s_wait_alu 0xfffd
	s_delay_alu instid0(VALU_DEP_2)
	v_sub_co_ci_u32_e64 v11, null, v7, v3, vcc_lo
.LBB61_22:                              ;   in Loop: Header=BB61_20 Depth=2
	s_wait_alu 0xfffe
	s_and_not1_saveexec_b32 s2, s19
	s_cbranch_execz .LBB61_24
; %bb.23:                               ;   in Loop: Header=BB61_20 Depth=2
	v_cvt_f32_u32_e32 v3, s30
	s_sub_co_i32 s19, 0, s30
	v_mov_b32_e32 v11, v2
	s_delay_alu instid0(VALU_DEP_2) | instskip(NEXT) | instid1(TRANS32_DEP_1)
	v_rcp_iflag_f32_e32 v3, v3
	v_mul_f32_e32 v3, 0x4f7ffffe, v3
	s_delay_alu instid0(VALU_DEP_1) | instskip(SKIP_1) | instid1(VALU_DEP_1)
	v_cvt_u32_f32_e32 v3, v3
	s_wait_alu 0xfffe
	v_mul_lo_u32 v5, s19, v3
	s_delay_alu instid0(VALU_DEP_1) | instskip(NEXT) | instid1(VALU_DEP_1)
	v_mul_hi_u32 v5, v3, v5
	v_add_nc_u32_e32 v3, v3, v5
	s_delay_alu instid0(VALU_DEP_1) | instskip(NEXT) | instid1(VALU_DEP_1)
	v_mul_hi_u32 v3, v8, v3
	v_mul_lo_u32 v5, v3, s30
	v_add_nc_u32_e32 v7, 1, v3
	s_delay_alu instid0(VALU_DEP_2) | instskip(NEXT) | instid1(VALU_DEP_1)
	v_sub_nc_u32_e32 v5, v8, v5
	v_cmp_le_u32_e32 vcc_lo, s30, v5
	v_subrev_nc_u32_e32 v9, s30, v5
	s_wait_alu 0xfffd
	v_cndmask_b32_e32 v3, v3, v7, vcc_lo
	s_delay_alu instid0(VALU_DEP_1) | instskip(NEXT) | instid1(VALU_DEP_3)
	v_add_nc_u32_e32 v7, 1, v3
	v_cndmask_b32_e32 v5, v5, v9, vcc_lo
	s_delay_alu instid0(VALU_DEP_1) | instskip(SKIP_1) | instid1(VALU_DEP_3)
	v_cmp_le_u32_e32 vcc_lo, s30, v5
	s_wait_alu 0xfffd
	v_cndmask_b32_e32 v10, v3, v7, vcc_lo
.LBB61_24:                              ;   in Loop: Header=BB61_20 Depth=2
	s_wait_alu 0xfffe
	s_or_b32 exec_lo, exec_lo, s2
	s_add_co_i32 s34, s22, -1
	s_mov_b32 s35, s23
	s_add_nc_u64 s[42:43], s[0:1], s[42:43]
	s_wait_alu 0xfffe
	s_lshl_b64 s[40:41], s[34:35], 2
                                        ; implicit-def: $vgpr12_vgpr13
	s_mov_b32 s2, exec_lo
	s_wait_alu 0xfffe
	s_add_nc_u64 s[38:39], s[12:13], s[40:41]
	s_clause 0x2
	s_load_b32 s34, s[38:39], 0x8
	s_load_b32 s19, s[36:37], 0x6c
	;; [unrolled: 1-line block ×3, first 2 shown]
	s_wait_kmcnt 0x0
	s_ashr_i32 s35, s34, 31
	s_wait_alu 0xfffe
	v_or_b32_e32 v3, s35, v11
	s_delay_alu instid0(VALU_DEP_1)
	v_cmpx_ne_u64_e32 0, v[2:3]
	s_xor_b32 s31, exec_lo, s2
	s_cbranch_execz .LBB61_26
; %bb.25:                               ;   in Loop: Header=BB61_20 Depth=2
	s_ashr_i32 s36, s35, 31
	s_mov_b32 s55, s23
	s_wait_alu 0xfffe
	s_mov_b32 s37, s36
	s_mov_b32 s59, s23
	s_wait_alu 0xfffe
	s_add_nc_u64 s[42:43], s[34:35], s[36:37]
	v_ashrrev_i32_e32 v3, 31, v11
	s_wait_alu 0xfffe
	s_xor_b64 s[42:43], s[42:43], s[36:37]
	s_wait_alu 0xfffe
	s_cvt_f32_u32 s2, s42
	s_cvt_f32_u32 s35, s43
	s_sub_nc_u64 s[46:47], 0, s[42:43]
	v_add_co_u32 v5, vcc_lo, v10, v3
	s_wait_alu 0xfffe
	s_fmamk_f32 s2, s35, 0x4f800000, s2
	s_wait_alu 0xfffd
	v_add_co_ci_u32_e64 v7, null, v11, v3, vcc_lo
	v_xor_b32_e32 v5, v5, v3
	s_wait_alu 0xfffe
	v_s_rcp_f32 s2, s2
	s_delay_alu instid0(VALU_DEP_2) | instskip(SKIP_1) | instid1(TRANS32_DEP_1)
	v_xor_b32_e32 v7, v7, v3
	v_xor_b32_e32 v3, s36, v3
	s_mul_f32 s2, s2, 0x5f7ffffc
	s_wait_alu 0xfffe
	s_delay_alu instid0(SALU_CYCLE_2) | instskip(SKIP_1) | instid1(SALU_CYCLE_2)
	s_mul_f32 s35, s2, 0x2f800000
	s_wait_alu 0xfffe
	s_trunc_f32 s35, s35
	s_wait_alu 0xfffe
	s_delay_alu instid0(SALU_CYCLE_2) | instskip(SKIP_2) | instid1(SALU_CYCLE_1)
	s_fmamk_f32 s2, s35, 0xcf800000, s2
	s_cvt_u32_f32 s45, s35
	s_wait_alu 0xfffe
	s_cvt_u32_f32 s44, s2
	s_wait_alu 0xfffe
	s_delay_alu instid0(SALU_CYCLE_2) | instskip(NEXT) | instid1(SALU_CYCLE_1)
	s_mul_u64 s[56:57], s[46:47], s[44:45]
	s_mul_hi_u32 s61, s44, s57
	s_mul_i32 s60, s44, s57
	s_mul_hi_u32 s54, s44, s56
	s_mul_i32 s35, s45, s56
	s_add_nc_u64 s[54:55], s[54:55], s[60:61]
	s_mul_hi_u32 s2, s45, s56
	s_mul_hi_u32 s37, s45, s57
	s_wait_alu 0xfffe
	s_add_co_u32 s35, s54, s35
	s_add_co_ci_u32 s58, s55, s2
	s_mul_i32 s56, s45, s57
	s_add_co_ci_u32 s57, s37, 0
	s_delay_alu instid0(SALU_CYCLE_1)
	s_add_nc_u64 s[54:55], s[58:59], s[56:57]
	s_mov_b32 s57, s23
	s_add_co_u32 s44, s44, s54
	s_cselect_b32 s2, -1, 0
	s_wait_alu 0xfffe
	s_cmp_lg_u32 s2, 0
	s_add_co_ci_u32 s45, s45, s55
	s_mov_b32 s55, s23
	s_wait_alu 0xfffe
	s_mul_u64 s[46:47], s[46:47], s[44:45]
	s_wait_alu 0xfffe
	s_mul_hi_u32 s59, s44, s47
	s_mul_i32 s58, s44, s47
	s_mul_hi_u32 s56, s44, s46
	s_mul_i32 s35, s45, s46
	s_add_nc_u64 s[56:57], s[56:57], s[58:59]
	s_mul_hi_u32 s2, s45, s46
	s_mul_hi_u32 s37, s45, s47
	s_wait_alu 0xfffe
	s_add_co_u32 s35, s56, s35
	s_add_co_ci_u32 s54, s57, s2
	s_mul_i32 s46, s45, s47
	s_add_co_ci_u32 s47, s37, 0
	s_wait_alu 0xfffe
	s_add_nc_u64 s[46:47], s[54:55], s[46:47]
	s_wait_alu 0xfffe
	s_add_co_u32 s2, s44, s46
	s_cselect_b32 s35, -1, 0
	s_wait_alu 0xfffe
	v_mul_hi_u32 v9, v5, s2
	s_cmp_lg_u32 s35, 0
	v_mad_co_u64_u32 v[13:14], null, v7, s2, 0
	s_add_co_ci_u32 s35, s45, s47
	s_wait_alu 0xfffe
	v_mad_co_u64_u32 v[11:12], null, v5, s35, 0
	v_mad_co_u64_u32 v[15:16], null, v7, s35, 0
	s_delay_alu instid0(VALU_DEP_2) | instskip(SKIP_1) | instid1(VALU_DEP_3)
	v_add_co_u32 v9, vcc_lo, v9, v11
	s_wait_alu 0xfffd
	v_add_co_ci_u32_e64 v11, null, 0, v12, vcc_lo
	s_delay_alu instid0(VALU_DEP_2) | instskip(SKIP_1) | instid1(VALU_DEP_2)
	v_add_co_u32 v9, vcc_lo, v9, v13
	s_wait_alu 0xfffd
	v_add_co_ci_u32_e32 v9, vcc_lo, v11, v14, vcc_lo
	s_wait_alu 0xfffd
	v_add_co_ci_u32_e32 v11, vcc_lo, 0, v16, vcc_lo
	s_delay_alu instid0(VALU_DEP_2) | instskip(SKIP_1) | instid1(VALU_DEP_2)
	v_add_co_u32 v9, vcc_lo, v9, v15
	s_wait_alu 0xfffd
	v_add_co_ci_u32_e64 v13, null, 0, v11, vcc_lo
	s_delay_alu instid0(VALU_DEP_2) | instskip(SKIP_1) | instid1(VALU_DEP_3)
	v_mul_lo_u32 v14, s43, v9
	v_mad_co_u64_u32 v[11:12], null, s42, v9, 0
	v_mul_lo_u32 v15, s42, v13
	s_delay_alu instid0(VALU_DEP_2) | instskip(NEXT) | instid1(VALU_DEP_2)
	v_sub_co_u32 v5, vcc_lo, v5, v11
	v_add3_u32 v12, v12, v15, v14
	s_delay_alu instid0(VALU_DEP_1) | instskip(SKIP_2) | instid1(VALU_DEP_2)
	v_sub_nc_u32_e32 v14, v7, v12
	s_wait_alu 0xfffd
	v_sub_co_ci_u32_e64 v7, null, v7, v12, vcc_lo
	v_subrev_co_ci_u32_e64 v11, null, s43, v14, vcc_lo
	v_add_co_u32 v14, s2, v9, 2
	s_wait_alu 0xf1ff
	v_add_co_ci_u32_e64 v15, null, 0, v13, s2
	v_sub_co_u32 v16, s2, v5, s42
	s_wait_alu 0xf1ff
	v_subrev_co_ci_u32_e64 v11, null, 0, v11, s2
	s_delay_alu instid0(VALU_DEP_2) | instskip(SKIP_2) | instid1(VALU_DEP_3)
	v_cmp_le_u32_e32 vcc_lo, s42, v16
	s_wait_alu 0xfffd
	v_cndmask_b32_e64 v12, 0, -1, vcc_lo
	v_cmp_le_u32_e32 vcc_lo, s43, v11
	s_wait_alu 0xfffd
	v_cndmask_b32_e64 v16, 0, -1, vcc_lo
	;; [unrolled: 3-line block ×4, first 2 shown]
	v_cmp_eq_u32_e32 vcc_lo, s43, v11
	s_wait_alu 0xfffd
	v_cndmask_b32_e32 v11, v16, v12, vcc_lo
	v_add_co_u32 v12, vcc_lo, v9, 1
	s_wait_alu 0xfffd
	v_add_co_ci_u32_e64 v16, null, 0, v13, vcc_lo
	v_cmp_eq_u32_e32 vcc_lo, s43, v7
	s_wait_alu 0xfffd
	v_cndmask_b32_e32 v5, v17, v5, vcc_lo
	v_cmp_ne_u32_e32 vcc_lo, 0, v11
	s_delay_alu instid0(VALU_DEP_2) | instskip(SKIP_4) | instid1(VALU_DEP_2)
	v_cmp_ne_u32_e64 s2, 0, v5
	s_wait_alu 0xfffd
	v_cndmask_b32_e32 v5, v12, v14, vcc_lo
	v_cndmask_b32_e32 v7, v16, v15, vcc_lo
	s_wait_alu 0xf1ff
	v_cndmask_b32_e64 v5, v9, v5, s2
	s_delay_alu instid0(VALU_DEP_2) | instskip(NEXT) | instid1(VALU_DEP_2)
	v_cndmask_b32_e64 v7, v13, v7, s2
	v_xor_b32_e32 v5, v5, v3
	s_delay_alu instid0(VALU_DEP_2) | instskip(NEXT) | instid1(VALU_DEP_2)
	v_xor_b32_e32 v7, v7, v3
	v_sub_co_u32 v12, vcc_lo, v5, v3
	s_wait_alu 0xfffd
	s_delay_alu instid0(VALU_DEP_2)
	v_sub_co_ci_u32_e64 v13, null, v7, v3, vcc_lo
.LBB61_26:                              ;   in Loop: Header=BB61_20 Depth=2
	s_wait_alu 0xfffe
	s_and_not1_saveexec_b32 s2, s31
	s_cbranch_execz .LBB61_28
; %bb.27:                               ;   in Loop: Header=BB61_20 Depth=2
	v_cvt_f32_u32_e32 v3, s34
	s_sub_co_i32 s31, 0, s34
	v_mov_b32_e32 v13, v2
	s_delay_alu instid0(VALU_DEP_2) | instskip(NEXT) | instid1(TRANS32_DEP_1)
	v_rcp_iflag_f32_e32 v3, v3
	v_mul_f32_e32 v3, 0x4f7ffffe, v3
	s_delay_alu instid0(VALU_DEP_1) | instskip(SKIP_1) | instid1(VALU_DEP_1)
	v_cvt_u32_f32_e32 v3, v3
	s_wait_alu 0xfffe
	v_mul_lo_u32 v5, s31, v3
	s_delay_alu instid0(VALU_DEP_1) | instskip(NEXT) | instid1(VALU_DEP_1)
	v_mul_hi_u32 v5, v3, v5
	v_add_nc_u32_e32 v3, v3, v5
	s_delay_alu instid0(VALU_DEP_1) | instskip(NEXT) | instid1(VALU_DEP_1)
	v_mul_hi_u32 v3, v10, v3
	v_mul_lo_u32 v5, v3, s34
	v_add_nc_u32_e32 v7, 1, v3
	s_delay_alu instid0(VALU_DEP_2) | instskip(NEXT) | instid1(VALU_DEP_1)
	v_sub_nc_u32_e32 v5, v10, v5
	v_cmp_le_u32_e32 vcc_lo, s34, v5
	v_subrev_nc_u32_e32 v9, s34, v5
	s_wait_alu 0xfffd
	v_cndmask_b32_e32 v3, v3, v7, vcc_lo
	s_delay_alu instid0(VALU_DEP_1) | instskip(NEXT) | instid1(VALU_DEP_3)
	v_add_nc_u32_e32 v7, 1, v3
	v_cndmask_b32_e32 v5, v5, v9, vcc_lo
	s_delay_alu instid0(VALU_DEP_1) | instskip(SKIP_1) | instid1(VALU_DEP_3)
	v_cmp_le_u32_e32 vcc_lo, s34, v5
	s_wait_alu 0xfffd
	v_cndmask_b32_e32 v12, v3, v7, vcc_lo
.LBB61_28:                              ;   in Loop: Header=BB61_20 Depth=2
	s_wait_alu 0xfffe
	s_or_b32 exec_lo, exec_lo, s2
	s_add_co_i32 s36, s22, -2
	s_mov_b32 s37, s23
	s_add_nc_u64 s[40:41], s[0:1], s[40:41]
	s_wait_alu 0xfffe
	s_lshl_b64 s[46:47], s[36:37], 2
                                        ; implicit-def: $vgpr14_vgpr15
	s_mov_b32 s2, exec_lo
	s_wait_alu 0xfffe
	s_add_nc_u64 s[44:45], s[12:13], s[46:47]
	s_clause 0x2
	s_load_b32 s36, s[44:45], 0x8
	s_load_b32 s31, s[38:39], 0x6c
	;; [unrolled: 1-line block ×3, first 2 shown]
	s_wait_kmcnt 0x0
	s_ashr_i32 s37, s36, 31
	s_wait_alu 0xfffe
	v_or_b32_e32 v3, s37, v13
	s_delay_alu instid0(VALU_DEP_1)
	v_cmpx_ne_u64_e32 0, v[2:3]
	s_xor_b32 s42, exec_lo, s2
	s_cbranch_execz .LBB61_30
; %bb.29:                               ;   in Loop: Header=BB61_20 Depth=2
	s_ashr_i32 s38, s37, 31
	s_mov_b32 s59, s23
	s_wait_alu 0xfffe
	s_mov_b32 s39, s38
	s_mov_b32 s63, s23
	s_wait_alu 0xfffe
	s_add_nc_u64 s[40:41], s[36:37], s[38:39]
	v_ashrrev_i32_e32 v3, 31, v13
	s_wait_alu 0xfffe
	s_xor_b64 s[40:41], s[40:41], s[38:39]
	s_wait_alu 0xfffe
	s_cvt_f32_u32 s2, s40
	s_cvt_f32_u32 s37, s41
	s_sub_nc_u64 s[56:57], 0, s[40:41]
	v_add_co_u32 v5, vcc_lo, v12, v3
	s_wait_alu 0xfffe
	s_fmamk_f32 s2, s37, 0x4f800000, s2
	s_wait_alu 0xfffd
	v_add_co_ci_u32_e64 v7, null, v13, v3, vcc_lo
	v_xor_b32_e32 v5, v5, v3
	s_wait_alu 0xfffe
	v_s_rcp_f32 s2, s2
	s_delay_alu instid0(VALU_DEP_2) | instskip(SKIP_1) | instid1(TRANS32_DEP_1)
	v_xor_b32_e32 v7, v7, v3
	v_xor_b32_e32 v3, s38, v3
	s_mul_f32 s2, s2, 0x5f7ffffc
	s_wait_alu 0xfffe
	s_delay_alu instid0(SALU_CYCLE_2) | instskip(SKIP_1) | instid1(SALU_CYCLE_2)
	s_mul_f32 s37, s2, 0x2f800000
	s_wait_alu 0xfffe
	s_trunc_f32 s37, s37
	s_wait_alu 0xfffe
	s_delay_alu instid0(SALU_CYCLE_2) | instskip(SKIP_2) | instid1(SALU_CYCLE_1)
	s_fmamk_f32 s2, s37, 0xcf800000, s2
	s_cvt_u32_f32 s55, s37
	s_wait_alu 0xfffe
	s_cvt_u32_f32 s54, s2
	s_delay_alu instid0(SALU_CYCLE_3) | instskip(NEXT) | instid1(SALU_CYCLE_1)
	s_mul_u64 s[60:61], s[56:57], s[54:55]
	s_mul_hi_u32 s65, s54, s61
	s_mul_i32 s64, s54, s61
	s_mul_hi_u32 s58, s54, s60
	s_mul_i32 s37, s55, s60
	s_add_nc_u64 s[58:59], s[58:59], s[64:65]
	s_mul_hi_u32 s2, s55, s60
	s_mul_hi_u32 s39, s55, s61
	s_wait_alu 0xfffe
	s_add_co_u32 s37, s58, s37
	s_add_co_ci_u32 s62, s59, s2
	s_mul_i32 s60, s55, s61
	s_add_co_ci_u32 s61, s39, 0
	s_delay_alu instid0(SALU_CYCLE_1)
	s_add_nc_u64 s[58:59], s[62:63], s[60:61]
	s_mov_b32 s61, s23
	s_add_co_u32 s54, s54, s58
	s_cselect_b32 s2, -1, 0
	s_wait_alu 0xfffe
	s_cmp_lg_u32 s2, 0
	s_add_co_ci_u32 s55, s55, s59
	s_mov_b32 s59, s23
	s_mul_u64 s[56:57], s[56:57], s[54:55]
	s_delay_alu instid0(SALU_CYCLE_1)
	s_mul_hi_u32 s63, s54, s57
	s_mul_i32 s62, s54, s57
	s_mul_hi_u32 s60, s54, s56
	s_mul_i32 s37, s55, s56
	s_add_nc_u64 s[60:61], s[60:61], s[62:63]
	s_mul_hi_u32 s2, s55, s56
	s_mul_hi_u32 s39, s55, s57
	s_wait_alu 0xfffe
	s_add_co_u32 s37, s60, s37
	s_add_co_ci_u32 s58, s61, s2
	s_mul_i32 s56, s55, s57
	s_add_co_ci_u32 s57, s39, 0
	s_delay_alu instid0(SALU_CYCLE_1) | instskip(NEXT) | instid1(SALU_CYCLE_1)
	s_add_nc_u64 s[56:57], s[58:59], s[56:57]
	s_add_co_u32 s2, s54, s56
	s_cselect_b32 s37, -1, 0
	s_wait_alu 0xfffe
	v_mul_hi_u32 v9, v5, s2
	s_cmp_lg_u32 s37, 0
	v_mad_co_u64_u32 v[15:16], null, v7, s2, 0
	s_add_co_ci_u32 s37, s55, s57
	s_wait_alu 0xfffe
	v_mad_co_u64_u32 v[13:14], null, v5, s37, 0
	v_mad_co_u64_u32 v[22:23], null, v7, s37, 0
	s_delay_alu instid0(VALU_DEP_2) | instskip(SKIP_1) | instid1(VALU_DEP_3)
	v_add_co_u32 v9, vcc_lo, v9, v13
	s_wait_alu 0xfffd
	v_add_co_ci_u32_e64 v11, null, 0, v14, vcc_lo
	s_delay_alu instid0(VALU_DEP_2) | instskip(SKIP_1) | instid1(VALU_DEP_2)
	v_add_co_u32 v9, vcc_lo, v9, v15
	s_wait_alu 0xfffd
	v_add_co_ci_u32_e32 v9, vcc_lo, v11, v16, vcc_lo
	s_wait_alu 0xfffd
	v_add_co_ci_u32_e32 v11, vcc_lo, 0, v23, vcc_lo
	s_delay_alu instid0(VALU_DEP_2) | instskip(SKIP_1) | instid1(VALU_DEP_2)
	v_add_co_u32 v9, vcc_lo, v9, v22
	s_wait_alu 0xfffd
	v_add_co_ci_u32_e64 v11, null, 0, v11, vcc_lo
	s_delay_alu instid0(VALU_DEP_2) | instskip(SKIP_1) | instid1(VALU_DEP_3)
	v_mul_lo_u32 v15, s41, v9
	v_mad_co_u64_u32 v[13:14], null, s40, v9, 0
	v_mul_lo_u32 v16, s40, v11
	s_delay_alu instid0(VALU_DEP_2) | instskip(NEXT) | instid1(VALU_DEP_2)
	v_sub_co_u32 v5, vcc_lo, v5, v13
	v_add3_u32 v14, v14, v16, v15
	s_delay_alu instid0(VALU_DEP_1) | instskip(SKIP_2) | instid1(VALU_DEP_2)
	v_sub_nc_u32_e32 v15, v7, v14
	s_wait_alu 0xfffd
	v_sub_co_ci_u32_e64 v7, null, v7, v14, vcc_lo
	v_subrev_co_ci_u32_e64 v13, null, s41, v15, vcc_lo
	v_add_co_u32 v15, s2, v9, 2
	s_wait_alu 0xf1ff
	v_add_co_ci_u32_e64 v16, null, 0, v11, s2
	v_sub_co_u32 v17, s2, v5, s40
	s_wait_alu 0xf1ff
	v_subrev_co_ci_u32_e64 v13, null, 0, v13, s2
	s_delay_alu instid0(VALU_DEP_2) | instskip(SKIP_2) | instid1(VALU_DEP_3)
	v_cmp_le_u32_e32 vcc_lo, s40, v17
	s_wait_alu 0xfffd
	v_cndmask_b32_e64 v14, 0, -1, vcc_lo
	v_cmp_le_u32_e32 vcc_lo, s41, v13
	s_wait_alu 0xfffd
	v_cndmask_b32_e64 v17, 0, -1, vcc_lo
	;; [unrolled: 3-line block ×4, first 2 shown]
	v_cmp_eq_u32_e32 vcc_lo, s41, v13
	s_wait_alu 0xfffd
	v_cndmask_b32_e32 v13, v17, v14, vcc_lo
	v_add_co_u32 v14, vcc_lo, v9, 1
	s_wait_alu 0xfffd
	v_add_co_ci_u32_e64 v17, null, 0, v11, vcc_lo
	v_cmp_eq_u32_e32 vcc_lo, s41, v7
	s_wait_alu 0xfffd
	v_cndmask_b32_e32 v5, v22, v5, vcc_lo
	v_cmp_ne_u32_e32 vcc_lo, 0, v13
	s_delay_alu instid0(VALU_DEP_2) | instskip(SKIP_4) | instid1(VALU_DEP_2)
	v_cmp_ne_u32_e64 s2, 0, v5
	s_wait_alu 0xfffd
	v_cndmask_b32_e32 v5, v14, v15, vcc_lo
	v_cndmask_b32_e32 v7, v17, v16, vcc_lo
	s_wait_alu 0xf1ff
	v_cndmask_b32_e64 v5, v9, v5, s2
	s_delay_alu instid0(VALU_DEP_2) | instskip(NEXT) | instid1(VALU_DEP_2)
	v_cndmask_b32_e64 v7, v11, v7, s2
	v_xor_b32_e32 v5, v5, v3
	s_delay_alu instid0(VALU_DEP_2) | instskip(NEXT) | instid1(VALU_DEP_2)
	v_xor_b32_e32 v7, v7, v3
	v_sub_co_u32 v14, vcc_lo, v5, v3
	s_wait_alu 0xfffd
	s_delay_alu instid0(VALU_DEP_2)
	v_sub_co_ci_u32_e64 v15, null, v7, v3, vcc_lo
.LBB61_30:                              ;   in Loop: Header=BB61_20 Depth=2
	s_wait_alu 0xfffe
	s_and_not1_saveexec_b32 s2, s42
	s_cbranch_execz .LBB61_32
; %bb.31:                               ;   in Loop: Header=BB61_20 Depth=2
	v_cvt_f32_u32_e32 v3, s36
	s_sub_co_i32 s37, 0, s36
	v_mov_b32_e32 v15, v2
	s_delay_alu instid0(VALU_DEP_2) | instskip(NEXT) | instid1(TRANS32_DEP_1)
	v_rcp_iflag_f32_e32 v3, v3
	v_mul_f32_e32 v3, 0x4f7ffffe, v3
	s_delay_alu instid0(VALU_DEP_1) | instskip(SKIP_1) | instid1(VALU_DEP_1)
	v_cvt_u32_f32_e32 v3, v3
	s_wait_alu 0xfffe
	v_mul_lo_u32 v5, s37, v3
	s_delay_alu instid0(VALU_DEP_1) | instskip(NEXT) | instid1(VALU_DEP_1)
	v_mul_hi_u32 v5, v3, v5
	v_add_nc_u32_e32 v3, v3, v5
	s_delay_alu instid0(VALU_DEP_1) | instskip(NEXT) | instid1(VALU_DEP_1)
	v_mul_hi_u32 v3, v12, v3
	v_mul_lo_u32 v5, v3, s36
	v_add_nc_u32_e32 v7, 1, v3
	s_delay_alu instid0(VALU_DEP_2) | instskip(NEXT) | instid1(VALU_DEP_1)
	v_sub_nc_u32_e32 v5, v12, v5
	v_cmp_le_u32_e32 vcc_lo, s36, v5
	v_subrev_nc_u32_e32 v9, s36, v5
	s_wait_alu 0xfffd
	v_cndmask_b32_e32 v3, v3, v7, vcc_lo
	s_delay_alu instid0(VALU_DEP_1) | instskip(NEXT) | instid1(VALU_DEP_3)
	v_add_nc_u32_e32 v7, 1, v3
	v_cndmask_b32_e32 v5, v5, v9, vcc_lo
	s_delay_alu instid0(VALU_DEP_1) | instskip(SKIP_1) | instid1(VALU_DEP_3)
	v_cmp_le_u32_e32 vcc_lo, s36, v5
	s_wait_alu 0xfffd
	v_cndmask_b32_e32 v14, v3, v7, vcc_lo
.LBB61_32:                              ;   in Loop: Header=BB61_20 Depth=2
	s_wait_alu 0xfffe
	s_or_b32 exec_lo, exec_lo, s2
	s_add_co_i32 s38, s22, -3
	s_mov_b32 s39, s23
	s_add_nc_u64 s[46:47], s[0:1], s[46:47]
	s_wait_alu 0xfffe
	s_lshl_b64 s[42:43], s[38:39], 2
                                        ; implicit-def: $vgpr16_vgpr17
	s_mov_b32 s2, exec_lo
	s_wait_alu 0xfffe
	s_add_nc_u64 s[40:41], s[12:13], s[42:43]
	s_clause 0x2
	s_load_b32 s38, s[40:41], 0x8
	s_load_b32 s37, s[44:45], 0x6c
	;; [unrolled: 1-line block ×3, first 2 shown]
	s_wait_kmcnt 0x0
	s_ashr_i32 s39, s38, 31
	s_wait_alu 0xfffe
	v_or_b32_e32 v3, s39, v15
	s_delay_alu instid0(VALU_DEP_1)
	v_cmpx_ne_u64_e32 0, v[2:3]
	s_xor_b32 s54, exec_lo, s2
	s_cbranch_execz .LBB61_34
; %bb.33:                               ;   in Loop: Header=BB61_20 Depth=2
	s_ashr_i32 s44, s39, 31
	s_mov_b32 s61, s23
	s_wait_alu 0xfffe
	s_mov_b32 s45, s44
	s_mov_b32 s65, s23
	s_wait_alu 0xfffe
	s_add_nc_u64 s[46:47], s[38:39], s[44:45]
	v_ashrrev_i32_e32 v3, 31, v15
	s_wait_alu 0xfffe
	s_xor_b64 s[46:47], s[46:47], s[44:45]
	s_wait_alu 0xfffe
	s_cvt_f32_u32 s2, s46
	s_cvt_f32_u32 s39, s47
	s_sub_nc_u64 s[58:59], 0, s[46:47]
	v_add_co_u32 v5, vcc_lo, v14, v3
	s_wait_alu 0xfffe
	s_fmamk_f32 s2, s39, 0x4f800000, s2
	s_wait_alu 0xfffd
	v_add_co_ci_u32_e64 v7, null, v15, v3, vcc_lo
	v_xor_b32_e32 v5, v5, v3
	s_wait_alu 0xfffe
	v_s_rcp_f32 s2, s2
	s_delay_alu instid0(VALU_DEP_2) | instskip(SKIP_1) | instid1(TRANS32_DEP_1)
	v_xor_b32_e32 v7, v7, v3
	v_xor_b32_e32 v3, s44, v3
	s_mul_f32 s2, s2, 0x5f7ffffc
	s_wait_alu 0xfffe
	s_delay_alu instid0(SALU_CYCLE_2) | instskip(SKIP_1) | instid1(SALU_CYCLE_2)
	s_mul_f32 s39, s2, 0x2f800000
	s_wait_alu 0xfffe
	s_trunc_f32 s39, s39
	s_wait_alu 0xfffe
	s_delay_alu instid0(SALU_CYCLE_2) | instskip(SKIP_2) | instid1(SALU_CYCLE_1)
	s_fmamk_f32 s2, s39, 0xcf800000, s2
	s_cvt_u32_f32 s57, s39
	s_wait_alu 0xfffe
	s_cvt_u32_f32 s56, s2
	s_delay_alu instid0(SALU_CYCLE_3) | instskip(NEXT) | instid1(SALU_CYCLE_1)
	s_mul_u64 s[62:63], s[58:59], s[56:57]
	s_mul_hi_u32 s67, s56, s63
	s_mul_i32 s66, s56, s63
	s_mul_hi_u32 s60, s56, s62
	s_mul_i32 s39, s57, s62
	s_add_nc_u64 s[60:61], s[60:61], s[66:67]
	s_mul_hi_u32 s2, s57, s62
	s_mul_hi_u32 s45, s57, s63
	s_wait_alu 0xfffe
	s_add_co_u32 s39, s60, s39
	s_add_co_ci_u32 s64, s61, s2
	s_mul_i32 s62, s57, s63
	s_add_co_ci_u32 s63, s45, 0
	s_delay_alu instid0(SALU_CYCLE_1)
	s_add_nc_u64 s[60:61], s[64:65], s[62:63]
	s_mov_b32 s63, s23
	s_add_co_u32 s56, s56, s60
	s_cselect_b32 s2, -1, 0
	s_wait_alu 0xfffe
	s_cmp_lg_u32 s2, 0
	s_add_co_ci_u32 s57, s57, s61
	s_mov_b32 s61, s23
	s_mul_u64 s[58:59], s[58:59], s[56:57]
	s_delay_alu instid0(SALU_CYCLE_1)
	s_mul_hi_u32 s65, s56, s59
	s_mul_i32 s64, s56, s59
	s_mul_hi_u32 s62, s56, s58
	s_mul_i32 s39, s57, s58
	s_add_nc_u64 s[62:63], s[62:63], s[64:65]
	s_mul_hi_u32 s2, s57, s58
	s_mul_hi_u32 s45, s57, s59
	s_wait_alu 0xfffe
	s_add_co_u32 s39, s62, s39
	s_add_co_ci_u32 s60, s63, s2
	s_mul_i32 s58, s57, s59
	s_add_co_ci_u32 s59, s45, 0
	s_delay_alu instid0(SALU_CYCLE_1) | instskip(NEXT) | instid1(SALU_CYCLE_1)
	s_add_nc_u64 s[58:59], s[60:61], s[58:59]
	s_add_co_u32 s2, s56, s58
	s_cselect_b32 s39, -1, 0
	s_wait_alu 0xfffe
	v_mul_hi_u32 v9, v5, s2
	s_cmp_lg_u32 s39, 0
	v_mad_co_u64_u32 v[22:23], null, v7, s2, 0
	s_add_co_ci_u32 s39, s57, s59
	s_wait_alu 0xfffe
	v_mad_co_u64_u32 v[15:16], null, v5, s39, 0
	v_mad_co_u64_u32 v[24:25], null, v7, s39, 0
	s_delay_alu instid0(VALU_DEP_2) | instskip(SKIP_1) | instid1(VALU_DEP_3)
	v_add_co_u32 v9, vcc_lo, v9, v15
	s_wait_alu 0xfffd
	v_add_co_ci_u32_e64 v11, null, 0, v16, vcc_lo
	s_delay_alu instid0(VALU_DEP_2) | instskip(SKIP_1) | instid1(VALU_DEP_2)
	v_add_co_u32 v9, vcc_lo, v9, v22
	s_wait_alu 0xfffd
	v_add_co_ci_u32_e32 v9, vcc_lo, v11, v23, vcc_lo
	s_wait_alu 0xfffd
	v_add_co_ci_u32_e32 v11, vcc_lo, 0, v25, vcc_lo
	s_delay_alu instid0(VALU_DEP_2) | instskip(SKIP_1) | instid1(VALU_DEP_2)
	v_add_co_u32 v9, vcc_lo, v9, v24
	s_wait_alu 0xfffd
	v_add_co_ci_u32_e64 v11, null, 0, v11, vcc_lo
	s_delay_alu instid0(VALU_DEP_2) | instskip(SKIP_1) | instid1(VALU_DEP_3)
	v_mul_lo_u32 v13, s47, v9
	v_mad_co_u64_u32 v[15:16], null, s46, v9, 0
	v_mul_lo_u32 v17, s46, v11
	s_delay_alu instid0(VALU_DEP_2) | instskip(NEXT) | instid1(VALU_DEP_2)
	v_sub_co_u32 v5, vcc_lo, v5, v15
	v_add3_u32 v13, v16, v17, v13
	s_delay_alu instid0(VALU_DEP_1) | instskip(SKIP_2) | instid1(VALU_DEP_2)
	v_sub_nc_u32_e32 v16, v7, v13
	s_wait_alu 0xfffd
	v_sub_co_ci_u32_e64 v7, null, v7, v13, vcc_lo
	v_subrev_co_ci_u32_e64 v15, null, s47, v16, vcc_lo
	v_add_co_u32 v16, s2, v9, 2
	s_wait_alu 0xf1ff
	v_add_co_ci_u32_e64 v17, null, 0, v11, s2
	v_sub_co_u32 v22, s2, v5, s46
	s_wait_alu 0xf1ff
	v_subrev_co_ci_u32_e64 v15, null, 0, v15, s2
	s_delay_alu instid0(VALU_DEP_2) | instskip(SKIP_2) | instid1(VALU_DEP_3)
	v_cmp_le_u32_e32 vcc_lo, s46, v22
	s_wait_alu 0xfffd
	v_cndmask_b32_e64 v13, 0, -1, vcc_lo
	v_cmp_le_u32_e32 vcc_lo, s47, v15
	s_wait_alu 0xfffd
	v_cndmask_b32_e64 v22, 0, -1, vcc_lo
	;; [unrolled: 3-line block ×4, first 2 shown]
	v_cmp_eq_u32_e32 vcc_lo, s47, v15
	s_wait_alu 0xfffd
	v_cndmask_b32_e32 v13, v22, v13, vcc_lo
	v_add_co_u32 v15, vcc_lo, v9, 1
	s_wait_alu 0xfffd
	v_add_co_ci_u32_e64 v22, null, 0, v11, vcc_lo
	v_cmp_eq_u32_e32 vcc_lo, s47, v7
	s_wait_alu 0xfffd
	v_cndmask_b32_e32 v5, v23, v5, vcc_lo
	v_cmp_ne_u32_e32 vcc_lo, 0, v13
	s_delay_alu instid0(VALU_DEP_2) | instskip(SKIP_4) | instid1(VALU_DEP_2)
	v_cmp_ne_u32_e64 s2, 0, v5
	s_wait_alu 0xfffd
	v_cndmask_b32_e32 v5, v15, v16, vcc_lo
	v_cndmask_b32_e32 v7, v22, v17, vcc_lo
	s_wait_alu 0xf1ff
	v_cndmask_b32_e64 v5, v9, v5, s2
	s_delay_alu instid0(VALU_DEP_2) | instskip(NEXT) | instid1(VALU_DEP_2)
	v_cndmask_b32_e64 v7, v11, v7, s2
	v_xor_b32_e32 v5, v5, v3
	s_delay_alu instid0(VALU_DEP_2) | instskip(NEXT) | instid1(VALU_DEP_2)
	v_xor_b32_e32 v7, v7, v3
	v_sub_co_u32 v16, vcc_lo, v5, v3
	s_wait_alu 0xfffd
	s_delay_alu instid0(VALU_DEP_2)
	v_sub_co_ci_u32_e64 v17, null, v7, v3, vcc_lo
.LBB61_34:                              ;   in Loop: Header=BB61_20 Depth=2
	s_and_not1_saveexec_b32 s2, s54
	s_cbranch_execz .LBB61_36
; %bb.35:                               ;   in Loop: Header=BB61_20 Depth=2
	v_cvt_f32_u32_e32 v3, s38
	s_sub_co_i32 s39, 0, s38
	v_mov_b32_e32 v17, v2
	s_delay_alu instid0(VALU_DEP_2) | instskip(NEXT) | instid1(TRANS32_DEP_1)
	v_rcp_iflag_f32_e32 v3, v3
	v_mul_f32_e32 v3, 0x4f7ffffe, v3
	s_delay_alu instid0(VALU_DEP_1) | instskip(SKIP_1) | instid1(VALU_DEP_1)
	v_cvt_u32_f32_e32 v3, v3
	s_wait_alu 0xfffe
	v_mul_lo_u32 v5, s39, v3
	s_delay_alu instid0(VALU_DEP_1) | instskip(NEXT) | instid1(VALU_DEP_1)
	v_mul_hi_u32 v5, v3, v5
	v_add_nc_u32_e32 v3, v3, v5
	s_delay_alu instid0(VALU_DEP_1) | instskip(NEXT) | instid1(VALU_DEP_1)
	v_mul_hi_u32 v3, v14, v3
	v_mul_lo_u32 v5, v3, s38
	v_add_nc_u32_e32 v7, 1, v3
	s_delay_alu instid0(VALU_DEP_2) | instskip(NEXT) | instid1(VALU_DEP_1)
	v_sub_nc_u32_e32 v5, v14, v5
	v_cmp_le_u32_e32 vcc_lo, s38, v5
	v_subrev_nc_u32_e32 v9, s38, v5
	s_wait_alu 0xfffd
	v_cndmask_b32_e32 v3, v3, v7, vcc_lo
	s_delay_alu instid0(VALU_DEP_1) | instskip(NEXT) | instid1(VALU_DEP_3)
	v_add_nc_u32_e32 v7, 1, v3
	v_cndmask_b32_e32 v5, v5, v9, vcc_lo
	s_delay_alu instid0(VALU_DEP_1) | instskip(SKIP_1) | instid1(VALU_DEP_3)
	v_cmp_le_u32_e32 vcc_lo, s38, v5
	s_wait_alu 0xfffd
	v_cndmask_b32_e32 v16, v3, v7, vcc_lo
.LBB61_36:                              ;   in Loop: Header=BB61_20 Depth=2
	s_wait_alu 0xfffe
	s_or_b32 exec_lo, exec_lo, s2
	s_add_nc_u64 s[42:43], s[0:1], s[42:43]
	v_mul_lo_u32 v3, v10, s30
	s_clause 0x1
	s_load_b32 s2, s[40:41], 0x6c
	s_load_b32 s30, s[42:43], 0x6c
	v_mul_lo_u32 v5, v12, s34
	v_mul_lo_u32 v7, v14, s36
	;; [unrolled: 1-line block ×3, first 2 shown]
	s_add_co_i32 s22, s22, -4
	s_wait_alu 0xfffe
	s_cmp_eq_u32 s22, -1
	v_sub_nc_u32_e32 v3, v8, v3
	s_delay_alu instid0(VALU_DEP_4) | instskip(NEXT) | instid1(VALU_DEP_4)
	v_sub_nc_u32_e32 v5, v10, v5
	v_sub_nc_u32_e32 v7, v12, v7
	s_delay_alu instid0(VALU_DEP_4) | instskip(NEXT) | instid1(VALU_DEP_4)
	v_sub_nc_u32_e32 v8, v14, v9
	v_mul_lo_u32 v9, s19, v3
	v_mul_lo_u32 v3, s29, v3
	;; [unrolled: 1-line block ×6, first 2 shown]
	s_wait_kmcnt 0x0
	v_mul_lo_u32 v12, s2, v8
	v_mul_lo_u32 v8, s30, v8
	v_add3_u32 v6, v9, v6, v10
	v_add3_u32 v3, v3, v4, v5
	s_delay_alu instid0(VALU_DEP_2) | instskip(NEXT) | instid1(VALU_DEP_2)
	v_add3_u32 v6, v11, v6, v12
	v_add3_u32 v4, v7, v3, v8
	s_cbranch_scc1 .LBB61_38
; %bb.37:                               ;   in Loop: Header=BB61_20 Depth=2
	v_dual_mov_b32 v8, v16 :: v_dual_mov_b32 v9, v17
	s_branch .LBB61_20
.LBB61_38:                              ;   in Loop: Header=BB61_3 Depth=1
	v_sub_nc_u32_e32 v5, v20, v21
	s_delay_alu instid0(VALU_DEP_1) | instskip(NEXT) | instid1(VALU_DEP_1)
	v_add_nc_u32_e32 v7, 2, v5
	v_ashrrev_i32_e32 v8, 31, v7
	s_delay_alu instid0(VALU_DEP_1)
	v_cmp_le_i64_e32 vcc_lo, s[4:5], v[7:8]
	v_dual_mov_b32 v7, 0 :: v_dual_mov_b32 v8, 0
	s_and_saveexec_b32 s2, vcc_lo
	s_cbranch_execz .LBB61_44
; %bb.39:                               ;   in Loop: Header=BB61_3 Depth=1
	v_mov_b32_e32 v3, 0
	v_mov_b32_e32 v9, 0
	s_mov_b32 s19, exec_lo
	v_cmpx_gt_i32_e64 s3, v20
	s_cbranch_execz .LBB61_43
; %bb.40:                               ;   in Loop: Header=BB61_3 Depth=1
	v_ashrrev_i32_e32 v7, 31, v6
	v_dual_mov_b32 v9, 0 :: v_dual_add_nc_u32 v8, 1, v20
	s_mov_b32 s22, exec_lo
	s_delay_alu instid0(VALU_DEP_2) | instskip(NEXT) | instid1(VALU_DEP_1)
	v_lshlrev_b64_e32 v[6:7], 2, v[6:7]
	v_add_co_u32 v6, vcc_lo, s10, v6
	s_wait_alu 0xfffd
	s_delay_alu instid0(VALU_DEP_2)
	v_add_co_ci_u32_e64 v7, null, s11, v7, vcc_lo
	global_load_b32 v3, v[6:7], off
	v_cmpx_gt_i32_e64 s3, v8
	s_wait_alu 0xfffe
	s_xor_b32 s22, exec_lo, s22
	s_cbranch_execz .LBB61_42
; %bb.41:                               ;   in Loop: Header=BB61_3 Depth=1
	s_lshl_b64 s[30:31], s[24:25], 2
	s_wait_alu 0xfffe
	v_add_co_u32 v6, vcc_lo, v6, s30
	s_wait_alu 0xfffd
	v_add_co_ci_u32_e64 v7, null, s31, v7, vcc_lo
	global_load_b32 v9, v[6:7], off
.LBB61_42:                              ;   in Loop: Header=BB61_3 Depth=1
	s_wait_alu 0xfffe
	s_or_b32 exec_lo, exec_lo, s22
.LBB61_43:                              ;   in Loop: Header=BB61_3 Depth=1
	s_wait_alu 0xfffe
	s_or_b32 exec_lo, exec_lo, s19
	v_ashrrev_i32_e32 v6, 31, v5
	v_add_nc_u32_e32 v10, 1, v5
	s_delay_alu instid0(VALU_DEP_2) | instskip(NEXT) | instid1(VALU_DEP_2)
	v_cmp_le_i64_e32 vcc_lo, s[4:5], v[5:6]
	v_ashrrev_i32_e32 v11, 31, v10
	s_wait_loadcnt 0x0
	s_wait_alu 0xfffd
	v_cndmask_b32_e32 v8, 0, v3, vcc_lo
	s_delay_alu instid0(VALU_DEP_2)
	v_cmp_le_i64_e32 vcc_lo, s[4:5], v[10:11]
	s_wait_alu 0xfffd
	v_cndmask_b32_e32 v7, 0, v9, vcc_lo
.LBB61_44:                              ;   in Loop: Header=BB61_3 Depth=1
	s_wait_alu 0xfffe
	s_or_b32 exec_lo, exec_lo, s2
	s_delay_alu instid0(SALU_CYCLE_1)
	s_mov_b32 s2, exec_lo
	v_cmpx_gt_i32_e64 s3, v20
	s_cbranch_execz .LBB61_2
; %bb.45:                               ;   in Loop: Header=BB61_3 Depth=1
	v_ashrrev_i32_e32 v5, 31, v4
	s_mov_b32 s19, exec_lo
	s_delay_alu instid0(VALU_DEP_1) | instskip(SKIP_1) | instid1(VALU_DEP_2)
	v_lshlrev_b64_e32 v[3:4], 2, v[4:5]
	v_add_nc_u32_e32 v5, 1, v20
	v_add_co_u32 v3, vcc_lo, s14, v3
	s_wait_alu 0xfffd
	s_delay_alu instid0(VALU_DEP_3)
	v_add_co_ci_u32_e64 v4, null, s15, v4, vcc_lo
	global_store_b32 v[3:4], v8, off
	v_cmpx_gt_i32_e64 s3, v5
	s_wait_alu 0xfffe
	s_xor_b32 s19, exec_lo, s19
	s_cbranch_execz .LBB61_2
; %bb.46:                               ;   in Loop: Header=BB61_3 Depth=1
	s_lshl_b64 s[30:31], s[26:27], 2
	s_wait_alu 0xfffe
	v_add_co_u32 v3, vcc_lo, v3, s30
	s_wait_alu 0xfffd
	v_add_co_ci_u32_e64 v4, null, s31, v4, vcc_lo
	global_store_b32 v[3:4], v7, off
	s_branch .LBB61_2
.LBB61_47:
	s_endpgm
	.section	.rodata,"a",@progbits
	.p2align	6, 0x0
	.amdhsa_kernel _ZN2at6native16triu_tril_kernelIiiLb1ELi2ELb0EEEvNS_4cuda6detail10TensorInfoIT_T0_EENS4_IKS5_S6_EEllS6_
		.amdhsa_group_segment_fixed_size 0
		.amdhsa_private_segment_fixed_size 0
		.amdhsa_kernarg_size 712
		.amdhsa_user_sgpr_count 2
		.amdhsa_user_sgpr_dispatch_ptr 0
		.amdhsa_user_sgpr_queue_ptr 0
		.amdhsa_user_sgpr_kernarg_segment_ptr 1
		.amdhsa_user_sgpr_dispatch_id 0
		.amdhsa_user_sgpr_private_segment_size 0
		.amdhsa_wavefront_size32 1
		.amdhsa_uses_dynamic_stack 0
		.amdhsa_enable_private_segment 0
		.amdhsa_system_sgpr_workgroup_id_x 1
		.amdhsa_system_sgpr_workgroup_id_y 0
		.amdhsa_system_sgpr_workgroup_id_z 0
		.amdhsa_system_sgpr_workgroup_info 0
		.amdhsa_system_vgpr_workitem_id 0
		.amdhsa_next_free_vgpr 26
		.amdhsa_next_free_sgpr 68
		.amdhsa_reserve_vcc 1
		.amdhsa_float_round_mode_32 0
		.amdhsa_float_round_mode_16_64 0
		.amdhsa_float_denorm_mode_32 3
		.amdhsa_float_denorm_mode_16_64 3
		.amdhsa_fp16_overflow 0
		.amdhsa_workgroup_processor_mode 1
		.amdhsa_memory_ordered 1
		.amdhsa_forward_progress 1
		.amdhsa_inst_pref_size 65
		.amdhsa_round_robin_scheduling 0
		.amdhsa_exception_fp_ieee_invalid_op 0
		.amdhsa_exception_fp_denorm_src 0
		.amdhsa_exception_fp_ieee_div_zero 0
		.amdhsa_exception_fp_ieee_overflow 0
		.amdhsa_exception_fp_ieee_underflow 0
		.amdhsa_exception_fp_ieee_inexact 0
		.amdhsa_exception_int_div_zero 0
	.end_amdhsa_kernel
	.section	.text._ZN2at6native16triu_tril_kernelIiiLb1ELi2ELb0EEEvNS_4cuda6detail10TensorInfoIT_T0_EENS4_IKS5_S6_EEllS6_,"axG",@progbits,_ZN2at6native16triu_tril_kernelIiiLb1ELi2ELb0EEEvNS_4cuda6detail10TensorInfoIT_T0_EENS4_IKS5_S6_EEllS6_,comdat
.Lfunc_end61:
	.size	_ZN2at6native16triu_tril_kernelIiiLb1ELi2ELb0EEEvNS_4cuda6detail10TensorInfoIT_T0_EENS4_IKS5_S6_EEllS6_, .Lfunc_end61-_ZN2at6native16triu_tril_kernelIiiLb1ELi2ELb0EEEvNS_4cuda6detail10TensorInfoIT_T0_EENS4_IKS5_S6_EEllS6_
                                        ; -- End function
	.set _ZN2at6native16triu_tril_kernelIiiLb1ELi2ELb0EEEvNS_4cuda6detail10TensorInfoIT_T0_EENS4_IKS5_S6_EEllS6_.num_vgpr, 26
	.set _ZN2at6native16triu_tril_kernelIiiLb1ELi2ELb0EEEvNS_4cuda6detail10TensorInfoIT_T0_EENS4_IKS5_S6_EEllS6_.num_agpr, 0
	.set _ZN2at6native16triu_tril_kernelIiiLb1ELi2ELb0EEEvNS_4cuda6detail10TensorInfoIT_T0_EENS4_IKS5_S6_EEllS6_.numbered_sgpr, 68
	.set _ZN2at6native16triu_tril_kernelIiiLb1ELi2ELb0EEEvNS_4cuda6detail10TensorInfoIT_T0_EENS4_IKS5_S6_EEllS6_.num_named_barrier, 0
	.set _ZN2at6native16triu_tril_kernelIiiLb1ELi2ELb0EEEvNS_4cuda6detail10TensorInfoIT_T0_EENS4_IKS5_S6_EEllS6_.private_seg_size, 0
	.set _ZN2at6native16triu_tril_kernelIiiLb1ELi2ELb0EEEvNS_4cuda6detail10TensorInfoIT_T0_EENS4_IKS5_S6_EEllS6_.uses_vcc, 1
	.set _ZN2at6native16triu_tril_kernelIiiLb1ELi2ELb0EEEvNS_4cuda6detail10TensorInfoIT_T0_EENS4_IKS5_S6_EEllS6_.uses_flat_scratch, 0
	.set _ZN2at6native16triu_tril_kernelIiiLb1ELi2ELb0EEEvNS_4cuda6detail10TensorInfoIT_T0_EENS4_IKS5_S6_EEllS6_.has_dyn_sized_stack, 0
	.set _ZN2at6native16triu_tril_kernelIiiLb1ELi2ELb0EEEvNS_4cuda6detail10TensorInfoIT_T0_EENS4_IKS5_S6_EEllS6_.has_recursion, 0
	.set _ZN2at6native16triu_tril_kernelIiiLb1ELi2ELb0EEEvNS_4cuda6detail10TensorInfoIT_T0_EENS4_IKS5_S6_EEllS6_.has_indirect_call, 0
	.section	.AMDGPU.csdata,"",@progbits
; Kernel info:
; codeLenInByte = 8272
; TotalNumSgprs: 70
; NumVgprs: 26
; ScratchSize: 0
; MemoryBound: 0
; FloatMode: 240
; IeeeMode: 1
; LDSByteSize: 0 bytes/workgroup (compile time only)
; SGPRBlocks: 0
; VGPRBlocks: 3
; NumSGPRsForWavesPerEU: 70
; NumVGPRsForWavesPerEU: 26
; Occupancy: 16
; WaveLimiterHint : 1
; COMPUTE_PGM_RSRC2:SCRATCH_EN: 0
; COMPUTE_PGM_RSRC2:USER_SGPR: 2
; COMPUTE_PGM_RSRC2:TRAP_HANDLER: 0
; COMPUTE_PGM_RSRC2:TGID_X_EN: 1
; COMPUTE_PGM_RSRC2:TGID_Y_EN: 0
; COMPUTE_PGM_RSRC2:TGID_Z_EN: 0
; COMPUTE_PGM_RSRC2:TIDIG_COMP_CNT: 0
	.section	.text._ZN2at6native16triu_tril_kernelIilLb1ELi2ELb1EEEvNS_4cuda6detail10TensorInfoIT_T0_EENS4_IKS5_S6_EEllS6_,"axG",@progbits,_ZN2at6native16triu_tril_kernelIilLb1ELi2ELb1EEEvNS_4cuda6detail10TensorInfoIT_T0_EENS4_IKS5_S6_EEllS6_,comdat
	.protected	_ZN2at6native16triu_tril_kernelIilLb1ELi2ELb1EEEvNS_4cuda6detail10TensorInfoIT_T0_EENS4_IKS5_S6_EEllS6_ ; -- Begin function _ZN2at6native16triu_tril_kernelIilLb1ELi2ELb1EEEvNS_4cuda6detail10TensorInfoIT_T0_EENS4_IKS5_S6_EEllS6_
	.globl	_ZN2at6native16triu_tril_kernelIilLb1ELi2ELb1EEEvNS_4cuda6detail10TensorInfoIT_T0_EENS4_IKS5_S6_EEllS6_
	.p2align	8
	.type	_ZN2at6native16triu_tril_kernelIilLb1ELi2ELb1EEEvNS_4cuda6detail10TensorInfoIT_T0_EENS4_IKS5_S6_EEllS6_,@function
_ZN2at6native16triu_tril_kernelIilLb1ELi2ELb1EEEvNS_4cuda6detail10TensorInfoIT_T0_EENS4_IKS5_S6_EEllS6_: ; @_ZN2at6native16triu_tril_kernelIilLb1ELi2ELb1EEEvNS_4cuda6detail10TensorInfoIT_T0_EENS4_IKS5_S6_EEllS6_
; %bb.0:
	s_clause 0x1
	s_load_b32 s2, s[0:1], 0x364
	s_load_b128 s[4:7], s[0:1], 0x340
	v_mov_b32_e32 v2, 0
	s_mov_b32 s3, exec_lo
	s_delay_alu instid0(VALU_DEP_1)
	v_mov_b32_e32 v1, v2
	s_wait_kmcnt 0x0
	s_and_b32 s2, s2, 0xffff
	s_delay_alu instid0(VALU_DEP_1) | instid1(SALU_CYCLE_1)
	v_mad_co_u64_u32 v[0:1], null, s2, ttmp9, v[0:1]
	s_delay_alu instid0(VALU_DEP_1) | instskip(NEXT) | instid1(VALU_DEP_1)
	v_lshlrev_b64_e32 v[0:1], 1, v[0:1]
	v_cmpx_gt_i64_e64 s[6:7], v[0:1]
	s_cbranch_execz .LBB62_41
; %bb.1:
	s_load_b32 s22, s[0:1], 0x338
	s_add_nc_u64 s[12:13], s[0:1], 0x358
	s_clause 0x1
	s_load_b64 s[8:9], s[0:1], 0x350
	s_load_b64 s[10:11], s[0:1], 0x0
	s_add_nc_u64 s[28:29], s[0:1], 0x1a0
	s_load_b32 s3, s[12:13], 0x0
	s_movk_i32 s18, 0xffe0
	s_add_nc_u64 s[16:17], s[0:1], 0xb8
	s_mov_b32 s19, -1
	s_add_nc_u64 s[34:35], s[0:1], 0x190
	s_mov_b32 s65, 0
	s_wait_kmcnt 0x0
	s_add_co_i32 s14, s22, -2
	v_cvt_f32_u32_e32 v3, s8
	s_ashr_i32 s15, s14, 31
	s_add_co_i32 s20, s22, -3
	s_lshl_b64 s[12:13], s[14:15], 3
	s_ashr_i32 s23, s22, 31
	s_add_nc_u64 s[12:13], s[28:29], s[12:13]
	v_rcp_iflag_f32_e32 v3, v3
	s_load_b64 s[12:13], s[12:13], 0x8
	s_mul_i32 s24, s3, s2
	s_and_b32 s25, s20, 3
	s_lshl_b64 s[2:3], s[22:23], 3
	s_ashr_i32 s21, s20, 31
	s_and_b32 s14, s14, 3
	s_lshl_b32 s62, s24, 1
	s_cmp_lg_u32 s25, 3
	v_cmp_gt_i64_e64 s33, s[22:23], 2
	s_cselect_b32 s63, -1, 0
	s_cmp_gt_u32 s20, 2
	s_wait_alu 0xfffe
	s_add_nc_u64 s[22:23], s[0:1], s[2:3]
	s_add_nc_u64 s[24:25], s[28:29], s[2:3]
	s_cselect_b32 s64, -1, 0
	s_lshl_b64 s[2:3], s[20:21], 3
	s_mov_b32 s15, 0
	s_wait_alu 0xfffe
	s_add_nc_u64 s[30:31], s[0:1], s[2:3]
	s_add_nc_u64 s[2:3], s[28:29], s[2:3]
	s_mov_b64 s[26:27], s[14:15]
	s_add_nc_u64 s[28:29], s[30:31], 0xd0
	s_wait_kmcnt 0x0
	v_cvt_f32_u32_e32 v4, s12
	s_wait_alu 0xfffe
	s_add_nc_u64 s[30:31], s[2:3], 8
	s_ashr_i32 s36, s9, 31
	s_delay_alu instid0(VALU_DEP_1) | instskip(NEXT) | instid1(TRANS32_DEP_1)
	v_rcp_iflag_f32_e32 v4, v4
	v_dual_mul_f32 v3, 0x4f7ffffe, v3 :: v_dual_mul_f32 v4, 0x4f7ffffe, v4
	s_delay_alu instid0(VALU_DEP_1) | instskip(NEXT) | instid1(VALU_DEP_2)
	v_cvt_u32_f32_e32 v18, v3
	v_cvt_u32_f32_e32 v19, v4
	s_branch .LBB62_3
.LBB62_2:                               ;   in Loop: Header=BB62_3 Depth=1
	s_wait_alu 0xfffe
	s_or_b32 exec_lo, exec_lo, s37
	v_add_co_u32 v0, vcc_lo, v0, s62
	s_wait_alu 0xfffd
	v_add_co_ci_u32_e64 v1, null, 0, v1, vcc_lo
	s_delay_alu instid0(VALU_DEP_1) | instskip(SKIP_1) | instid1(SALU_CYCLE_1)
	v_cmp_le_i64_e32 vcc_lo, s[6:7], v[0:1]
	s_or_b32 s65, vcc_lo, s65
	s_and_not1_b32 exec_lo, exec_lo, s65
	s_cbranch_execz .LBB62_41
.LBB62_3:                               ; =>This Loop Header: Depth=1
                                        ;     Child Loop BB62_17 Depth 2
                                        ;     Child Loop BB62_22 Depth 2
	v_or_b32_e32 v3, s9, v1
                                        ; implicit-def: $vgpr6_vgpr7
	s_mov_b32 s0, exec_lo
	s_delay_alu instid0(VALU_DEP_1)
	v_cmpx_ne_u64_e32 0, v[2:3]
	s_wait_alu 0xfffe
	s_xor_b32 s1, exec_lo, s0
	s_cbranch_execz .LBB62_5
; %bb.4:                                ;   in Loop: Header=BB62_3 Depth=1
	s_mov_b32 s37, s36
	v_ashrrev_i32_e32 v9, 31, v1
	s_wait_alu 0xfffe
	s_add_nc_u64 s[2:3], s[8:9], s[36:37]
	s_wait_alu 0xfffe
	s_xor_b64 s[2:3], s[2:3], s[36:37]
	v_add_co_u32 v3, vcc_lo, v0, v9
	s_wait_alu 0xfffe
	s_cvt_f32_u32 s0, s2
	s_cvt_f32_u32 s14, s3
	s_sub_nc_u64 s[40:41], 0, s[2:3]
	s_wait_alu 0xfffd
	v_add_co_ci_u32_e64 v4, null, v1, v9, vcc_lo
	s_wait_alu 0xfffe
	s_fmamk_f32 s0, s14, 0x4f800000, s0
	v_xor_b32_e32 v10, v3, v9
	s_delay_alu instid0(VALU_DEP_2) | instskip(SKIP_2) | instid1(TRANS32_DEP_1)
	v_xor_b32_e32 v11, v4, v9
	s_wait_alu 0xfffe
	v_s_rcp_f32 s0, s0
	s_mul_f32 s0, s0, 0x5f7ffffc
	s_wait_alu 0xfffe
	s_delay_alu instid0(SALU_CYCLE_2) | instskip(SKIP_1) | instid1(SALU_CYCLE_2)
	s_mul_f32 s14, s0, 0x2f800000
	s_wait_alu 0xfffe
	s_trunc_f32 s14, s14
	s_wait_alu 0xfffe
	s_delay_alu instid0(SALU_CYCLE_2) | instskip(SKIP_2) | instid1(SALU_CYCLE_1)
	s_fmamk_f32 s0, s14, 0xcf800000, s0
	s_cvt_u32_f32 s39, s14
	s_wait_alu 0xfffe
	s_cvt_u32_f32 s38, s0
	s_wait_alu 0xfffe
	s_delay_alu instid0(SALU_CYCLE_2) | instskip(NEXT) | instid1(SALU_CYCLE_1)
	s_mul_u64 s[42:43], s[40:41], s[38:39]
	s_mul_hi_u32 s45, s38, s43
	s_mul_i32 s44, s38, s43
	s_mul_hi_u32 s14, s38, s42
	s_mul_i32 s37, s39, s42
	s_wait_alu 0xfffe
	s_add_nc_u64 s[44:45], s[14:15], s[44:45]
	s_mul_hi_u32 s0, s39, s42
	s_mul_hi_u32 s46, s39, s43
	s_wait_alu 0xfffe
	s_add_co_u32 s14, s44, s37
	s_add_co_ci_u32 s14, s45, s0
	s_mul_i32 s42, s39, s43
	s_add_co_ci_u32 s43, s46, 0
	s_wait_alu 0xfffe
	s_add_nc_u64 s[42:43], s[14:15], s[42:43]
	s_delay_alu instid0(SALU_CYCLE_1)
	s_add_co_u32 s38, s38, s42
	s_cselect_b32 s0, -1, 0
	s_wait_alu 0xfffe
	s_cmp_lg_u32 s0, 0
	s_add_co_ci_u32 s39, s39, s43
	s_wait_alu 0xfffe
	s_mul_u64 s[40:41], s[40:41], s[38:39]
	s_delay_alu instid0(SALU_CYCLE_1)
	s_mul_hi_u32 s43, s38, s41
	s_mul_i32 s42, s38, s41
	s_mul_hi_u32 s14, s38, s40
	s_mul_i32 s37, s39, s40
	s_wait_alu 0xfffe
	s_add_nc_u64 s[42:43], s[14:15], s[42:43]
	s_mul_hi_u32 s0, s39, s40
	s_mul_hi_u32 s44, s39, s41
	s_add_co_u32 s14, s42, s37
	s_wait_alu 0xfffe
	s_add_co_ci_u32 s14, s43, s0
	s_mul_i32 s40, s39, s41
	s_add_co_ci_u32 s41, s44, 0
	s_wait_alu 0xfffe
	s_add_nc_u64 s[40:41], s[14:15], s[40:41]
	s_delay_alu instid0(SALU_CYCLE_1)
	s_add_co_u32 s0, s38, s40
	s_cselect_b32 s14, -1, 0
	s_wait_alu 0xfffe
	v_mul_hi_u32 v12, v10, s0
	s_cmp_lg_u32 s14, 0
	v_mad_co_u64_u32 v[5:6], null, v11, s0, 0
	s_add_co_ci_u32 s14, s39, s41
	s_wait_alu 0xfffe
	v_mad_co_u64_u32 v[3:4], null, v10, s14, 0
	v_mad_co_u64_u32 v[7:8], null, v11, s14, 0
	s_delay_alu instid0(VALU_DEP_2) | instskip(SKIP_1) | instid1(VALU_DEP_3)
	v_add_co_u32 v3, vcc_lo, v12, v3
	s_wait_alu 0xfffd
	v_add_co_ci_u32_e64 v4, null, 0, v4, vcc_lo
	s_delay_alu instid0(VALU_DEP_2) | instskip(SKIP_1) | instid1(VALU_DEP_2)
	v_add_co_u32 v3, vcc_lo, v3, v5
	s_wait_alu 0xfffd
	v_add_co_ci_u32_e32 v3, vcc_lo, v4, v6, vcc_lo
	s_wait_alu 0xfffd
	v_add_co_ci_u32_e32 v4, vcc_lo, 0, v8, vcc_lo
	s_delay_alu instid0(VALU_DEP_2) | instskip(SKIP_1) | instid1(VALU_DEP_2)
	v_add_co_u32 v5, vcc_lo, v3, v7
	s_wait_alu 0xfffd
	v_add_co_ci_u32_e64 v6, null, 0, v4, vcc_lo
	s_delay_alu instid0(VALU_DEP_2) | instskip(SKIP_1) | instid1(VALU_DEP_3)
	v_mul_lo_u32 v7, s3, v5
	v_mad_co_u64_u32 v[3:4], null, s2, v5, 0
	v_mul_lo_u32 v8, s2, v6
	s_delay_alu instid0(VALU_DEP_2) | instskip(NEXT) | instid1(VALU_DEP_2)
	v_sub_co_u32 v3, vcc_lo, v10, v3
	v_add3_u32 v4, v4, v8, v7
	v_add_co_u32 v8, s0, v5, 2
	s_wait_alu 0xf1ff
	v_add_co_ci_u32_e64 v10, null, 0, v6, s0
	s_delay_alu instid0(VALU_DEP_3) | instskip(SKIP_3) | instid1(VALU_DEP_3)
	v_sub_nc_u32_e32 v7, v11, v4
	v_sub_co_u32 v12, s0, v3, s2
	s_wait_alu 0xfffd
	v_sub_co_ci_u32_e64 v4, null, v11, v4, vcc_lo
	v_subrev_co_ci_u32_e64 v7, null, s3, v7, vcc_lo
	s_delay_alu instid0(VALU_DEP_3) | instskip(SKIP_1) | instid1(VALU_DEP_2)
	v_cmp_le_u32_e32 vcc_lo, s2, v12
	s_wait_alu 0xf1ff
	v_subrev_co_ci_u32_e64 v7, null, 0, v7, s0
	s_wait_alu 0xfffd
	v_cndmask_b32_e64 v11, 0, -1, vcc_lo
	s_delay_alu instid0(VALU_DEP_2)
	v_cmp_le_u32_e32 vcc_lo, s3, v7
	s_wait_alu 0xfffd
	v_cndmask_b32_e64 v12, 0, -1, vcc_lo
	v_cmp_le_u32_e32 vcc_lo, s2, v3
	s_wait_alu 0xfffd
	v_cndmask_b32_e64 v3, 0, -1, vcc_lo
	;; [unrolled: 3-line block ×3, first 2 shown]
	v_cmp_eq_u32_e32 vcc_lo, s3, v7
	s_wait_alu 0xfffd
	v_cndmask_b32_e32 v7, v12, v11, vcc_lo
	v_add_co_u32 v11, vcc_lo, v5, 1
	s_wait_alu 0xfffd
	v_add_co_ci_u32_e64 v12, null, 0, v6, vcc_lo
	v_cmp_eq_u32_e32 vcc_lo, s3, v4
	s_wait_alu 0xfffd
	v_cndmask_b32_e32 v3, v13, v3, vcc_lo
	v_cmp_ne_u32_e32 vcc_lo, 0, v7
	v_xor_b32_e32 v7, s36, v9
	s_wait_alu 0xfffd
	v_cndmask_b32_e32 v4, v12, v10, vcc_lo
	v_cmp_ne_u32_e64 s0, 0, v3
	v_cndmask_b32_e32 v3, v11, v8, vcc_lo
	s_wait_alu 0xf1ff
	s_delay_alu instid0(VALU_DEP_2) | instskip(NEXT) | instid1(VALU_DEP_2)
	v_cndmask_b32_e64 v4, v6, v4, s0
	v_cndmask_b32_e64 v3, v5, v3, s0
	s_delay_alu instid0(VALU_DEP_2) | instskip(NEXT) | instid1(VALU_DEP_2)
	v_xor_b32_e32 v4, v4, v7
	v_xor_b32_e32 v3, v3, v7
	s_delay_alu instid0(VALU_DEP_1) | instskip(SKIP_1) | instid1(VALU_DEP_3)
	v_sub_co_u32 v6, vcc_lo, v3, v7
	s_wait_alu 0xfffd
	v_sub_co_ci_u32_e64 v7, null, v4, v7, vcc_lo
.LBB62_5:                               ;   in Loop: Header=BB62_3 Depth=1
	s_wait_alu 0xfffe
	s_and_not1_saveexec_b32 s0, s1
	s_cbranch_execz .LBB62_7
; %bb.6:                                ;   in Loop: Header=BB62_3 Depth=1
	s_sub_co_i32 s1, 0, s8
	v_mov_b32_e32 v7, v2
	s_wait_alu 0xfffe
	v_mul_lo_u32 v3, s1, v18
	s_delay_alu instid0(VALU_DEP_1) | instskip(NEXT) | instid1(VALU_DEP_1)
	v_mul_hi_u32 v3, v18, v3
	v_add_nc_u32_e32 v3, v18, v3
	s_delay_alu instid0(VALU_DEP_1) | instskip(NEXT) | instid1(VALU_DEP_1)
	v_mul_hi_u32 v3, v0, v3
	v_mul_lo_u32 v4, v3, s8
	v_add_nc_u32_e32 v5, 1, v3
	s_delay_alu instid0(VALU_DEP_2) | instskip(NEXT) | instid1(VALU_DEP_1)
	v_sub_nc_u32_e32 v4, v0, v4
	v_subrev_nc_u32_e32 v6, s8, v4
	v_cmp_le_u32_e32 vcc_lo, s8, v4
	s_wait_alu 0xfffd
	s_delay_alu instid0(VALU_DEP_2) | instskip(NEXT) | instid1(VALU_DEP_1)
	v_dual_cndmask_b32 v4, v4, v6 :: v_dual_cndmask_b32 v3, v3, v5
	v_cmp_le_u32_e32 vcc_lo, s8, v4
	s_delay_alu instid0(VALU_DEP_2) | instskip(SKIP_1) | instid1(VALU_DEP_1)
	v_add_nc_u32_e32 v5, 1, v3
	s_wait_alu 0xfffd
	v_cndmask_b32_e32 v6, v3, v5, vcc_lo
.LBB62_7:                               ;   in Loop: Header=BB62_3 Depth=1
	s_wait_alu 0xfffe
	s_or_b32 exec_lo, exec_lo, s0
	v_or_b32_e32 v3, s13, v7
                                        ; implicit-def: $vgpr8_vgpr9
	s_mov_b32 s0, exec_lo
	s_delay_alu instid0(VALU_DEP_1)
	v_cmpx_ne_u64_e32 0, v[2:3]
	s_wait_alu 0xfffe
	s_xor_b32 s1, exec_lo, s0
	s_cbranch_execz .LBB62_9
; %bb.8:                                ;   in Loop: Header=BB62_3 Depth=1
	s_ashr_i32 s2, s13, 31
	v_ashrrev_i32_e32 v5, 31, v7
	s_wait_alu 0xfffe
	s_mov_b32 s3, s2
	s_wait_alu 0xfffe
	s_add_nc_u64 s[38:39], s[12:13], s[2:3]
	v_add_co_u32 v3, vcc_lo, v6, v5
	s_wait_alu 0xfffe
	s_xor_b64 s[38:39], s[38:39], s[2:3]
	s_wait_alu 0xfffd
	v_add_co_ci_u32_e64 v4, null, v7, v5, vcc_lo
	s_wait_alu 0xfffe
	s_cvt_f32_u32 s0, s38
	s_cvt_f32_u32 s3, s39
	s_sub_nc_u64 s[42:43], 0, s[38:39]
	v_xor_b32_e32 v12, v3, v5
	v_xor_b32_e32 v13, v4, v5
	s_wait_alu 0xfffe
	s_fmamk_f32 s0, s3, 0x4f800000, s0
	v_xor_b32_e32 v5, s2, v5
	s_wait_alu 0xfffe
	s_delay_alu instid0(SALU_CYCLE_1) | instskip(NEXT) | instid1(TRANS32_DEP_1)
	v_s_rcp_f32 s0, s0
	s_mul_f32 s0, s0, 0x5f7ffffc
	s_wait_alu 0xfffe
	s_delay_alu instid0(SALU_CYCLE_2) | instskip(SKIP_1) | instid1(SALU_CYCLE_2)
	s_mul_f32 s3, s0, 0x2f800000
	s_wait_alu 0xfffe
	s_trunc_f32 s3, s3
	s_wait_alu 0xfffe
	s_delay_alu instid0(SALU_CYCLE_2) | instskip(SKIP_2) | instid1(SALU_CYCLE_1)
	s_fmamk_f32 s0, s3, 0xcf800000, s0
	s_cvt_u32_f32 s41, s3
	s_wait_alu 0xfffe
	s_cvt_u32_f32 s40, s0
	s_delay_alu instid0(SALU_CYCLE_3)
	s_mul_u64 s[44:45], s[42:43], s[40:41]
	s_wait_alu 0xfffe
	s_mul_hi_u32 s47, s40, s45
	s_mul_i32 s46, s40, s45
	s_mul_hi_u32 s14, s40, s44
	s_mul_i32 s3, s41, s44
	s_wait_alu 0xfffe
	s_add_nc_u64 s[46:47], s[14:15], s[46:47]
	s_mul_hi_u32 s0, s41, s44
	s_mul_hi_u32 s37, s41, s45
	s_wait_alu 0xfffe
	s_add_co_u32 s3, s46, s3
	s_add_co_ci_u32 s14, s47, s0
	s_mul_i32 s44, s41, s45
	s_add_co_ci_u32 s45, s37, 0
	s_wait_alu 0xfffe
	s_add_nc_u64 s[44:45], s[14:15], s[44:45]
	s_wait_alu 0xfffe
	s_add_co_u32 s40, s40, s44
	s_cselect_b32 s0, -1, 0
	s_wait_alu 0xfffe
	s_cmp_lg_u32 s0, 0
	s_add_co_ci_u32 s41, s41, s45
	s_delay_alu instid0(SALU_CYCLE_1) | instskip(NEXT) | instid1(SALU_CYCLE_1)
	s_mul_u64 s[42:43], s[42:43], s[40:41]
	s_mul_hi_u32 s45, s40, s43
	s_mul_i32 s44, s40, s43
	s_mul_hi_u32 s14, s40, s42
	s_mul_i32 s3, s41, s42
	s_wait_alu 0xfffe
	s_add_nc_u64 s[44:45], s[14:15], s[44:45]
	s_mul_hi_u32 s0, s41, s42
	s_mul_hi_u32 s37, s41, s43
	s_wait_alu 0xfffe
	s_add_co_u32 s3, s44, s3
	s_add_co_ci_u32 s14, s45, s0
	s_mul_i32 s42, s41, s43
	s_add_co_ci_u32 s43, s37, 0
	s_wait_alu 0xfffe
	s_add_nc_u64 s[42:43], s[14:15], s[42:43]
	s_delay_alu instid0(SALU_CYCLE_1)
	s_add_co_u32 s0, s40, s42
	s_cselect_b32 s3, -1, 0
	s_wait_alu 0xfffe
	v_mul_hi_u32 v14, v12, s0
	s_cmp_lg_u32 s3, 0
	v_mad_co_u64_u32 v[8:9], null, v13, s0, 0
	s_add_co_ci_u32 s3, s41, s43
	s_wait_alu 0xfffe
	v_mad_co_u64_u32 v[3:4], null, v12, s3, 0
	v_mad_co_u64_u32 v[10:11], null, v13, s3, 0
	s_delay_alu instid0(VALU_DEP_2) | instskip(SKIP_1) | instid1(VALU_DEP_3)
	v_add_co_u32 v3, vcc_lo, v14, v3
	s_wait_alu 0xfffd
	v_add_co_ci_u32_e64 v4, null, 0, v4, vcc_lo
	s_delay_alu instid0(VALU_DEP_2) | instskip(SKIP_1) | instid1(VALU_DEP_2)
	v_add_co_u32 v3, vcc_lo, v3, v8
	s_wait_alu 0xfffd
	v_add_co_ci_u32_e32 v3, vcc_lo, v4, v9, vcc_lo
	s_wait_alu 0xfffd
	v_add_co_ci_u32_e32 v4, vcc_lo, 0, v11, vcc_lo
	s_delay_alu instid0(VALU_DEP_2) | instskip(SKIP_1) | instid1(VALU_DEP_2)
	v_add_co_u32 v8, vcc_lo, v3, v10
	s_wait_alu 0xfffd
	v_add_co_ci_u32_e64 v9, null, 0, v4, vcc_lo
	s_delay_alu instid0(VALU_DEP_2) | instskip(SKIP_1) | instid1(VALU_DEP_3)
	v_mul_lo_u32 v10, s39, v8
	v_mad_co_u64_u32 v[3:4], null, s38, v8, 0
	v_mul_lo_u32 v11, s38, v9
	s_delay_alu instid0(VALU_DEP_2) | instskip(NEXT) | instid1(VALU_DEP_2)
	v_sub_co_u32 v3, vcc_lo, v12, v3
	v_add3_u32 v4, v4, v11, v10
	v_add_co_u32 v11, s0, v8, 2
	s_wait_alu 0xf1ff
	v_add_co_ci_u32_e64 v12, null, 0, v9, s0
	s_delay_alu instid0(VALU_DEP_3) | instskip(SKIP_3) | instid1(VALU_DEP_3)
	v_sub_nc_u32_e32 v10, v13, v4
	v_sub_co_u32 v14, s0, v3, s38
	s_wait_alu 0xfffd
	v_sub_co_ci_u32_e64 v4, null, v13, v4, vcc_lo
	v_subrev_co_ci_u32_e64 v10, null, s39, v10, vcc_lo
	s_delay_alu instid0(VALU_DEP_3) | instskip(SKIP_1) | instid1(VALU_DEP_2)
	v_cmp_le_u32_e32 vcc_lo, s38, v14
	s_wait_alu 0xf1ff
	v_subrev_co_ci_u32_e64 v10, null, 0, v10, s0
	s_wait_alu 0xfffd
	v_cndmask_b32_e64 v13, 0, -1, vcc_lo
	s_delay_alu instid0(VALU_DEP_2)
	v_cmp_le_u32_e32 vcc_lo, s39, v10
	s_wait_alu 0xfffd
	v_cndmask_b32_e64 v14, 0, -1, vcc_lo
	v_cmp_le_u32_e32 vcc_lo, s38, v3
	s_wait_alu 0xfffd
	v_cndmask_b32_e64 v3, 0, -1, vcc_lo
	;; [unrolled: 3-line block ×3, first 2 shown]
	v_cmp_eq_u32_e32 vcc_lo, s39, v10
	s_wait_alu 0xfffd
	v_cndmask_b32_e32 v10, v14, v13, vcc_lo
	v_add_co_u32 v13, vcc_lo, v8, 1
	s_wait_alu 0xfffd
	v_add_co_ci_u32_e64 v14, null, 0, v9, vcc_lo
	v_cmp_eq_u32_e32 vcc_lo, s39, v4
	s_wait_alu 0xfffd
	v_cndmask_b32_e32 v3, v15, v3, vcc_lo
	v_cmp_ne_u32_e32 vcc_lo, 0, v10
	s_delay_alu instid0(VALU_DEP_2) | instskip(SKIP_3) | instid1(VALU_DEP_1)
	v_cmp_ne_u32_e64 s0, 0, v3
	s_wait_alu 0xfffd
	v_dual_cndmask_b32 v4, v14, v12 :: v_dual_cndmask_b32 v3, v13, v11
	s_wait_alu 0xf1ff
	v_cndmask_b32_e64 v4, v9, v4, s0
	s_delay_alu instid0(VALU_DEP_2) | instskip(NEXT) | instid1(VALU_DEP_2)
	v_cndmask_b32_e64 v3, v8, v3, s0
	v_xor_b32_e32 v4, v4, v5
	s_delay_alu instid0(VALU_DEP_2) | instskip(NEXT) | instid1(VALU_DEP_1)
	v_xor_b32_e32 v3, v3, v5
	v_sub_co_u32 v8, vcc_lo, v3, v5
	s_wait_alu 0xfffd
	s_delay_alu instid0(VALU_DEP_3)
	v_sub_co_ci_u32_e64 v9, null, v4, v5, vcc_lo
.LBB62_9:                               ;   in Loop: Header=BB62_3 Depth=1
	s_wait_alu 0xfffe
	s_and_not1_saveexec_b32 s0, s1
	s_cbranch_execz .LBB62_11
; %bb.10:                               ;   in Loop: Header=BB62_3 Depth=1
	s_sub_co_i32 s1, 0, s12
	v_mov_b32_e32 v9, v2
	s_wait_alu 0xfffe
	v_mul_lo_u32 v3, s1, v19
	s_delay_alu instid0(VALU_DEP_1) | instskip(NEXT) | instid1(VALU_DEP_1)
	v_mul_hi_u32 v3, v19, v3
	v_add_nc_u32_e32 v3, v19, v3
	s_delay_alu instid0(VALU_DEP_1) | instskip(NEXT) | instid1(VALU_DEP_1)
	v_mul_hi_u32 v3, v6, v3
	v_mul_lo_u32 v4, v3, s12
	v_add_nc_u32_e32 v5, 1, v3
	s_delay_alu instid0(VALU_DEP_2) | instskip(NEXT) | instid1(VALU_DEP_1)
	v_sub_nc_u32_e32 v4, v6, v4
	v_subrev_nc_u32_e32 v8, s12, v4
	v_cmp_le_u32_e32 vcc_lo, s12, v4
	s_wait_alu 0xfffd
	s_delay_alu instid0(VALU_DEP_2) | instskip(NEXT) | instid1(VALU_DEP_1)
	v_dual_cndmask_b32 v4, v4, v8 :: v_dual_cndmask_b32 v3, v3, v5
	v_cmp_le_u32_e32 vcc_lo, s12, v4
	s_delay_alu instid0(VALU_DEP_2) | instskip(SKIP_1) | instid1(VALU_DEP_1)
	v_add_nc_u32_e32 v5, 1, v3
	s_wait_alu 0xfffd
	v_cndmask_b32_e32 v8, v3, v5, vcc_lo
.LBB62_11:                              ;   in Loop: Header=BB62_3 Depth=1
	s_wait_alu 0xfffe
	s_or_b32 exec_lo, exec_lo, s0
	v_mul_lo_u32 v5, v7, s8
	v_mul_lo_u32 v12, v6, s9
	v_mad_co_u64_u32 v[3:4], null, v6, s8, 0
	v_mul_lo_u32 v13, v9, s12
	v_mul_lo_u32 v14, v8, s13
	v_mad_co_u64_u32 v[10:11], null, v8, s12, 0
	s_mov_b32 s37, exec_lo
	v_add3_u32 v5, v4, v12, v5
	v_sub_co_u32 v4, vcc_lo, v0, v3
	v_add3_u32 v11, v11, v14, v13
	s_wait_alu 0xfffd
	s_delay_alu instid0(VALU_DEP_3) | instskip(SKIP_3) | instid1(VALU_DEP_2)
	v_sub_co_ci_u32_e64 v5, null, v1, v5, vcc_lo
	v_sub_co_u32 v20, vcc_lo, v6, v10
	s_wait_alu 0xfffd
	v_sub_co_ci_u32_e64 v21, null, v7, v11, vcc_lo
	v_sub_co_u32 v6, vcc_lo, v4, v20
	s_wait_alu 0xfffd
	s_delay_alu instid0(VALU_DEP_2) | instskip(NEXT) | instid1(VALU_DEP_1)
	v_sub_co_ci_u32_e64 v7, null, v5, v21, vcc_lo
	v_cmpx_gt_i64_e64 s[4:5], v[6:7]
	s_cbranch_execz .LBB62_2
; %bb.12:                               ;   in Loop: Header=BB62_3 Depth=1
	s_load_b128 s[0:3], s[22:23], 0xc0
	s_and_not1_b32 vcc_lo, exec_lo, s33
	s_wait_kmcnt 0x0
	v_mul_lo_u32 v3, s3, v4
	v_mul_lo_u32 v10, s2, v5
	v_mad_co_u64_u32 v[6:7], null, s2, v4, 0
	s_delay_alu instid0(VALU_DEP_1) | instskip(SKIP_2) | instid1(VALU_DEP_3)
	v_add3_u32 v7, v7, v10, v3
	v_mul_lo_u32 v3, s0, v21
	v_mul_lo_u32 v10, s1, v20
	v_mad_co_u64_u32 v[6:7], null, s0, v20, v[6:7]
	s_delay_alu instid0(VALU_DEP_1)
	v_add3_u32 v7, v10, v7, v3
	s_wait_alu 0xfffe
	s_cbranch_vccnz .LBB62_38
; %bb.13:                               ;   in Loop: Header=BB62_3 Depth=1
	s_mov_b64 s[38:39], s[26:27]
	s_mov_b64 s[40:41], s[30:31]
	s_and_not1_b32 vcc_lo, exec_lo, s63
	s_mov_b64 s[44:45], s[28:29]
	s_mov_b64 s[42:43], s[20:21]
	s_wait_alu 0xfffe
	s_cbranch_vccz .LBB62_17
.LBB62_14:                              ;   in Loop: Header=BB62_3 Depth=1
	s_and_not1_b32 vcc_lo, exec_lo, s64
	s_wait_alu 0xfffe
	s_cbranch_vccnz .LBB62_38
; %bb.15:                               ;   in Loop: Header=BB62_3 Depth=1
	s_lshl_b64 s[0:1], s[42:43], 3
	s_add_nc_u64 s[42:43], s[42:43], 1
	s_wait_alu 0xfffe
	s_add_nc_u64 s[38:39], s[16:17], s[0:1]
	s_add_nc_u64 s[40:41], s[34:35], s[0:1]
	s_branch .LBB62_22
.LBB62_16:                              ;   in Loop: Header=BB62_17 Depth=2
	s_wait_alu 0xfffe
	s_or_b32 exec_lo, exec_lo, s0
	s_load_b64 s[0:1], s[44:45], 0x0
	v_mul_lo_u32 v3, v11, s46
	v_mul_lo_u32 v14, v10, s47
	v_mad_co_u64_u32 v[12:13], null, v10, s46, 0
	s_add_nc_u64 s[38:39], s[38:39], -1
	s_add_nc_u64 s[42:43], s[42:43], -1
	;; [unrolled: 1-line block ×3, first 2 shown]
	s_wait_alu 0xfffe
	s_cmp_lg_u64 s[38:39], 0
	s_add_nc_u64 s[40:41], s[40:41], -8
	v_add3_u32 v3, v13, v14, v3
	v_sub_co_u32 v8, vcc_lo, v8, v12
	s_wait_alu 0xfffd
	s_delay_alu instid0(VALU_DEP_2) | instskip(SKIP_1) | instid1(VALU_DEP_2)
	v_sub_co_ci_u32_e64 v3, null, v9, v3, vcc_lo
	s_wait_kmcnt 0x0
	v_mul_lo_u32 v9, s1, v8
	s_delay_alu instid0(VALU_DEP_2) | instskip(SKIP_1) | instid1(VALU_DEP_1)
	v_mul_lo_u32 v3, s0, v3
	v_mad_co_u64_u32 v[6:7], null, s0, v8, v[6:7]
	v_add3_u32 v7, v9, v7, v3
	v_dual_mov_b32 v8, v10 :: v_dual_mov_b32 v9, v11
	s_cbranch_scc0 .LBB62_14
.LBB62_17:                              ;   Parent Loop BB62_3 Depth=1
                                        ; =>  This Inner Loop Header: Depth=2
	s_load_b64 s[46:47], s[40:41], 0x0
                                        ; implicit-def: $vgpr10_vgpr11
	s_mov_b32 s0, exec_lo
	s_wait_kmcnt 0x0
	v_or_b32_e32 v3, s47, v9
	s_delay_alu instid0(VALU_DEP_1)
	v_cmpx_ne_u64_e32 0, v[2:3]
	s_wait_alu 0xfffe
	s_xor_b32 s1, exec_lo, s0
	s_cbranch_execz .LBB62_19
; %bb.18:                               ;   in Loop: Header=BB62_17 Depth=2
	s_ashr_i32 s48, s47, 31
	v_ashrrev_i32_e32 v3, 31, v9
	s_wait_alu 0xfffe
	s_mov_b32 s49, s48
	s_wait_alu 0xfffe
	s_add_nc_u64 s[50:51], s[46:47], s[48:49]
	v_add_co_u32 v10, vcc_lo, v8, v3
	s_wait_alu 0xfffe
	s_xor_b64 s[50:51], s[50:51], s[48:49]
	s_wait_alu 0xfffd
	v_add_co_ci_u32_e64 v11, null, v9, v3, vcc_lo
	s_wait_alu 0xfffe
	s_cvt_f32_u32 s0, s50
	s_cvt_f32_u32 s14, s51
	s_sub_nc_u64 s[54:55], 0, s[50:51]
	v_xor_b32_e32 v16, v10, v3
	v_xor_b32_e32 v17, v11, v3
	s_wait_alu 0xfffe
	s_fmamk_f32 s0, s14, 0x4f800000, s0
	v_xor_b32_e32 v3, s48, v3
	s_wait_alu 0xfffe
	s_delay_alu instid0(SALU_CYCLE_1) | instskip(NEXT) | instid1(TRANS32_DEP_1)
	v_s_rcp_f32 s0, s0
	s_mul_f32 s0, s0, 0x5f7ffffc
	s_wait_alu 0xfffe
	s_delay_alu instid0(SALU_CYCLE_2) | instskip(SKIP_1) | instid1(SALU_CYCLE_2)
	s_mul_f32 s14, s0, 0x2f800000
	s_wait_alu 0xfffe
	s_trunc_f32 s14, s14
	s_wait_alu 0xfffe
	s_delay_alu instid0(SALU_CYCLE_2) | instskip(SKIP_2) | instid1(SALU_CYCLE_1)
	s_fmamk_f32 s0, s14, 0xcf800000, s0
	s_cvt_u32_f32 s53, s14
	s_wait_alu 0xfffe
	s_cvt_u32_f32 s52, s0
	s_wait_alu 0xfffe
	s_delay_alu instid0(SALU_CYCLE_2)
	s_mul_u64 s[56:57], s[54:55], s[52:53]
	s_wait_alu 0xfffe
	s_mul_hi_u32 s59, s52, s57
	s_mul_i32 s58, s52, s57
	s_mul_hi_u32 s14, s52, s56
	s_mul_i32 s49, s53, s56
	s_wait_alu 0xfffe
	s_add_nc_u64 s[58:59], s[14:15], s[58:59]
	s_mul_hi_u32 s0, s53, s56
	s_mul_hi_u32 s60, s53, s57
	s_wait_alu 0xfffe
	s_add_co_u32 s14, s58, s49
	s_add_co_ci_u32 s14, s59, s0
	s_mul_i32 s56, s53, s57
	s_add_co_ci_u32 s57, s60, 0
	s_wait_alu 0xfffe
	s_add_nc_u64 s[56:57], s[14:15], s[56:57]
	s_wait_alu 0xfffe
	s_add_co_u32 s52, s52, s56
	s_cselect_b32 s0, -1, 0
	s_wait_alu 0xfffe
	s_cmp_lg_u32 s0, 0
	s_add_co_ci_u32 s53, s53, s57
	s_wait_alu 0xfffe
	s_mul_u64 s[54:55], s[54:55], s[52:53]
	s_wait_alu 0xfffe
	s_mul_hi_u32 s57, s52, s55
	s_mul_i32 s56, s52, s55
	s_mul_hi_u32 s14, s52, s54
	s_mul_i32 s49, s53, s54
	s_wait_alu 0xfffe
	s_add_nc_u64 s[56:57], s[14:15], s[56:57]
	s_mul_hi_u32 s0, s53, s54
	s_mul_hi_u32 s58, s53, s55
	s_wait_alu 0xfffe
	s_add_co_u32 s14, s56, s49
	s_add_co_ci_u32 s14, s57, s0
	s_mul_i32 s54, s53, s55
	s_add_co_ci_u32 s55, s58, 0
	s_wait_alu 0xfffe
	s_add_nc_u64 s[54:55], s[14:15], s[54:55]
	s_wait_alu 0xfffe
	s_add_co_u32 s0, s52, s54
	s_cselect_b32 s14, -1, 0
	s_wait_alu 0xfffe
	v_mul_hi_u32 v22, v16, s0
	s_cmp_lg_u32 s14, 0
	v_mad_co_u64_u32 v[12:13], null, v17, s0, 0
	s_add_co_ci_u32 s14, s53, s55
	s_wait_alu 0xfffe
	v_mad_co_u64_u32 v[10:11], null, v16, s14, 0
	v_mad_co_u64_u32 v[14:15], null, v17, s14, 0
	s_delay_alu instid0(VALU_DEP_2) | instskip(SKIP_1) | instid1(VALU_DEP_3)
	v_add_co_u32 v10, vcc_lo, v22, v10
	s_wait_alu 0xfffd
	v_add_co_ci_u32_e64 v11, null, 0, v11, vcc_lo
	s_delay_alu instid0(VALU_DEP_2) | instskip(SKIP_1) | instid1(VALU_DEP_2)
	v_add_co_u32 v10, vcc_lo, v10, v12
	s_wait_alu 0xfffd
	v_add_co_ci_u32_e32 v10, vcc_lo, v11, v13, vcc_lo
	s_wait_alu 0xfffd
	v_add_co_ci_u32_e32 v11, vcc_lo, 0, v15, vcc_lo
	s_delay_alu instid0(VALU_DEP_2) | instskip(SKIP_1) | instid1(VALU_DEP_2)
	v_add_co_u32 v12, vcc_lo, v10, v14
	s_wait_alu 0xfffd
	v_add_co_ci_u32_e64 v13, null, 0, v11, vcc_lo
	s_delay_alu instid0(VALU_DEP_2) | instskip(SKIP_1) | instid1(VALU_DEP_3)
	v_mul_lo_u32 v14, s51, v12
	v_mad_co_u64_u32 v[10:11], null, s50, v12, 0
	v_mul_lo_u32 v15, s50, v13
	s_delay_alu instid0(VALU_DEP_2) | instskip(NEXT) | instid1(VALU_DEP_2)
	v_sub_co_u32 v10, vcc_lo, v16, v10
	v_add3_u32 v11, v11, v15, v14
	v_add_co_u32 v15, s0, v12, 2
	s_wait_alu 0xf1ff
	v_add_co_ci_u32_e64 v16, null, 0, v13, s0
	s_delay_alu instid0(VALU_DEP_3) | instskip(SKIP_3) | instid1(VALU_DEP_3)
	v_sub_nc_u32_e32 v14, v17, v11
	v_sub_co_u32 v22, s0, v10, s50
	s_wait_alu 0xfffd
	v_sub_co_ci_u32_e64 v11, null, v17, v11, vcc_lo
	v_subrev_co_ci_u32_e64 v14, null, s51, v14, vcc_lo
	s_delay_alu instid0(VALU_DEP_3) | instskip(SKIP_1) | instid1(VALU_DEP_2)
	v_cmp_le_u32_e32 vcc_lo, s50, v22
	s_wait_alu 0xf1ff
	v_subrev_co_ci_u32_e64 v14, null, 0, v14, s0
	s_wait_alu 0xfffd
	v_cndmask_b32_e64 v17, 0, -1, vcc_lo
	s_delay_alu instid0(VALU_DEP_2)
	v_cmp_le_u32_e32 vcc_lo, s51, v14
	s_wait_alu 0xfffd
	v_cndmask_b32_e64 v22, 0, -1, vcc_lo
	v_cmp_le_u32_e32 vcc_lo, s50, v10
	s_wait_alu 0xfffd
	v_cndmask_b32_e64 v10, 0, -1, vcc_lo
	;; [unrolled: 3-line block ×3, first 2 shown]
	v_cmp_eq_u32_e32 vcc_lo, s51, v14
	s_wait_alu 0xfffd
	v_cndmask_b32_e32 v14, v22, v17, vcc_lo
	v_add_co_u32 v17, vcc_lo, v12, 1
	s_wait_alu 0xfffd
	v_add_co_ci_u32_e64 v22, null, 0, v13, vcc_lo
	v_cmp_eq_u32_e32 vcc_lo, s51, v11
	s_wait_alu 0xfffd
	v_cndmask_b32_e32 v10, v23, v10, vcc_lo
	v_cmp_ne_u32_e32 vcc_lo, 0, v14
	s_wait_alu 0xfffd
	v_cndmask_b32_e32 v11, v22, v16, vcc_lo
	s_delay_alu instid0(VALU_DEP_3) | instskip(SKIP_2) | instid1(VALU_DEP_2)
	v_cmp_ne_u32_e64 s0, 0, v10
	v_cndmask_b32_e32 v10, v17, v15, vcc_lo
	s_wait_alu 0xf1ff
	v_cndmask_b32_e64 v11, v13, v11, s0
	s_delay_alu instid0(VALU_DEP_2) | instskip(NEXT) | instid1(VALU_DEP_2)
	v_cndmask_b32_e64 v10, v12, v10, s0
	v_xor_b32_e32 v11, v11, v3
	s_delay_alu instid0(VALU_DEP_2) | instskip(NEXT) | instid1(VALU_DEP_1)
	v_xor_b32_e32 v10, v10, v3
	v_sub_co_u32 v10, vcc_lo, v10, v3
	s_wait_alu 0xfffd
	s_delay_alu instid0(VALU_DEP_3)
	v_sub_co_ci_u32_e64 v11, null, v11, v3, vcc_lo
.LBB62_19:                              ;   in Loop: Header=BB62_17 Depth=2
	s_wait_alu 0xfffe
	s_and_not1_saveexec_b32 s0, s1
	s_cbranch_execz .LBB62_16
; %bb.20:                               ;   in Loop: Header=BB62_17 Depth=2
	v_cvt_f32_u32_e32 v3, s46
	s_sub_co_i32 s1, 0, s46
	s_delay_alu instid0(VALU_DEP_1) | instskip(NEXT) | instid1(TRANS32_DEP_1)
	v_rcp_iflag_f32_e32 v3, v3
	v_mul_f32_e32 v3, 0x4f7ffffe, v3
	s_delay_alu instid0(VALU_DEP_1) | instskip(SKIP_1) | instid1(VALU_DEP_1)
	v_cvt_u32_f32_e32 v3, v3
	s_wait_alu 0xfffe
	v_mul_lo_u32 v10, s1, v3
	s_delay_alu instid0(VALU_DEP_1) | instskip(NEXT) | instid1(VALU_DEP_1)
	v_mul_hi_u32 v10, v3, v10
	v_add_nc_u32_e32 v3, v3, v10
	s_delay_alu instid0(VALU_DEP_1) | instskip(NEXT) | instid1(VALU_DEP_1)
	v_mul_hi_u32 v3, v8, v3
	v_mul_lo_u32 v10, v3, s46
	v_add_nc_u32_e32 v11, 1, v3
	s_delay_alu instid0(VALU_DEP_2) | instskip(NEXT) | instid1(VALU_DEP_1)
	v_sub_nc_u32_e32 v10, v8, v10
	v_subrev_nc_u32_e32 v12, s46, v10
	v_cmp_le_u32_e32 vcc_lo, s46, v10
	s_wait_alu 0xfffd
	s_delay_alu instid0(VALU_DEP_2) | instskip(NEXT) | instid1(VALU_DEP_1)
	v_dual_cndmask_b32 v10, v10, v12 :: v_dual_cndmask_b32 v3, v3, v11
	v_cmp_le_u32_e32 vcc_lo, s46, v10
	s_delay_alu instid0(VALU_DEP_2) | instskip(SKIP_1) | instid1(VALU_DEP_1)
	v_add_nc_u32_e32 v11, 1, v3
	s_wait_alu 0xfffd
	v_dual_cndmask_b32 v10, v3, v11 :: v_dual_mov_b32 v11, v2
	s_branch .LBB62_16
.LBB62_21:                              ;   in Loop: Header=BB62_22 Depth=2
	s_wait_alu 0xfffe
	s_or_b32 exec_lo, exec_lo, s0
	v_mul_lo_u32 v3, v11, s44
	v_mul_lo_u32 v26, v10, s45
	v_mad_co_u64_u32 v[22:23], null, v10, s44, 0
	v_mul_lo_u32 v27, v13, s48
	v_mul_lo_u32 v28, v12, s49
	v_mad_co_u64_u32 v[24:25], null, v12, s48, 0
	s_load_b64 s[0:1], s[38:39], 0x0
	s_add_nc_u64 s[42:43], s[42:43], -4
	v_add3_u32 v3, v23, v26, v3
	v_sub_co_u32 v8, vcc_lo, v8, v22
	v_mul_lo_u32 v22, v15, s52
	v_add3_u32 v23, v25, v28, v27
	s_wait_alu 0xfffd
	v_sub_co_ci_u32_e64 v3, null, v9, v3, vcc_lo
	v_mul_lo_u32 v25, s47, v8
	v_mad_co_u64_u32 v[6:7], null, s46, v8, v[6:7]
	s_delay_alu instid0(VALU_DEP_3)
	v_mul_lo_u32 v3, s46, v3
	v_mul_lo_u32 v26, v14, s53
	v_mad_co_u64_u32 v[8:9], null, v14, s52, 0
	v_sub_co_u32 v10, vcc_lo, v10, v24
	s_wait_alu 0xfffd
	v_sub_co_ci_u32_e64 v11, null, v11, v23, vcc_lo
	v_add3_u32 v7, v25, v7, v3
	s_add_nc_u64 s[38:39], s[38:39], s[18:19]
	s_delay_alu instid0(VALU_DEP_4)
	v_add3_u32 v3, v9, v26, v22
	v_mul_lo_u32 v22, s51, v10
	v_mul_lo_u32 v11, s50, v11
	v_mad_co_u64_u32 v[6:7], null, s50, v10, v[6:7]
	v_sub_co_u32 v10, vcc_lo, v12, v8
	s_wait_alu 0xfffd
	v_sub_co_ci_u32_e64 v3, null, v13, v3, vcc_lo
	v_mul_lo_u32 v12, v17, s56
	v_mul_lo_u32 v13, v16, s57
	v_mad_co_u64_u32 v[8:9], null, v16, s56, 0
	v_add3_u32 v7, v22, v7, v11
	v_mul_lo_u32 v3, s54, v3
	s_cmp_eq_u64 s[42:43], 0
	s_add_nc_u64 s[40:41], s[40:41], s[18:19]
	s_delay_alu instid0(VALU_DEP_2) | instskip(SKIP_4) | instid1(VALU_DEP_2)
	v_mad_co_u64_u32 v[6:7], null, s54, v10, v[6:7]
	v_mul_lo_u32 v10, s55, v10
	v_add3_u32 v9, v9, v13, v12
	v_sub_co_u32 v8, vcc_lo, v14, v8
	s_wait_alu 0xfffd
	v_sub_co_ci_u32_e64 v9, null, v15, v9, vcc_lo
	s_delay_alu instid0(VALU_DEP_4) | instskip(SKIP_1) | instid1(VALU_DEP_2)
	v_add3_u32 v7, v10, v7, v3
	s_wait_kmcnt 0x0
	v_mul_lo_u32 v3, s0, v9
	v_mul_lo_u32 v9, s1, v8
	s_delay_alu instid0(VALU_DEP_3) | instskip(NEXT) | instid1(VALU_DEP_1)
	v_mad_co_u64_u32 v[6:7], null, s0, v8, v[6:7]
	v_add3_u32 v7, v9, v7, v3
	v_dual_mov_b32 v8, v16 :: v_dual_mov_b32 v9, v17
	s_cbranch_scc1 .LBB62_38
.LBB62_22:                              ;   Parent Loop BB62_3 Depth=1
                                        ; =>  This Inner Loop Header: Depth=2
	s_load_b64 s[44:45], s[40:41], 0x18
                                        ; implicit-def: $vgpr10_vgpr11
	s_mov_b32 s0, exec_lo
	s_wait_kmcnt 0x0
	v_or_b32_e32 v3, s45, v9
	s_delay_alu instid0(VALU_DEP_1)
	v_cmpx_ne_u64_e32 0, v[2:3]
	s_wait_alu 0xfffe
	s_xor_b32 s1, exec_lo, s0
	s_cbranch_execz .LBB62_24
; %bb.23:                               ;   in Loop: Header=BB62_22 Depth=2
	s_ashr_i32 s46, s45, 31
	v_ashrrev_i32_e32 v3, 31, v9
	s_wait_alu 0xfffe
	s_mov_b32 s47, s46
	s_wait_alu 0xfffe
	s_add_nc_u64 s[48:49], s[44:45], s[46:47]
	v_add_co_u32 v10, vcc_lo, v8, v3
	s_wait_alu 0xfffe
	s_xor_b64 s[48:49], s[48:49], s[46:47]
	s_wait_alu 0xfffd
	v_add_co_ci_u32_e64 v11, null, v9, v3, vcc_lo
	s_wait_alu 0xfffe
	s_cvt_f32_u32 s0, s48
	s_cvt_f32_u32 s14, s49
	s_sub_nc_u64 s[52:53], 0, s[48:49]
	v_xor_b32_e32 v16, v10, v3
	v_xor_b32_e32 v17, v11, v3
	s_wait_alu 0xfffe
	s_fmamk_f32 s0, s14, 0x4f800000, s0
	v_xor_b32_e32 v3, s46, v3
	s_wait_alu 0xfffe
	s_delay_alu instid0(SALU_CYCLE_1) | instskip(NEXT) | instid1(TRANS32_DEP_1)
	v_s_rcp_f32 s0, s0
	s_mul_f32 s0, s0, 0x5f7ffffc
	s_wait_alu 0xfffe
	s_delay_alu instid0(SALU_CYCLE_2) | instskip(SKIP_1) | instid1(SALU_CYCLE_2)
	s_mul_f32 s14, s0, 0x2f800000
	s_wait_alu 0xfffe
	s_trunc_f32 s14, s14
	s_wait_alu 0xfffe
	s_delay_alu instid0(SALU_CYCLE_2) | instskip(SKIP_2) | instid1(SALU_CYCLE_1)
	s_fmamk_f32 s0, s14, 0xcf800000, s0
	s_cvt_u32_f32 s51, s14
	s_wait_alu 0xfffe
	s_cvt_u32_f32 s50, s0
	s_wait_alu 0xfffe
	s_delay_alu instid0(SALU_CYCLE_2)
	s_mul_u64 s[54:55], s[52:53], s[50:51]
	s_wait_alu 0xfffe
	s_mul_hi_u32 s57, s50, s55
	s_mul_i32 s56, s50, s55
	s_mul_hi_u32 s14, s50, s54
	s_mul_i32 s47, s51, s54
	s_wait_alu 0xfffe
	s_add_nc_u64 s[56:57], s[14:15], s[56:57]
	s_mul_hi_u32 s0, s51, s54
	s_mul_hi_u32 s58, s51, s55
	s_wait_alu 0xfffe
	s_add_co_u32 s14, s56, s47
	s_add_co_ci_u32 s14, s57, s0
	s_mul_i32 s54, s51, s55
	s_add_co_ci_u32 s55, s58, 0
	s_wait_alu 0xfffe
	s_add_nc_u64 s[54:55], s[14:15], s[54:55]
	s_wait_alu 0xfffe
	s_add_co_u32 s50, s50, s54
	s_cselect_b32 s0, -1, 0
	s_wait_alu 0xfffe
	s_cmp_lg_u32 s0, 0
	s_add_co_ci_u32 s51, s51, s55
	s_wait_alu 0xfffe
	s_mul_u64 s[52:53], s[52:53], s[50:51]
	s_wait_alu 0xfffe
	s_mul_hi_u32 s55, s50, s53
	s_mul_i32 s54, s50, s53
	s_mul_hi_u32 s14, s50, s52
	s_mul_i32 s47, s51, s52
	s_wait_alu 0xfffe
	s_add_nc_u64 s[54:55], s[14:15], s[54:55]
	s_mul_hi_u32 s0, s51, s52
	s_mul_hi_u32 s56, s51, s53
	s_wait_alu 0xfffe
	s_add_co_u32 s14, s54, s47
	s_add_co_ci_u32 s14, s55, s0
	s_mul_i32 s52, s51, s53
	s_add_co_ci_u32 s53, s56, 0
	s_wait_alu 0xfffe
	s_add_nc_u64 s[52:53], s[14:15], s[52:53]
	s_wait_alu 0xfffe
	s_add_co_u32 s0, s50, s52
	s_cselect_b32 s14, -1, 0
	s_wait_alu 0xfffe
	v_mul_hi_u32 v22, v16, s0
	s_cmp_lg_u32 s14, 0
	v_mad_co_u64_u32 v[12:13], null, v17, s0, 0
	s_add_co_ci_u32 s14, s51, s53
	s_wait_alu 0xfffe
	v_mad_co_u64_u32 v[10:11], null, v16, s14, 0
	v_mad_co_u64_u32 v[14:15], null, v17, s14, 0
	s_delay_alu instid0(VALU_DEP_2) | instskip(SKIP_1) | instid1(VALU_DEP_3)
	v_add_co_u32 v10, vcc_lo, v22, v10
	s_wait_alu 0xfffd
	v_add_co_ci_u32_e64 v11, null, 0, v11, vcc_lo
	s_delay_alu instid0(VALU_DEP_2) | instskip(SKIP_1) | instid1(VALU_DEP_2)
	v_add_co_u32 v10, vcc_lo, v10, v12
	s_wait_alu 0xfffd
	v_add_co_ci_u32_e32 v10, vcc_lo, v11, v13, vcc_lo
	s_wait_alu 0xfffd
	v_add_co_ci_u32_e32 v11, vcc_lo, 0, v15, vcc_lo
	s_delay_alu instid0(VALU_DEP_2) | instskip(SKIP_1) | instid1(VALU_DEP_2)
	v_add_co_u32 v12, vcc_lo, v10, v14
	s_wait_alu 0xfffd
	v_add_co_ci_u32_e64 v13, null, 0, v11, vcc_lo
	s_delay_alu instid0(VALU_DEP_2) | instskip(SKIP_1) | instid1(VALU_DEP_3)
	v_mul_lo_u32 v14, s49, v12
	v_mad_co_u64_u32 v[10:11], null, s48, v12, 0
	v_mul_lo_u32 v15, s48, v13
	s_delay_alu instid0(VALU_DEP_2) | instskip(NEXT) | instid1(VALU_DEP_2)
	v_sub_co_u32 v10, vcc_lo, v16, v10
	v_add3_u32 v11, v11, v15, v14
	v_add_co_u32 v15, s0, v12, 2
	s_wait_alu 0xf1ff
	v_add_co_ci_u32_e64 v16, null, 0, v13, s0
	s_delay_alu instid0(VALU_DEP_3) | instskip(SKIP_3) | instid1(VALU_DEP_3)
	v_sub_nc_u32_e32 v14, v17, v11
	v_sub_co_u32 v22, s0, v10, s48
	s_wait_alu 0xfffd
	v_sub_co_ci_u32_e64 v11, null, v17, v11, vcc_lo
	v_subrev_co_ci_u32_e64 v14, null, s49, v14, vcc_lo
	s_delay_alu instid0(VALU_DEP_3) | instskip(SKIP_1) | instid1(VALU_DEP_2)
	v_cmp_le_u32_e32 vcc_lo, s48, v22
	s_wait_alu 0xf1ff
	v_subrev_co_ci_u32_e64 v14, null, 0, v14, s0
	s_wait_alu 0xfffd
	v_cndmask_b32_e64 v17, 0, -1, vcc_lo
	s_delay_alu instid0(VALU_DEP_2)
	v_cmp_le_u32_e32 vcc_lo, s49, v14
	s_wait_alu 0xfffd
	v_cndmask_b32_e64 v22, 0, -1, vcc_lo
	v_cmp_le_u32_e32 vcc_lo, s48, v10
	s_wait_alu 0xfffd
	v_cndmask_b32_e64 v10, 0, -1, vcc_lo
	;; [unrolled: 3-line block ×3, first 2 shown]
	v_cmp_eq_u32_e32 vcc_lo, s49, v14
	s_wait_alu 0xfffd
	v_cndmask_b32_e32 v14, v22, v17, vcc_lo
	v_add_co_u32 v17, vcc_lo, v12, 1
	s_wait_alu 0xfffd
	v_add_co_ci_u32_e64 v22, null, 0, v13, vcc_lo
	v_cmp_eq_u32_e32 vcc_lo, s49, v11
	s_wait_alu 0xfffd
	v_cndmask_b32_e32 v10, v23, v10, vcc_lo
	v_cmp_ne_u32_e32 vcc_lo, 0, v14
	s_wait_alu 0xfffd
	v_cndmask_b32_e32 v11, v22, v16, vcc_lo
	s_delay_alu instid0(VALU_DEP_3) | instskip(SKIP_2) | instid1(VALU_DEP_2)
	v_cmp_ne_u32_e64 s0, 0, v10
	v_cndmask_b32_e32 v10, v17, v15, vcc_lo
	s_wait_alu 0xf1ff
	v_cndmask_b32_e64 v11, v13, v11, s0
	s_delay_alu instid0(VALU_DEP_2) | instskip(NEXT) | instid1(VALU_DEP_2)
	v_cndmask_b32_e64 v10, v12, v10, s0
	v_xor_b32_e32 v11, v11, v3
	s_delay_alu instid0(VALU_DEP_2) | instskip(NEXT) | instid1(VALU_DEP_1)
	v_xor_b32_e32 v10, v10, v3
	v_sub_co_u32 v10, vcc_lo, v10, v3
	s_wait_alu 0xfffd
	s_delay_alu instid0(VALU_DEP_3)
	v_sub_co_ci_u32_e64 v11, null, v11, v3, vcc_lo
.LBB62_24:                              ;   in Loop: Header=BB62_22 Depth=2
	s_wait_alu 0xfffe
	s_and_not1_saveexec_b32 s0, s1
	s_cbranch_execz .LBB62_26
; %bb.25:                               ;   in Loop: Header=BB62_22 Depth=2
	v_cvt_f32_u32_e32 v3, s44
	s_sub_co_i32 s1, 0, s44
	s_delay_alu instid0(VALU_DEP_1) | instskip(NEXT) | instid1(TRANS32_DEP_1)
	v_rcp_iflag_f32_e32 v3, v3
	v_mul_f32_e32 v3, 0x4f7ffffe, v3
	s_delay_alu instid0(VALU_DEP_1) | instskip(SKIP_1) | instid1(VALU_DEP_1)
	v_cvt_u32_f32_e32 v3, v3
	s_wait_alu 0xfffe
	v_mul_lo_u32 v10, s1, v3
	s_delay_alu instid0(VALU_DEP_1) | instskip(NEXT) | instid1(VALU_DEP_1)
	v_mul_hi_u32 v10, v3, v10
	v_add_nc_u32_e32 v3, v3, v10
	s_delay_alu instid0(VALU_DEP_1) | instskip(NEXT) | instid1(VALU_DEP_1)
	v_mul_hi_u32 v3, v8, v3
	v_mul_lo_u32 v10, v3, s44
	v_add_nc_u32_e32 v11, 1, v3
	s_delay_alu instid0(VALU_DEP_2) | instskip(NEXT) | instid1(VALU_DEP_1)
	v_sub_nc_u32_e32 v10, v8, v10
	v_subrev_nc_u32_e32 v12, s44, v10
	v_cmp_le_u32_e32 vcc_lo, s44, v10
	s_wait_alu 0xfffd
	s_delay_alu instid0(VALU_DEP_2) | instskip(NEXT) | instid1(VALU_DEP_1)
	v_dual_cndmask_b32 v10, v10, v12 :: v_dual_cndmask_b32 v3, v3, v11
	v_cmp_le_u32_e32 vcc_lo, s44, v10
	s_delay_alu instid0(VALU_DEP_2) | instskip(SKIP_1) | instid1(VALU_DEP_1)
	v_add_nc_u32_e32 v11, 1, v3
	s_wait_alu 0xfffd
	v_dual_cndmask_b32 v10, v3, v11 :: v_dual_mov_b32 v11, v2
.LBB62_26:                              ;   in Loop: Header=BB62_22 Depth=2
	s_wait_alu 0xfffe
	s_or_b32 exec_lo, exec_lo, s0
	s_load_b64 s[48:49], s[40:41], 0x10
	s_load_b64 s[46:47], s[38:39], 0x18
                                        ; implicit-def: $vgpr12_vgpr13
	s_mov_b32 s0, exec_lo
	s_wait_kmcnt 0x0
	v_or_b32_e32 v3, s49, v11
	s_delay_alu instid0(VALU_DEP_1)
	v_cmpx_ne_u64_e32 0, v[2:3]
	s_wait_alu 0xfffe
	s_xor_b32 s1, exec_lo, s0
	s_cbranch_execz .LBB62_28
; %bb.27:                               ;   in Loop: Header=BB62_22 Depth=2
	s_ashr_i32 s50, s49, 31
	v_ashrrev_i32_e32 v3, 31, v11
	s_wait_alu 0xfffe
	s_mov_b32 s51, s50
	s_wait_alu 0xfffe
	s_add_nc_u64 s[52:53], s[48:49], s[50:51]
	v_add_co_u32 v12, vcc_lo, v10, v3
	s_wait_alu 0xfffe
	s_xor_b64 s[52:53], s[52:53], s[50:51]
	s_wait_alu 0xfffd
	v_add_co_ci_u32_e64 v13, null, v11, v3, vcc_lo
	s_wait_alu 0xfffe
	s_cvt_f32_u32 s0, s52
	s_cvt_f32_u32 s14, s53
	s_sub_nc_u64 s[56:57], 0, s[52:53]
	v_xor_b32_e32 v22, v12, v3
	v_xor_b32_e32 v23, v13, v3
	s_wait_alu 0xfffe
	s_fmamk_f32 s0, s14, 0x4f800000, s0
	v_xor_b32_e32 v3, s50, v3
	s_wait_alu 0xfffe
	s_delay_alu instid0(SALU_CYCLE_1) | instskip(NEXT) | instid1(TRANS32_DEP_1)
	v_s_rcp_f32 s0, s0
	s_mul_f32 s0, s0, 0x5f7ffffc
	s_wait_alu 0xfffe
	s_delay_alu instid0(SALU_CYCLE_2) | instskip(SKIP_1) | instid1(SALU_CYCLE_2)
	s_mul_f32 s14, s0, 0x2f800000
	s_wait_alu 0xfffe
	s_trunc_f32 s14, s14
	s_wait_alu 0xfffe
	s_delay_alu instid0(SALU_CYCLE_2) | instskip(SKIP_2) | instid1(SALU_CYCLE_1)
	s_fmamk_f32 s0, s14, 0xcf800000, s0
	s_cvt_u32_f32 s55, s14
	s_wait_alu 0xfffe
	s_cvt_u32_f32 s54, s0
	s_wait_alu 0xfffe
	s_delay_alu instid0(SALU_CYCLE_2)
	s_mul_u64 s[58:59], s[56:57], s[54:55]
	s_wait_alu 0xfffe
	s_mul_hi_u32 s61, s54, s59
	s_mul_i32 s60, s54, s59
	s_mul_hi_u32 s14, s54, s58
	s_mul_i32 s51, s55, s58
	s_wait_alu 0xfffe
	s_add_nc_u64 s[60:61], s[14:15], s[60:61]
	s_mul_hi_u32 s0, s55, s58
	s_mul_hi_u32 s66, s55, s59
	s_wait_alu 0xfffe
	s_add_co_u32 s14, s60, s51
	s_add_co_ci_u32 s14, s61, s0
	s_mul_i32 s58, s55, s59
	s_add_co_ci_u32 s59, s66, 0
	s_wait_alu 0xfffe
	s_add_nc_u64 s[58:59], s[14:15], s[58:59]
	s_wait_alu 0xfffe
	s_add_co_u32 s54, s54, s58
	s_cselect_b32 s0, -1, 0
	s_wait_alu 0xfffe
	s_cmp_lg_u32 s0, 0
	s_add_co_ci_u32 s55, s55, s59
	s_wait_alu 0xfffe
	s_mul_u64 s[56:57], s[56:57], s[54:55]
	s_wait_alu 0xfffe
	s_mul_hi_u32 s59, s54, s57
	s_mul_i32 s58, s54, s57
	s_mul_hi_u32 s14, s54, s56
	s_mul_i32 s51, s55, s56
	s_wait_alu 0xfffe
	s_add_nc_u64 s[58:59], s[14:15], s[58:59]
	s_mul_hi_u32 s0, s55, s56
	s_mul_hi_u32 s60, s55, s57
	s_wait_alu 0xfffe
	s_add_co_u32 s14, s58, s51
	s_add_co_ci_u32 s14, s59, s0
	s_mul_i32 s56, s55, s57
	s_add_co_ci_u32 s57, s60, 0
	s_wait_alu 0xfffe
	s_add_nc_u64 s[56:57], s[14:15], s[56:57]
	s_wait_alu 0xfffe
	s_add_co_u32 s0, s54, s56
	s_cselect_b32 s14, -1, 0
	s_wait_alu 0xfffe
	v_mul_hi_u32 v24, v22, s0
	s_cmp_lg_u32 s14, 0
	v_mad_co_u64_u32 v[14:15], null, v23, s0, 0
	s_add_co_ci_u32 s14, s55, s57
	s_wait_alu 0xfffe
	v_mad_co_u64_u32 v[12:13], null, v22, s14, 0
	v_mad_co_u64_u32 v[16:17], null, v23, s14, 0
	s_delay_alu instid0(VALU_DEP_2) | instskip(SKIP_1) | instid1(VALU_DEP_3)
	v_add_co_u32 v12, vcc_lo, v24, v12
	s_wait_alu 0xfffd
	v_add_co_ci_u32_e64 v13, null, 0, v13, vcc_lo
	s_delay_alu instid0(VALU_DEP_2) | instskip(SKIP_1) | instid1(VALU_DEP_2)
	v_add_co_u32 v12, vcc_lo, v12, v14
	s_wait_alu 0xfffd
	v_add_co_ci_u32_e32 v12, vcc_lo, v13, v15, vcc_lo
	s_wait_alu 0xfffd
	v_add_co_ci_u32_e32 v13, vcc_lo, 0, v17, vcc_lo
	s_delay_alu instid0(VALU_DEP_2) | instskip(SKIP_1) | instid1(VALU_DEP_2)
	v_add_co_u32 v14, vcc_lo, v12, v16
	s_wait_alu 0xfffd
	v_add_co_ci_u32_e64 v15, null, 0, v13, vcc_lo
	s_delay_alu instid0(VALU_DEP_2) | instskip(SKIP_1) | instid1(VALU_DEP_3)
	v_mul_lo_u32 v16, s53, v14
	v_mad_co_u64_u32 v[12:13], null, s52, v14, 0
	v_mul_lo_u32 v17, s52, v15
	s_delay_alu instid0(VALU_DEP_2) | instskip(NEXT) | instid1(VALU_DEP_2)
	v_sub_co_u32 v12, vcc_lo, v22, v12
	v_add3_u32 v13, v13, v17, v16
	v_add_co_u32 v17, s0, v14, 2
	s_wait_alu 0xf1ff
	v_add_co_ci_u32_e64 v22, null, 0, v15, s0
	s_delay_alu instid0(VALU_DEP_3) | instskip(SKIP_3) | instid1(VALU_DEP_3)
	v_sub_nc_u32_e32 v16, v23, v13
	v_sub_co_u32 v24, s0, v12, s52
	s_wait_alu 0xfffd
	v_sub_co_ci_u32_e64 v13, null, v23, v13, vcc_lo
	v_subrev_co_ci_u32_e64 v16, null, s53, v16, vcc_lo
	s_delay_alu instid0(VALU_DEP_3) | instskip(SKIP_1) | instid1(VALU_DEP_2)
	v_cmp_le_u32_e32 vcc_lo, s52, v24
	s_wait_alu 0xf1ff
	v_subrev_co_ci_u32_e64 v16, null, 0, v16, s0
	s_wait_alu 0xfffd
	v_cndmask_b32_e64 v23, 0, -1, vcc_lo
	s_delay_alu instid0(VALU_DEP_2)
	v_cmp_le_u32_e32 vcc_lo, s53, v16
	s_wait_alu 0xfffd
	v_cndmask_b32_e64 v24, 0, -1, vcc_lo
	v_cmp_le_u32_e32 vcc_lo, s52, v12
	s_wait_alu 0xfffd
	v_cndmask_b32_e64 v12, 0, -1, vcc_lo
	;; [unrolled: 3-line block ×3, first 2 shown]
	v_cmp_eq_u32_e32 vcc_lo, s53, v16
	s_wait_alu 0xfffd
	v_cndmask_b32_e32 v16, v24, v23, vcc_lo
	v_add_co_u32 v23, vcc_lo, v14, 1
	s_wait_alu 0xfffd
	v_add_co_ci_u32_e64 v24, null, 0, v15, vcc_lo
	v_cmp_eq_u32_e32 vcc_lo, s53, v13
	s_wait_alu 0xfffd
	v_cndmask_b32_e32 v12, v25, v12, vcc_lo
	v_cmp_ne_u32_e32 vcc_lo, 0, v16
	s_wait_alu 0xfffd
	v_cndmask_b32_e32 v13, v24, v22, vcc_lo
	s_delay_alu instid0(VALU_DEP_3) | instskip(SKIP_2) | instid1(VALU_DEP_2)
	v_cmp_ne_u32_e64 s0, 0, v12
	v_cndmask_b32_e32 v12, v23, v17, vcc_lo
	s_wait_alu 0xf1ff
	v_cndmask_b32_e64 v13, v15, v13, s0
	s_delay_alu instid0(VALU_DEP_2) | instskip(NEXT) | instid1(VALU_DEP_2)
	v_cndmask_b32_e64 v12, v14, v12, s0
	v_xor_b32_e32 v13, v13, v3
	s_delay_alu instid0(VALU_DEP_2) | instskip(NEXT) | instid1(VALU_DEP_1)
	v_xor_b32_e32 v12, v12, v3
	v_sub_co_u32 v12, vcc_lo, v12, v3
	s_wait_alu 0xfffd
	s_delay_alu instid0(VALU_DEP_3)
	v_sub_co_ci_u32_e64 v13, null, v13, v3, vcc_lo
.LBB62_28:                              ;   in Loop: Header=BB62_22 Depth=2
	s_wait_alu 0xfffe
	s_and_not1_saveexec_b32 s0, s1
	s_cbranch_execz .LBB62_30
; %bb.29:                               ;   in Loop: Header=BB62_22 Depth=2
	v_cvt_f32_u32_e32 v3, s48
	s_sub_co_i32 s1, 0, s48
	s_delay_alu instid0(VALU_DEP_1) | instskip(NEXT) | instid1(TRANS32_DEP_1)
	v_rcp_iflag_f32_e32 v3, v3
	v_mul_f32_e32 v3, 0x4f7ffffe, v3
	s_delay_alu instid0(VALU_DEP_1) | instskip(SKIP_1) | instid1(VALU_DEP_1)
	v_cvt_u32_f32_e32 v3, v3
	s_wait_alu 0xfffe
	v_mul_lo_u32 v12, s1, v3
	s_delay_alu instid0(VALU_DEP_1) | instskip(NEXT) | instid1(VALU_DEP_1)
	v_mul_hi_u32 v12, v3, v12
	v_add_nc_u32_e32 v3, v3, v12
	s_delay_alu instid0(VALU_DEP_1) | instskip(NEXT) | instid1(VALU_DEP_1)
	v_mul_hi_u32 v3, v10, v3
	v_mul_lo_u32 v12, v3, s48
	v_add_nc_u32_e32 v13, 1, v3
	s_delay_alu instid0(VALU_DEP_2) | instskip(NEXT) | instid1(VALU_DEP_1)
	v_sub_nc_u32_e32 v12, v10, v12
	v_subrev_nc_u32_e32 v14, s48, v12
	v_cmp_le_u32_e32 vcc_lo, s48, v12
	s_wait_alu 0xfffd
	s_delay_alu instid0(VALU_DEP_2) | instskip(NEXT) | instid1(VALU_DEP_1)
	v_dual_cndmask_b32 v12, v12, v14 :: v_dual_cndmask_b32 v3, v3, v13
	v_cmp_le_u32_e32 vcc_lo, s48, v12
	s_delay_alu instid0(VALU_DEP_2) | instskip(SKIP_1) | instid1(VALU_DEP_1)
	v_add_nc_u32_e32 v13, 1, v3
	s_wait_alu 0xfffd
	v_dual_cndmask_b32 v12, v3, v13 :: v_dual_mov_b32 v13, v2
.LBB62_30:                              ;   in Loop: Header=BB62_22 Depth=2
	s_wait_alu 0xfffe
	s_or_b32 exec_lo, exec_lo, s0
	s_load_b64 s[52:53], s[40:41], 0x8
	s_load_b64 s[50:51], s[38:39], 0x10
                                        ; implicit-def: $vgpr14_vgpr15
	s_mov_b32 s0, exec_lo
	s_wait_kmcnt 0x0
	v_or_b32_e32 v3, s53, v13
	s_delay_alu instid0(VALU_DEP_1)
	v_cmpx_ne_u64_e32 0, v[2:3]
	s_wait_alu 0xfffe
	s_xor_b32 s1, exec_lo, s0
	s_cbranch_execz .LBB62_32
; %bb.31:                               ;   in Loop: Header=BB62_22 Depth=2
	s_ashr_i32 s54, s53, 31
	v_ashrrev_i32_e32 v3, 31, v13
	s_wait_alu 0xfffe
	s_mov_b32 s55, s54
	s_wait_alu 0xfffe
	s_add_nc_u64 s[56:57], s[52:53], s[54:55]
	v_add_co_u32 v14, vcc_lo, v12, v3
	s_wait_alu 0xfffe
	s_xor_b64 s[56:57], s[56:57], s[54:55]
	s_wait_alu 0xfffd
	v_add_co_ci_u32_e64 v15, null, v13, v3, vcc_lo
	s_wait_alu 0xfffe
	s_cvt_f32_u32 s0, s56
	s_cvt_f32_u32 s14, s57
	s_sub_nc_u64 s[60:61], 0, s[56:57]
	v_xor_b32_e32 v24, v14, v3
	v_xor_b32_e32 v25, v15, v3
	s_wait_alu 0xfffe
	s_fmamk_f32 s0, s14, 0x4f800000, s0
	v_xor_b32_e32 v3, s54, v3
	s_wait_alu 0xfffe
	s_delay_alu instid0(SALU_CYCLE_1) | instskip(NEXT) | instid1(TRANS32_DEP_1)
	v_s_rcp_f32 s0, s0
	s_mul_f32 s0, s0, 0x5f7ffffc
	s_wait_alu 0xfffe
	s_delay_alu instid0(SALU_CYCLE_2) | instskip(SKIP_1) | instid1(SALU_CYCLE_2)
	s_mul_f32 s14, s0, 0x2f800000
	s_wait_alu 0xfffe
	s_trunc_f32 s14, s14
	s_wait_alu 0xfffe
	s_delay_alu instid0(SALU_CYCLE_2) | instskip(SKIP_2) | instid1(SALU_CYCLE_1)
	s_fmamk_f32 s0, s14, 0xcf800000, s0
	s_cvt_u32_f32 s59, s14
	s_wait_alu 0xfffe
	s_cvt_u32_f32 s58, s0
	s_wait_alu 0xfffe
	s_delay_alu instid0(SALU_CYCLE_2) | instskip(NEXT) | instid1(SALU_CYCLE_1)
	s_mul_u64 s[66:67], s[60:61], s[58:59]
	s_mul_hi_u32 s69, s58, s67
	s_mul_i32 s68, s58, s67
	s_mul_hi_u32 s14, s58, s66
	s_mul_i32 s55, s59, s66
	s_wait_alu 0xfffe
	s_add_nc_u64 s[68:69], s[14:15], s[68:69]
	s_mul_hi_u32 s0, s59, s66
	s_mul_hi_u32 s70, s59, s67
	s_add_co_u32 s14, s68, s55
	s_wait_alu 0xfffe
	s_add_co_ci_u32 s14, s69, s0
	s_mul_i32 s66, s59, s67
	s_add_co_ci_u32 s67, s70, 0
	s_wait_alu 0xfffe
	s_add_nc_u64 s[66:67], s[14:15], s[66:67]
	s_delay_alu instid0(SALU_CYCLE_1)
	s_add_co_u32 s58, s58, s66
	s_cselect_b32 s0, -1, 0
	s_wait_alu 0xfffe
	s_cmp_lg_u32 s0, 0
	s_add_co_ci_u32 s59, s59, s67
	s_wait_alu 0xfffe
	s_mul_u64 s[60:61], s[60:61], s[58:59]
	s_wait_alu 0xfffe
	s_mul_hi_u32 s67, s58, s61
	s_mul_i32 s66, s58, s61
	s_mul_hi_u32 s14, s58, s60
	s_mul_i32 s55, s59, s60
	s_wait_alu 0xfffe
	s_add_nc_u64 s[66:67], s[14:15], s[66:67]
	s_mul_hi_u32 s0, s59, s60
	s_mul_hi_u32 s68, s59, s61
	s_add_co_u32 s14, s66, s55
	s_wait_alu 0xfffe
	s_add_co_ci_u32 s14, s67, s0
	s_mul_i32 s60, s59, s61
	s_add_co_ci_u32 s61, s68, 0
	s_wait_alu 0xfffe
	s_add_nc_u64 s[60:61], s[14:15], s[60:61]
	s_wait_alu 0xfffe
	s_add_co_u32 s0, s58, s60
	s_cselect_b32 s14, -1, 0
	s_wait_alu 0xfffe
	v_mul_hi_u32 v26, v24, s0
	s_cmp_lg_u32 s14, 0
	v_mad_co_u64_u32 v[16:17], null, v25, s0, 0
	s_add_co_ci_u32 s14, s59, s61
	s_wait_alu 0xfffe
	v_mad_co_u64_u32 v[14:15], null, v24, s14, 0
	v_mad_co_u64_u32 v[22:23], null, v25, s14, 0
	s_delay_alu instid0(VALU_DEP_2) | instskip(SKIP_1) | instid1(VALU_DEP_3)
	v_add_co_u32 v14, vcc_lo, v26, v14
	s_wait_alu 0xfffd
	v_add_co_ci_u32_e64 v15, null, 0, v15, vcc_lo
	s_delay_alu instid0(VALU_DEP_2) | instskip(SKIP_1) | instid1(VALU_DEP_2)
	v_add_co_u32 v14, vcc_lo, v14, v16
	s_wait_alu 0xfffd
	v_add_co_ci_u32_e32 v14, vcc_lo, v15, v17, vcc_lo
	s_wait_alu 0xfffd
	v_add_co_ci_u32_e32 v15, vcc_lo, 0, v23, vcc_lo
	s_delay_alu instid0(VALU_DEP_2) | instskip(SKIP_1) | instid1(VALU_DEP_2)
	v_add_co_u32 v16, vcc_lo, v14, v22
	s_wait_alu 0xfffd
	v_add_co_ci_u32_e64 v17, null, 0, v15, vcc_lo
	s_delay_alu instid0(VALU_DEP_2) | instskip(SKIP_1) | instid1(VALU_DEP_3)
	v_mul_lo_u32 v22, s57, v16
	v_mad_co_u64_u32 v[14:15], null, s56, v16, 0
	v_mul_lo_u32 v23, s56, v17
	s_delay_alu instid0(VALU_DEP_2) | instskip(NEXT) | instid1(VALU_DEP_2)
	v_sub_co_u32 v14, vcc_lo, v24, v14
	v_add3_u32 v15, v15, v23, v22
	v_add_co_u32 v23, s0, v16, 2
	s_wait_alu 0xf1ff
	v_add_co_ci_u32_e64 v24, null, 0, v17, s0
	s_delay_alu instid0(VALU_DEP_3) | instskip(SKIP_3) | instid1(VALU_DEP_3)
	v_sub_nc_u32_e32 v22, v25, v15
	v_sub_co_u32 v26, s0, v14, s56
	s_wait_alu 0xfffd
	v_sub_co_ci_u32_e64 v15, null, v25, v15, vcc_lo
	v_subrev_co_ci_u32_e64 v22, null, s57, v22, vcc_lo
	s_delay_alu instid0(VALU_DEP_3) | instskip(SKIP_1) | instid1(VALU_DEP_2)
	v_cmp_le_u32_e32 vcc_lo, s56, v26
	s_wait_alu 0xf1ff
	v_subrev_co_ci_u32_e64 v22, null, 0, v22, s0
	s_wait_alu 0xfffd
	v_cndmask_b32_e64 v25, 0, -1, vcc_lo
	s_delay_alu instid0(VALU_DEP_2)
	v_cmp_le_u32_e32 vcc_lo, s57, v22
	s_wait_alu 0xfffd
	v_cndmask_b32_e64 v26, 0, -1, vcc_lo
	v_cmp_le_u32_e32 vcc_lo, s56, v14
	s_wait_alu 0xfffd
	v_cndmask_b32_e64 v14, 0, -1, vcc_lo
	;; [unrolled: 3-line block ×3, first 2 shown]
	v_cmp_eq_u32_e32 vcc_lo, s57, v22
	s_wait_alu 0xfffd
	v_cndmask_b32_e32 v22, v26, v25, vcc_lo
	v_add_co_u32 v25, vcc_lo, v16, 1
	s_wait_alu 0xfffd
	v_add_co_ci_u32_e64 v26, null, 0, v17, vcc_lo
	v_cmp_eq_u32_e32 vcc_lo, s57, v15
	s_wait_alu 0xfffd
	v_cndmask_b32_e32 v14, v27, v14, vcc_lo
	v_cmp_ne_u32_e32 vcc_lo, 0, v22
	s_wait_alu 0xfffd
	v_cndmask_b32_e32 v15, v26, v24, vcc_lo
	s_delay_alu instid0(VALU_DEP_3) | instskip(SKIP_2) | instid1(VALU_DEP_2)
	v_cmp_ne_u32_e64 s0, 0, v14
	v_cndmask_b32_e32 v14, v25, v23, vcc_lo
	s_wait_alu 0xf1ff
	v_cndmask_b32_e64 v15, v17, v15, s0
	s_delay_alu instid0(VALU_DEP_2) | instskip(NEXT) | instid1(VALU_DEP_2)
	v_cndmask_b32_e64 v14, v16, v14, s0
	v_xor_b32_e32 v15, v15, v3
	s_delay_alu instid0(VALU_DEP_2) | instskip(NEXT) | instid1(VALU_DEP_1)
	v_xor_b32_e32 v14, v14, v3
	v_sub_co_u32 v14, vcc_lo, v14, v3
	s_wait_alu 0xfffd
	s_delay_alu instid0(VALU_DEP_3)
	v_sub_co_ci_u32_e64 v15, null, v15, v3, vcc_lo
.LBB62_32:                              ;   in Loop: Header=BB62_22 Depth=2
	s_wait_alu 0xfffe
	s_and_not1_saveexec_b32 s0, s1
	s_cbranch_execz .LBB62_34
; %bb.33:                               ;   in Loop: Header=BB62_22 Depth=2
	v_cvt_f32_u32_e32 v3, s52
	s_sub_co_i32 s1, 0, s52
	s_delay_alu instid0(VALU_DEP_1) | instskip(NEXT) | instid1(TRANS32_DEP_1)
	v_rcp_iflag_f32_e32 v3, v3
	v_mul_f32_e32 v3, 0x4f7ffffe, v3
	s_delay_alu instid0(VALU_DEP_1) | instskip(SKIP_1) | instid1(VALU_DEP_1)
	v_cvt_u32_f32_e32 v3, v3
	s_wait_alu 0xfffe
	v_mul_lo_u32 v14, s1, v3
	s_delay_alu instid0(VALU_DEP_1) | instskip(NEXT) | instid1(VALU_DEP_1)
	v_mul_hi_u32 v14, v3, v14
	v_add_nc_u32_e32 v3, v3, v14
	s_delay_alu instid0(VALU_DEP_1) | instskip(NEXT) | instid1(VALU_DEP_1)
	v_mul_hi_u32 v3, v12, v3
	v_mul_lo_u32 v14, v3, s52
	v_add_nc_u32_e32 v15, 1, v3
	s_delay_alu instid0(VALU_DEP_2) | instskip(NEXT) | instid1(VALU_DEP_1)
	v_sub_nc_u32_e32 v14, v12, v14
	v_subrev_nc_u32_e32 v16, s52, v14
	v_cmp_le_u32_e32 vcc_lo, s52, v14
	s_wait_alu 0xfffd
	s_delay_alu instid0(VALU_DEP_2) | instskip(NEXT) | instid1(VALU_DEP_1)
	v_dual_cndmask_b32 v14, v14, v16 :: v_dual_cndmask_b32 v3, v3, v15
	v_cmp_le_u32_e32 vcc_lo, s52, v14
	s_delay_alu instid0(VALU_DEP_2) | instskip(SKIP_1) | instid1(VALU_DEP_1)
	v_add_nc_u32_e32 v15, 1, v3
	s_wait_alu 0xfffd
	v_dual_cndmask_b32 v14, v3, v15 :: v_dual_mov_b32 v15, v2
.LBB62_34:                              ;   in Loop: Header=BB62_22 Depth=2
	s_wait_alu 0xfffe
	s_or_b32 exec_lo, exec_lo, s0
	s_load_b64 s[56:57], s[40:41], 0x0
	s_load_b64 s[54:55], s[38:39], 0x8
                                        ; implicit-def: $vgpr16_vgpr17
	s_mov_b32 s0, exec_lo
	s_wait_kmcnt 0x0
	v_or_b32_e32 v3, s57, v15
	s_delay_alu instid0(VALU_DEP_1)
	v_cmpx_ne_u64_e32 0, v[2:3]
	s_wait_alu 0xfffe
	s_xor_b32 s1, exec_lo, s0
	s_cbranch_execz .LBB62_36
; %bb.35:                               ;   in Loop: Header=BB62_22 Depth=2
	s_ashr_i32 s58, s57, 31
	v_ashrrev_i32_e32 v3, 31, v15
	s_wait_alu 0xfffe
	s_mov_b32 s59, s58
	s_wait_alu 0xfffe
	s_add_nc_u64 s[60:61], s[56:57], s[58:59]
	v_add_co_u32 v16, vcc_lo, v14, v3
	s_wait_alu 0xfffe
	s_xor_b64 s[60:61], s[60:61], s[58:59]
	s_wait_alu 0xfffd
	v_add_co_ci_u32_e64 v17, null, v15, v3, vcc_lo
	s_wait_alu 0xfffe
	s_cvt_f32_u32 s0, s60
	s_cvt_f32_u32 s14, s61
	s_sub_nc_u64 s[68:69], 0, s[60:61]
	v_xor_b32_e32 v26, v16, v3
	v_xor_b32_e32 v27, v17, v3
	s_wait_alu 0xfffe
	s_fmamk_f32 s0, s14, 0x4f800000, s0
	v_xor_b32_e32 v3, s58, v3
	s_wait_alu 0xfffe
	s_delay_alu instid0(SALU_CYCLE_1) | instskip(NEXT) | instid1(TRANS32_DEP_1)
	v_s_rcp_f32 s0, s0
	s_mul_f32 s0, s0, 0x5f7ffffc
	s_wait_alu 0xfffe
	s_delay_alu instid0(SALU_CYCLE_2) | instskip(SKIP_1) | instid1(SALU_CYCLE_2)
	s_mul_f32 s14, s0, 0x2f800000
	s_wait_alu 0xfffe
	s_trunc_f32 s14, s14
	s_wait_alu 0xfffe
	s_delay_alu instid0(SALU_CYCLE_2) | instskip(SKIP_2) | instid1(SALU_CYCLE_1)
	s_fmamk_f32 s0, s14, 0xcf800000, s0
	s_cvt_u32_f32 s67, s14
	s_wait_alu 0xfffe
	s_cvt_u32_f32 s66, s0
	s_delay_alu instid0(SALU_CYCLE_3) | instskip(NEXT) | instid1(SALU_CYCLE_1)
	s_mul_u64 s[70:71], s[68:69], s[66:67]
	s_mul_hi_u32 s73, s66, s71
	s_mul_i32 s72, s66, s71
	s_mul_hi_u32 s14, s66, s70
	s_mul_i32 s59, s67, s70
	s_wait_alu 0xfffe
	s_add_nc_u64 s[72:73], s[14:15], s[72:73]
	s_mul_hi_u32 s0, s67, s70
	s_mul_hi_u32 s74, s67, s71
	s_add_co_u32 s14, s72, s59
	s_wait_alu 0xfffe
	s_add_co_ci_u32 s14, s73, s0
	s_mul_i32 s70, s67, s71
	s_add_co_ci_u32 s71, s74, 0
	s_wait_alu 0xfffe
	s_add_nc_u64 s[70:71], s[14:15], s[70:71]
	s_delay_alu instid0(SALU_CYCLE_1) | instskip(SKIP_4) | instid1(SALU_CYCLE_1)
	s_add_co_u32 s66, s66, s70
	s_cselect_b32 s0, -1, 0
	s_wait_alu 0xfffe
	s_cmp_lg_u32 s0, 0
	s_add_co_ci_u32 s67, s67, s71
	s_mul_u64 s[68:69], s[68:69], s[66:67]
	s_delay_alu instid0(SALU_CYCLE_1)
	s_mul_hi_u32 s71, s66, s69
	s_mul_i32 s70, s66, s69
	s_mul_hi_u32 s14, s66, s68
	s_mul_i32 s59, s67, s68
	s_wait_alu 0xfffe
	s_add_nc_u64 s[70:71], s[14:15], s[70:71]
	s_mul_hi_u32 s0, s67, s68
	s_mul_hi_u32 s72, s67, s69
	s_add_co_u32 s14, s70, s59
	s_wait_alu 0xfffe
	s_add_co_ci_u32 s14, s71, s0
	s_mul_i32 s68, s67, s69
	s_add_co_ci_u32 s69, s72, 0
	s_wait_alu 0xfffe
	s_add_nc_u64 s[68:69], s[14:15], s[68:69]
	s_delay_alu instid0(SALU_CYCLE_1)
	s_add_co_u32 s0, s66, s68
	s_cselect_b32 s14, -1, 0
	s_wait_alu 0xfffe
	v_mul_hi_u32 v28, v26, s0
	s_cmp_lg_u32 s14, 0
	v_mad_co_u64_u32 v[22:23], null, v27, s0, 0
	s_add_co_ci_u32 s14, s67, s69
	s_wait_alu 0xfffe
	v_mad_co_u64_u32 v[16:17], null, v26, s14, 0
	v_mad_co_u64_u32 v[24:25], null, v27, s14, 0
	s_delay_alu instid0(VALU_DEP_2) | instskip(SKIP_1) | instid1(VALU_DEP_3)
	v_add_co_u32 v16, vcc_lo, v28, v16
	s_wait_alu 0xfffd
	v_add_co_ci_u32_e64 v17, null, 0, v17, vcc_lo
	s_delay_alu instid0(VALU_DEP_2) | instskip(SKIP_1) | instid1(VALU_DEP_2)
	v_add_co_u32 v16, vcc_lo, v16, v22
	s_wait_alu 0xfffd
	v_add_co_ci_u32_e32 v16, vcc_lo, v17, v23, vcc_lo
	s_wait_alu 0xfffd
	v_add_co_ci_u32_e32 v17, vcc_lo, 0, v25, vcc_lo
	s_delay_alu instid0(VALU_DEP_2) | instskip(SKIP_1) | instid1(VALU_DEP_2)
	v_add_co_u32 v22, vcc_lo, v16, v24
	s_wait_alu 0xfffd
	v_add_co_ci_u32_e64 v23, null, 0, v17, vcc_lo
	s_delay_alu instid0(VALU_DEP_2) | instskip(SKIP_1) | instid1(VALU_DEP_3)
	v_mul_lo_u32 v24, s61, v22
	v_mad_co_u64_u32 v[16:17], null, s60, v22, 0
	v_mul_lo_u32 v25, s60, v23
	s_delay_alu instid0(VALU_DEP_2) | instskip(NEXT) | instid1(VALU_DEP_2)
	v_sub_co_u32 v16, vcc_lo, v26, v16
	v_add3_u32 v17, v17, v25, v24
	v_add_co_u32 v25, s0, v22, 2
	s_wait_alu 0xf1ff
	v_add_co_ci_u32_e64 v26, null, 0, v23, s0
	s_delay_alu instid0(VALU_DEP_3) | instskip(SKIP_3) | instid1(VALU_DEP_3)
	v_sub_nc_u32_e32 v24, v27, v17
	v_sub_co_u32 v28, s0, v16, s60
	s_wait_alu 0xfffd
	v_sub_co_ci_u32_e64 v17, null, v27, v17, vcc_lo
	v_subrev_co_ci_u32_e64 v24, null, s61, v24, vcc_lo
	s_delay_alu instid0(VALU_DEP_3) | instskip(SKIP_1) | instid1(VALU_DEP_2)
	v_cmp_le_u32_e32 vcc_lo, s60, v28
	s_wait_alu 0xf1ff
	v_subrev_co_ci_u32_e64 v24, null, 0, v24, s0
	s_wait_alu 0xfffd
	v_cndmask_b32_e64 v27, 0, -1, vcc_lo
	s_delay_alu instid0(VALU_DEP_2)
	v_cmp_le_u32_e32 vcc_lo, s61, v24
	s_wait_alu 0xfffd
	v_cndmask_b32_e64 v28, 0, -1, vcc_lo
	v_cmp_le_u32_e32 vcc_lo, s60, v16
	s_wait_alu 0xfffd
	v_cndmask_b32_e64 v16, 0, -1, vcc_lo
	;; [unrolled: 3-line block ×3, first 2 shown]
	v_cmp_eq_u32_e32 vcc_lo, s61, v24
	s_wait_alu 0xfffd
	v_cndmask_b32_e32 v24, v28, v27, vcc_lo
	v_add_co_u32 v27, vcc_lo, v22, 1
	s_wait_alu 0xfffd
	v_add_co_ci_u32_e64 v28, null, 0, v23, vcc_lo
	v_cmp_eq_u32_e32 vcc_lo, s61, v17
	s_wait_alu 0xfffd
	v_cndmask_b32_e32 v16, v29, v16, vcc_lo
	v_cmp_ne_u32_e32 vcc_lo, 0, v24
	s_wait_alu 0xfffd
	v_cndmask_b32_e32 v17, v28, v26, vcc_lo
	s_delay_alu instid0(VALU_DEP_3) | instskip(SKIP_2) | instid1(VALU_DEP_2)
	v_cmp_ne_u32_e64 s0, 0, v16
	v_cndmask_b32_e32 v16, v27, v25, vcc_lo
	s_wait_alu 0xf1ff
	v_cndmask_b32_e64 v17, v23, v17, s0
	s_delay_alu instid0(VALU_DEP_2) | instskip(NEXT) | instid1(VALU_DEP_2)
	v_cndmask_b32_e64 v16, v22, v16, s0
	v_xor_b32_e32 v17, v17, v3
	s_delay_alu instid0(VALU_DEP_2) | instskip(NEXT) | instid1(VALU_DEP_1)
	v_xor_b32_e32 v16, v16, v3
	v_sub_co_u32 v16, vcc_lo, v16, v3
	s_wait_alu 0xfffd
	s_delay_alu instid0(VALU_DEP_3)
	v_sub_co_ci_u32_e64 v17, null, v17, v3, vcc_lo
.LBB62_36:                              ;   in Loop: Header=BB62_22 Depth=2
	s_wait_alu 0xfffe
	s_and_not1_saveexec_b32 s0, s1
	s_cbranch_execz .LBB62_21
; %bb.37:                               ;   in Loop: Header=BB62_22 Depth=2
	v_cvt_f32_u32_e32 v3, s56
	s_sub_co_i32 s1, 0, s56
	s_delay_alu instid0(VALU_DEP_1) | instskip(NEXT) | instid1(TRANS32_DEP_1)
	v_rcp_iflag_f32_e32 v3, v3
	v_mul_f32_e32 v3, 0x4f7ffffe, v3
	s_delay_alu instid0(VALU_DEP_1) | instskip(SKIP_1) | instid1(VALU_DEP_1)
	v_cvt_u32_f32_e32 v3, v3
	s_wait_alu 0xfffe
	v_mul_lo_u32 v16, s1, v3
	s_delay_alu instid0(VALU_DEP_1) | instskip(NEXT) | instid1(VALU_DEP_1)
	v_mul_hi_u32 v16, v3, v16
	v_add_nc_u32_e32 v3, v3, v16
	s_delay_alu instid0(VALU_DEP_1) | instskip(NEXT) | instid1(VALU_DEP_1)
	v_mul_hi_u32 v3, v14, v3
	v_mul_lo_u32 v16, v3, s56
	v_add_nc_u32_e32 v17, 1, v3
	s_delay_alu instid0(VALU_DEP_2) | instskip(NEXT) | instid1(VALU_DEP_1)
	v_sub_nc_u32_e32 v16, v14, v16
	v_subrev_nc_u32_e32 v22, s56, v16
	v_cmp_le_u32_e32 vcc_lo, s56, v16
	s_wait_alu 0xfffd
	s_delay_alu instid0(VALU_DEP_2) | instskip(NEXT) | instid1(VALU_DEP_1)
	v_dual_cndmask_b32 v16, v16, v22 :: v_dual_cndmask_b32 v3, v3, v17
	v_cmp_le_u32_e32 vcc_lo, s56, v16
	s_delay_alu instid0(VALU_DEP_2) | instskip(SKIP_1) | instid1(VALU_DEP_1)
	v_add_nc_u32_e32 v17, 1, v3
	s_wait_alu 0xfffd
	v_dual_cndmask_b32 v16, v3, v17 :: v_dual_mov_b32 v17, v2
	s_branch .LBB62_21
.LBB62_38:                              ;   in Loop: Header=BB62_3 Depth=1
	s_load_b64 s[0:1], s[24:25], 0x0
	s_wait_kmcnt 0x0
	v_cmp_gt_i64_e32 vcc_lo, s[0:1], v[4:5]
	s_and_b32 exec_lo, exec_lo, vcc_lo
	s_cbranch_execz .LBB62_2
; %bb.39:                               ;   in Loop: Header=BB62_3 Depth=1
	v_add_co_u32 v3, vcc_lo, v4, 1
	s_wait_alu 0xfffd
	v_add_co_ci_u32_e64 v4, null, 0, v5, vcc_lo
	v_lshlrev_b64_e32 v[5:6], 2, v[6:7]
	s_delay_alu instid0(VALU_DEP_3) | instskip(SKIP_1) | instid1(VALU_DEP_3)
	v_sub_co_u32 v8, vcc_lo, v3, v20
	s_wait_alu 0xfffd
	v_sub_co_ci_u32_e64 v9, null, v4, v21, vcc_lo
	v_cmp_gt_i64_e32 vcc_lo, s[0:1], v[3:4]
	s_delay_alu instid0(VALU_DEP_4) | instskip(NEXT) | instid1(VALU_DEP_3)
	v_add_co_u32 v3, s1, s10, v5
	v_cmp_gt_i64_e64 s0, s[4:5], v[8:9]
	s_wait_alu 0xf1ff
	v_add_co_ci_u32_e64 v4, null, s11, v6, s1
	global_store_b32 v[3:4], v2, off
	s_and_b32 s0, vcc_lo, s0
	s_wait_alu 0xfffe
	s_and_b32 exec_lo, exec_lo, s0
	s_cbranch_execz .LBB62_2
; %bb.40:                               ;   in Loop: Header=BB62_3 Depth=1
	s_lshl_b64 s[0:1], s[2:3], 2
	s_wait_alu 0xfffe
	v_add_co_u32 v3, vcc_lo, v3, s0
	s_wait_alu 0xfffd
	v_add_co_ci_u32_e64 v4, null, s1, v4, vcc_lo
	global_store_b32 v[3:4], v2, off
	s_branch .LBB62_2
.LBB62_41:
	s_endpgm
	.section	.rodata,"a",@progbits
	.p2align	6, 0x0
	.amdhsa_kernel _ZN2at6native16triu_tril_kernelIilLb1ELi2ELb1EEEvNS_4cuda6detail10TensorInfoIT_T0_EENS4_IKS5_S6_EEllS6_
		.amdhsa_group_segment_fixed_size 0
		.amdhsa_private_segment_fixed_size 0
		.amdhsa_kernarg_size 1112
		.amdhsa_user_sgpr_count 2
		.amdhsa_user_sgpr_dispatch_ptr 0
		.amdhsa_user_sgpr_queue_ptr 0
		.amdhsa_user_sgpr_kernarg_segment_ptr 1
		.amdhsa_user_sgpr_dispatch_id 0
		.amdhsa_user_sgpr_private_segment_size 0
		.amdhsa_wavefront_size32 1
		.amdhsa_uses_dynamic_stack 0
		.amdhsa_enable_private_segment 0
		.amdhsa_system_sgpr_workgroup_id_x 1
		.amdhsa_system_sgpr_workgroup_id_y 0
		.amdhsa_system_sgpr_workgroup_id_z 0
		.amdhsa_system_sgpr_workgroup_info 0
		.amdhsa_system_vgpr_workitem_id 0
		.amdhsa_next_free_vgpr 30
		.amdhsa_next_free_sgpr 75
		.amdhsa_reserve_vcc 1
		.amdhsa_float_round_mode_32 0
		.amdhsa_float_round_mode_16_64 0
		.amdhsa_float_denorm_mode_32 3
		.amdhsa_float_denorm_mode_16_64 3
		.amdhsa_fp16_overflow 0
		.amdhsa_workgroup_processor_mode 1
		.amdhsa_memory_ordered 1
		.amdhsa_forward_progress 1
		.amdhsa_inst_pref_size 65
		.amdhsa_round_robin_scheduling 0
		.amdhsa_exception_fp_ieee_invalid_op 0
		.amdhsa_exception_fp_denorm_src 0
		.amdhsa_exception_fp_ieee_div_zero 0
		.amdhsa_exception_fp_ieee_overflow 0
		.amdhsa_exception_fp_ieee_underflow 0
		.amdhsa_exception_fp_ieee_inexact 0
		.amdhsa_exception_int_div_zero 0
	.end_amdhsa_kernel
	.section	.text._ZN2at6native16triu_tril_kernelIilLb1ELi2ELb1EEEvNS_4cuda6detail10TensorInfoIT_T0_EENS4_IKS5_S6_EEllS6_,"axG",@progbits,_ZN2at6native16triu_tril_kernelIilLb1ELi2ELb1EEEvNS_4cuda6detail10TensorInfoIT_T0_EENS4_IKS5_S6_EEllS6_,comdat
.Lfunc_end62:
	.size	_ZN2at6native16triu_tril_kernelIilLb1ELi2ELb1EEEvNS_4cuda6detail10TensorInfoIT_T0_EENS4_IKS5_S6_EEllS6_, .Lfunc_end62-_ZN2at6native16triu_tril_kernelIilLb1ELi2ELb1EEEvNS_4cuda6detail10TensorInfoIT_T0_EENS4_IKS5_S6_EEllS6_
                                        ; -- End function
	.set _ZN2at6native16triu_tril_kernelIilLb1ELi2ELb1EEEvNS_4cuda6detail10TensorInfoIT_T0_EENS4_IKS5_S6_EEllS6_.num_vgpr, 30
	.set _ZN2at6native16triu_tril_kernelIilLb1ELi2ELb1EEEvNS_4cuda6detail10TensorInfoIT_T0_EENS4_IKS5_S6_EEllS6_.num_agpr, 0
	.set _ZN2at6native16triu_tril_kernelIilLb1ELi2ELb1EEEvNS_4cuda6detail10TensorInfoIT_T0_EENS4_IKS5_S6_EEllS6_.numbered_sgpr, 75
	.set _ZN2at6native16triu_tril_kernelIilLb1ELi2ELb1EEEvNS_4cuda6detail10TensorInfoIT_T0_EENS4_IKS5_S6_EEllS6_.num_named_barrier, 0
	.set _ZN2at6native16triu_tril_kernelIilLb1ELi2ELb1EEEvNS_4cuda6detail10TensorInfoIT_T0_EENS4_IKS5_S6_EEllS6_.private_seg_size, 0
	.set _ZN2at6native16triu_tril_kernelIilLb1ELi2ELb1EEEvNS_4cuda6detail10TensorInfoIT_T0_EENS4_IKS5_S6_EEllS6_.uses_vcc, 1
	.set _ZN2at6native16triu_tril_kernelIilLb1ELi2ELb1EEEvNS_4cuda6detail10TensorInfoIT_T0_EENS4_IKS5_S6_EEllS6_.uses_flat_scratch, 0
	.set _ZN2at6native16triu_tril_kernelIilLb1ELi2ELb1EEEvNS_4cuda6detail10TensorInfoIT_T0_EENS4_IKS5_S6_EEllS6_.has_dyn_sized_stack, 0
	.set _ZN2at6native16triu_tril_kernelIilLb1ELi2ELb1EEEvNS_4cuda6detail10TensorInfoIT_T0_EENS4_IKS5_S6_EEllS6_.has_recursion, 0
	.set _ZN2at6native16triu_tril_kernelIilLb1ELi2ELb1EEEvNS_4cuda6detail10TensorInfoIT_T0_EENS4_IKS5_S6_EEllS6_.has_indirect_call, 0
	.section	.AMDGPU.csdata,"",@progbits
; Kernel info:
; codeLenInByte = 8312
; TotalNumSgprs: 77
; NumVgprs: 30
; ScratchSize: 0
; MemoryBound: 0
; FloatMode: 240
; IeeeMode: 1
; LDSByteSize: 0 bytes/workgroup (compile time only)
; SGPRBlocks: 0
; VGPRBlocks: 3
; NumSGPRsForWavesPerEU: 77
; NumVGPRsForWavesPerEU: 30
; Occupancy: 16
; WaveLimiterHint : 0
; COMPUTE_PGM_RSRC2:SCRATCH_EN: 0
; COMPUTE_PGM_RSRC2:USER_SGPR: 2
; COMPUTE_PGM_RSRC2:TRAP_HANDLER: 0
; COMPUTE_PGM_RSRC2:TGID_X_EN: 1
; COMPUTE_PGM_RSRC2:TGID_Y_EN: 0
; COMPUTE_PGM_RSRC2:TGID_Z_EN: 0
; COMPUTE_PGM_RSRC2:TIDIG_COMP_CNT: 0
	.section	.text._ZN2at6native16triu_tril_kernelIilLb1ELi2ELb0EEEvNS_4cuda6detail10TensorInfoIT_T0_EENS4_IKS5_S6_EEllS6_,"axG",@progbits,_ZN2at6native16triu_tril_kernelIilLb1ELi2ELb0EEEvNS_4cuda6detail10TensorInfoIT_T0_EENS4_IKS5_S6_EEllS6_,comdat
	.protected	_ZN2at6native16triu_tril_kernelIilLb1ELi2ELb0EEEvNS_4cuda6detail10TensorInfoIT_T0_EENS4_IKS5_S6_EEllS6_ ; -- Begin function _ZN2at6native16triu_tril_kernelIilLb1ELi2ELb0EEEvNS_4cuda6detail10TensorInfoIT_T0_EENS4_IKS5_S6_EEllS6_
	.globl	_ZN2at6native16triu_tril_kernelIilLb1ELi2ELb0EEEvNS_4cuda6detail10TensorInfoIT_T0_EENS4_IKS5_S6_EEllS6_
	.p2align	8
	.type	_ZN2at6native16triu_tril_kernelIilLb1ELi2ELb0EEEvNS_4cuda6detail10TensorInfoIT_T0_EENS4_IKS5_S6_EEllS6_,@function
_ZN2at6native16triu_tril_kernelIilLb1ELi2ELb0EEEvNS_4cuda6detail10TensorInfoIT_T0_EENS4_IKS5_S6_EEllS6_: ; @_ZN2at6native16triu_tril_kernelIilLb1ELi2ELb0EEEvNS_4cuda6detail10TensorInfoIT_T0_EENS4_IKS5_S6_EEllS6_
; %bb.0:
	s_clause 0x1
	s_load_b32 s2, s[0:1], 0x364
	s_load_b128 s[4:7], s[0:1], 0x340
	v_mov_b32_e32 v2, 0
	s_delay_alu instid0(VALU_DEP_1) | instskip(SKIP_3) | instid1(VALU_DEP_1)
	v_mov_b32_e32 v1, v2
	s_wait_kmcnt 0x0
	s_and_b32 s16, s2, 0xffff
	s_mov_b32 s2, exec_lo
	v_mad_co_u64_u32 v[0:1], null, s16, ttmp9, v[0:1]
	s_delay_alu instid0(VALU_DEP_1) | instskip(NEXT) | instid1(VALU_DEP_1)
	v_lshlrev_b64_e32 v[0:1], 1, v[0:1]
	v_cmpx_gt_i64_e64 s[6:7], v[0:1]
	s_cbranch_execz .LBB63_38
; %bb.1:
	s_clause 0x1
	s_load_b32 s38, s[0:1], 0x338
	s_load_b64 s[2:3], s[0:1], 0x1a0
	s_add_nc_u64 s[20:21], s[0:1], 0x1a0
	s_load_b64 s[22:23], s[0:1], 0x350
	s_add_nc_u64 s[14:15], s[0:1], 0x358
	s_mov_b32 s27, 0
	s_mov_b32 s63, 0
	s_wait_kmcnt 0x0
	s_ashr_i32 s39, s38, 31
	s_add_co_i32 s28, s38, -3
	s_lshl_b64 s[18:19], s[38:39], 3
	s_ashr_i32 s29, s28, 31
	s_add_nc_u64 s[12:13], s[20:21], s[18:19]
	v_cmp_gt_i64_e64 s62, s[38:39], 2
	s_add_nc_u64 s[8:9], s[12:13], -8
	s_add_nc_u64 s[30:31], s[28:29], -1
	s_load_b128 s[8:11], s[8:9], 0x0
	s_load_b32 s17, s[14:15], 0x0
	s_clause 0x1
	s_load_b64 s[24:25], s[0:1], 0x0
	s_load_b128 s[12:15], s[12:13], 0xc0
	v_cvt_f32_u32_e32 v3, s22
	s_add_nc_u64 s[38:39], s[0:1], 0xc8
	s_delay_alu instid0(VALU_DEP_1)
	v_rcp_iflag_f32_e32 v3, v3
	s_wait_kmcnt 0x0
	v_cvt_f32_u32_e32 v4, s8
	s_mul_i32 s26, s17, s16
	s_add_nc_u64 s[16:17], s[0:1], s[18:19]
	s_lshl_b32 s33, s26, 1
	s_load_b128 s[16:19], s[16:17], 0xc0
	v_rcp_iflag_f32_e32 v4, v4
	s_delay_alu instid0(TRANS32_DEP_2)
	v_mul_f32_e32 v3, 0x4f7ffffe, v3
	s_bitcmp0_b32 s28, 0
	s_cselect_b32 s60, -1, 0
	s_lshl_b64 s[36:37], s[28:29], 3
	s_cmp_lg_u32 s28, 0
	s_add_nc_u64 s[34:35], s[20:21], s[36:37]
	s_add_nc_u64 s[36:37], s[0:1], s[36:37]
	s_cselect_b32 s61, -1, 0
	s_delay_alu instid0(TRANS32_DEP_1) | instskip(SKIP_2) | instid1(VALU_DEP_2)
	v_mul_f32_e32 v4, 0x4f7ffffe, v4
	v_cvt_u32_f32_e32 v16, v3
	s_ashr_i32 s40, s23, 31
	v_cvt_u32_f32_e32 v17, v4
	s_branch .LBB63_3
.LBB63_2:                               ;   in Loop: Header=BB63_3 Depth=1
	s_wait_alu 0xfffe
	s_or_b32 exec_lo, exec_lo, s0
	v_add_co_u32 v0, vcc_lo, v0, s33
	s_wait_alu 0xfffd
	v_add_co_ci_u32_e64 v1, null, 0, v1, vcc_lo
	s_delay_alu instid0(VALU_DEP_1) | instskip(SKIP_1) | instid1(SALU_CYCLE_1)
	v_cmp_le_i64_e32 vcc_lo, s[6:7], v[0:1]
	s_or_b32 s63, vcc_lo, s63
	s_and_not1_b32 exec_lo, exec_lo, s63
	s_cbranch_execz .LBB63_38
.LBB63_3:                               ; =>This Loop Header: Depth=1
                                        ;     Child Loop BB63_21 Depth 2
	v_or_b32_e32 v3, s23, v1
                                        ; implicit-def: $vgpr6_vgpr7
	s_mov_b32 s0, exec_lo
	s_delay_alu instid0(VALU_DEP_1)
	v_cmpx_ne_u64_e32 0, v[2:3]
	s_wait_alu 0xfffe
	s_xor_b32 s1, exec_lo, s0
	s_cbranch_execz .LBB63_5
; %bb.4:                                ;   in Loop: Header=BB63_3 Depth=1
	s_mov_b32 s41, s40
	v_ashrrev_i32_e32 v9, 31, v1
	s_wait_alu 0xfffe
	s_add_nc_u64 s[42:43], s[22:23], s[40:41]
	s_wait_alu 0xfffe
	s_xor_b64 s[42:43], s[42:43], s[40:41]
	v_add_co_u32 v3, vcc_lo, v0, v9
	s_wait_alu 0xfffe
	s_cvt_f32_u32 s0, s42
	s_cvt_f32_u32 s26, s43
	s_sub_nc_u64 s[46:47], 0, s[42:43]
	s_wait_alu 0xfffd
	v_add_co_ci_u32_e64 v4, null, v1, v9, vcc_lo
	s_wait_alu 0xfffe
	s_fmamk_f32 s0, s26, 0x4f800000, s0
	v_xor_b32_e32 v10, v3, v9
	s_delay_alu instid0(VALU_DEP_2) | instskip(SKIP_2) | instid1(TRANS32_DEP_1)
	v_xor_b32_e32 v11, v4, v9
	s_wait_alu 0xfffe
	v_s_rcp_f32 s0, s0
	s_mul_f32 s0, s0, 0x5f7ffffc
	s_wait_alu 0xfffe
	s_delay_alu instid0(SALU_CYCLE_2) | instskip(SKIP_1) | instid1(SALU_CYCLE_2)
	s_mul_f32 s26, s0, 0x2f800000
	s_wait_alu 0xfffe
	s_trunc_f32 s26, s26
	s_wait_alu 0xfffe
	s_delay_alu instid0(SALU_CYCLE_2) | instskip(SKIP_2) | instid1(SALU_CYCLE_1)
	s_fmamk_f32 s0, s26, 0xcf800000, s0
	s_cvt_u32_f32 s45, s26
	s_wait_alu 0xfffe
	s_cvt_u32_f32 s44, s0
	s_wait_alu 0xfffe
	s_delay_alu instid0(SALU_CYCLE_2)
	s_mul_u64 s[48:49], s[46:47], s[44:45]
	s_wait_alu 0xfffe
	s_mul_hi_u32 s51, s44, s49
	s_mul_i32 s50, s44, s49
	s_mul_hi_u32 s26, s44, s48
	s_mul_i32 s41, s45, s48
	s_wait_alu 0xfffe
	s_add_nc_u64 s[50:51], s[26:27], s[50:51]
	s_mul_hi_u32 s0, s45, s48
	s_mul_hi_u32 s52, s45, s49
	s_wait_alu 0xfffe
	s_add_co_u32 s26, s50, s41
	s_add_co_ci_u32 s26, s51, s0
	s_mul_i32 s48, s45, s49
	s_add_co_ci_u32 s49, s52, 0
	s_wait_alu 0xfffe
	s_add_nc_u64 s[48:49], s[26:27], s[48:49]
	s_wait_alu 0xfffe
	s_add_co_u32 s44, s44, s48
	s_cselect_b32 s0, -1, 0
	s_wait_alu 0xfffe
	s_cmp_lg_u32 s0, 0
	s_add_co_ci_u32 s45, s45, s49
	s_wait_alu 0xfffe
	s_mul_u64 s[46:47], s[46:47], s[44:45]
	s_wait_alu 0xfffe
	s_mul_hi_u32 s49, s44, s47
	s_mul_i32 s48, s44, s47
	s_mul_hi_u32 s26, s44, s46
	s_mul_i32 s41, s45, s46
	s_wait_alu 0xfffe
	s_add_nc_u64 s[48:49], s[26:27], s[48:49]
	s_mul_hi_u32 s0, s45, s46
	s_mul_hi_u32 s50, s45, s47
	s_wait_alu 0xfffe
	s_add_co_u32 s26, s48, s41
	s_add_co_ci_u32 s26, s49, s0
	s_mul_i32 s46, s45, s47
	s_add_co_ci_u32 s47, s50, 0
	s_wait_alu 0xfffe
	s_add_nc_u64 s[46:47], s[26:27], s[46:47]
	s_wait_alu 0xfffe
	s_add_co_u32 s0, s44, s46
	s_cselect_b32 s26, -1, 0
	s_wait_alu 0xfffe
	v_mul_hi_u32 v12, v10, s0
	s_cmp_lg_u32 s26, 0
	v_mad_co_u64_u32 v[5:6], null, v11, s0, 0
	s_add_co_ci_u32 s26, s45, s47
	s_wait_alu 0xfffe
	v_mad_co_u64_u32 v[3:4], null, v10, s26, 0
	v_mad_co_u64_u32 v[7:8], null, v11, s26, 0
	s_delay_alu instid0(VALU_DEP_2) | instskip(SKIP_1) | instid1(VALU_DEP_3)
	v_add_co_u32 v3, vcc_lo, v12, v3
	s_wait_alu 0xfffd
	v_add_co_ci_u32_e64 v4, null, 0, v4, vcc_lo
	s_delay_alu instid0(VALU_DEP_2) | instskip(SKIP_1) | instid1(VALU_DEP_2)
	v_add_co_u32 v3, vcc_lo, v3, v5
	s_wait_alu 0xfffd
	v_add_co_ci_u32_e32 v3, vcc_lo, v4, v6, vcc_lo
	s_wait_alu 0xfffd
	v_add_co_ci_u32_e32 v4, vcc_lo, 0, v8, vcc_lo
	s_delay_alu instid0(VALU_DEP_2) | instskip(SKIP_1) | instid1(VALU_DEP_2)
	v_add_co_u32 v5, vcc_lo, v3, v7
	s_wait_alu 0xfffd
	v_add_co_ci_u32_e64 v6, null, 0, v4, vcc_lo
	s_delay_alu instid0(VALU_DEP_2) | instskip(SKIP_1) | instid1(VALU_DEP_3)
	v_mul_lo_u32 v7, s43, v5
	v_mad_co_u64_u32 v[3:4], null, s42, v5, 0
	v_mul_lo_u32 v8, s42, v6
	s_delay_alu instid0(VALU_DEP_2) | instskip(NEXT) | instid1(VALU_DEP_2)
	v_sub_co_u32 v3, vcc_lo, v10, v3
	v_add3_u32 v4, v4, v8, v7
	v_add_co_u32 v8, s0, v5, 2
	s_wait_alu 0xf1ff
	v_add_co_ci_u32_e64 v10, null, 0, v6, s0
	s_delay_alu instid0(VALU_DEP_3) | instskip(SKIP_3) | instid1(VALU_DEP_3)
	v_sub_nc_u32_e32 v7, v11, v4
	v_sub_co_u32 v12, s0, v3, s42
	s_wait_alu 0xfffd
	v_sub_co_ci_u32_e64 v4, null, v11, v4, vcc_lo
	v_subrev_co_ci_u32_e64 v7, null, s43, v7, vcc_lo
	s_delay_alu instid0(VALU_DEP_3) | instskip(SKIP_1) | instid1(VALU_DEP_2)
	v_cmp_le_u32_e32 vcc_lo, s42, v12
	s_wait_alu 0xf1ff
	v_subrev_co_ci_u32_e64 v7, null, 0, v7, s0
	s_wait_alu 0xfffd
	v_cndmask_b32_e64 v11, 0, -1, vcc_lo
	s_delay_alu instid0(VALU_DEP_2)
	v_cmp_le_u32_e32 vcc_lo, s43, v7
	s_wait_alu 0xfffd
	v_cndmask_b32_e64 v12, 0, -1, vcc_lo
	v_cmp_le_u32_e32 vcc_lo, s42, v3
	s_wait_alu 0xfffd
	v_cndmask_b32_e64 v3, 0, -1, vcc_lo
	;; [unrolled: 3-line block ×3, first 2 shown]
	v_cmp_eq_u32_e32 vcc_lo, s43, v7
	s_wait_alu 0xfffd
	v_cndmask_b32_e32 v7, v12, v11, vcc_lo
	v_add_co_u32 v11, vcc_lo, v5, 1
	s_wait_alu 0xfffd
	v_add_co_ci_u32_e64 v12, null, 0, v6, vcc_lo
	v_cmp_eq_u32_e32 vcc_lo, s43, v4
	s_wait_alu 0xfffd
	v_cndmask_b32_e32 v3, v13, v3, vcc_lo
	v_cmp_ne_u32_e32 vcc_lo, 0, v7
	v_xor_b32_e32 v7, s40, v9
	s_wait_alu 0xfffd
	v_cndmask_b32_e32 v4, v12, v10, vcc_lo
	v_cmp_ne_u32_e64 s0, 0, v3
	v_cndmask_b32_e32 v3, v11, v8, vcc_lo
	s_wait_alu 0xf1ff
	s_delay_alu instid0(VALU_DEP_2) | instskip(NEXT) | instid1(VALU_DEP_2)
	v_cndmask_b32_e64 v4, v6, v4, s0
	v_cndmask_b32_e64 v3, v5, v3, s0
	s_delay_alu instid0(VALU_DEP_2) | instskip(NEXT) | instid1(VALU_DEP_2)
	v_xor_b32_e32 v4, v4, v7
	v_xor_b32_e32 v3, v3, v7
	s_delay_alu instid0(VALU_DEP_1) | instskip(SKIP_1) | instid1(VALU_DEP_3)
	v_sub_co_u32 v6, vcc_lo, v3, v7
	s_wait_alu 0xfffd
	v_sub_co_ci_u32_e64 v7, null, v4, v7, vcc_lo
.LBB63_5:                               ;   in Loop: Header=BB63_3 Depth=1
	s_wait_alu 0xfffe
	s_and_not1_saveexec_b32 s0, s1
	s_cbranch_execz .LBB63_7
; %bb.6:                                ;   in Loop: Header=BB63_3 Depth=1
	s_sub_co_i32 s1, 0, s22
	v_mov_b32_e32 v7, v2
	s_wait_alu 0xfffe
	v_mul_lo_u32 v3, s1, v16
	s_delay_alu instid0(VALU_DEP_1) | instskip(NEXT) | instid1(VALU_DEP_1)
	v_mul_hi_u32 v3, v16, v3
	v_add_nc_u32_e32 v3, v16, v3
	s_delay_alu instid0(VALU_DEP_1) | instskip(NEXT) | instid1(VALU_DEP_1)
	v_mul_hi_u32 v3, v0, v3
	v_mul_lo_u32 v4, v3, s22
	s_delay_alu instid0(VALU_DEP_1) | instskip(NEXT) | instid1(VALU_DEP_1)
	v_sub_nc_u32_e32 v4, v0, v4
	v_subrev_nc_u32_e32 v6, s22, v4
	v_cmp_le_u32_e32 vcc_lo, s22, v4
	s_wait_alu 0xfffd
	s_delay_alu instid0(VALU_DEP_2) | instskip(NEXT) | instid1(VALU_DEP_1)
	v_dual_cndmask_b32 v4, v4, v6 :: v_dual_add_nc_u32 v5, 1, v3
	v_cndmask_b32_e32 v3, v3, v5, vcc_lo
	s_delay_alu instid0(VALU_DEP_2) | instskip(NEXT) | instid1(VALU_DEP_2)
	v_cmp_le_u32_e32 vcc_lo, s22, v4
	v_add_nc_u32_e32 v5, 1, v3
	s_wait_alu 0xfffd
	s_delay_alu instid0(VALU_DEP_1)
	v_cndmask_b32_e32 v6, v3, v5, vcc_lo
.LBB63_7:                               ;   in Loop: Header=BB63_3 Depth=1
	s_wait_alu 0xfffe
	s_or_b32 exec_lo, exec_lo, s0
	v_or_b32_e32 v3, s9, v7
                                        ; implicit-def: $vgpr10_vgpr11
	s_mov_b32 s0, exec_lo
	s_delay_alu instid0(VALU_DEP_1)
	v_cmpx_ne_u64_e32 0, v[2:3]
	s_wait_alu 0xfffe
	s_xor_b32 s1, exec_lo, s0
	s_cbranch_execz .LBB63_9
; %bb.8:                                ;   in Loop: Header=BB63_3 Depth=1
	s_ashr_i32 s42, s9, 31
	v_ashrrev_i32_e32 v5, 31, v7
	s_wait_alu 0xfffe
	s_mov_b32 s43, s42
	s_wait_alu 0xfffe
	s_add_nc_u64 s[44:45], s[8:9], s[42:43]
	v_add_co_u32 v3, vcc_lo, v6, v5
	s_wait_alu 0xfffe
	s_xor_b64 s[44:45], s[44:45], s[42:43]
	s_wait_alu 0xfffd
	v_add_co_ci_u32_e64 v4, null, v7, v5, vcc_lo
	s_wait_alu 0xfffe
	s_cvt_f32_u32 s0, s44
	s_cvt_f32_u32 s26, s45
	s_sub_nc_u64 s[48:49], 0, s[44:45]
	v_xor_b32_e32 v12, v3, v5
	v_xor_b32_e32 v13, v4, v5
	s_wait_alu 0xfffe
	s_fmamk_f32 s0, s26, 0x4f800000, s0
	v_xor_b32_e32 v5, s42, v5
	s_wait_alu 0xfffe
	s_delay_alu instid0(SALU_CYCLE_1) | instskip(NEXT) | instid1(TRANS32_DEP_1)
	v_s_rcp_f32 s0, s0
	s_mul_f32 s0, s0, 0x5f7ffffc
	s_wait_alu 0xfffe
	s_delay_alu instid0(SALU_CYCLE_2) | instskip(SKIP_1) | instid1(SALU_CYCLE_2)
	s_mul_f32 s26, s0, 0x2f800000
	s_wait_alu 0xfffe
	s_trunc_f32 s26, s26
	s_wait_alu 0xfffe
	s_delay_alu instid0(SALU_CYCLE_2) | instskip(SKIP_2) | instid1(SALU_CYCLE_1)
	s_fmamk_f32 s0, s26, 0xcf800000, s0
	s_cvt_u32_f32 s47, s26
	s_wait_alu 0xfffe
	s_cvt_u32_f32 s46, s0
	s_wait_alu 0xfffe
	s_delay_alu instid0(SALU_CYCLE_2)
	s_mul_u64 s[50:51], s[48:49], s[46:47]
	s_wait_alu 0xfffe
	s_mul_hi_u32 s53, s46, s51
	s_mul_i32 s52, s46, s51
	s_mul_hi_u32 s26, s46, s50
	s_mul_i32 s41, s47, s50
	s_wait_alu 0xfffe
	s_add_nc_u64 s[52:53], s[26:27], s[52:53]
	s_mul_hi_u32 s0, s47, s50
	s_mul_hi_u32 s43, s47, s51
	s_wait_alu 0xfffe
	s_add_co_u32 s26, s52, s41
	s_add_co_ci_u32 s26, s53, s0
	s_mul_i32 s50, s47, s51
	s_add_co_ci_u32 s51, s43, 0
	s_wait_alu 0xfffe
	s_add_nc_u64 s[50:51], s[26:27], s[50:51]
	s_wait_alu 0xfffe
	s_add_co_u32 s46, s46, s50
	s_cselect_b32 s0, -1, 0
	s_wait_alu 0xfffe
	s_cmp_lg_u32 s0, 0
	s_add_co_ci_u32 s47, s47, s51
	s_wait_alu 0xfffe
	s_mul_u64 s[48:49], s[48:49], s[46:47]
	s_wait_alu 0xfffe
	s_mul_hi_u32 s51, s46, s49
	s_mul_i32 s50, s46, s49
	s_mul_hi_u32 s26, s46, s48
	s_mul_i32 s41, s47, s48
	s_wait_alu 0xfffe
	s_add_nc_u64 s[50:51], s[26:27], s[50:51]
	s_mul_hi_u32 s0, s47, s48
	s_mul_hi_u32 s43, s47, s49
	s_wait_alu 0xfffe
	s_add_co_u32 s26, s50, s41
	s_add_co_ci_u32 s26, s51, s0
	s_mul_i32 s48, s47, s49
	s_add_co_ci_u32 s49, s43, 0
	s_wait_alu 0xfffe
	s_add_nc_u64 s[48:49], s[26:27], s[48:49]
	s_wait_alu 0xfffe
	s_add_co_u32 s0, s46, s48
	s_cselect_b32 s26, -1, 0
	s_wait_alu 0xfffe
	v_mul_hi_u32 v14, v12, s0
	s_cmp_lg_u32 s26, 0
	v_mad_co_u64_u32 v[8:9], null, v13, s0, 0
	s_add_co_ci_u32 s26, s47, s49
	s_wait_alu 0xfffe
	v_mad_co_u64_u32 v[3:4], null, v12, s26, 0
	v_mad_co_u64_u32 v[10:11], null, v13, s26, 0
	s_delay_alu instid0(VALU_DEP_2) | instskip(SKIP_1) | instid1(VALU_DEP_3)
	v_add_co_u32 v3, vcc_lo, v14, v3
	s_wait_alu 0xfffd
	v_add_co_ci_u32_e64 v4, null, 0, v4, vcc_lo
	s_delay_alu instid0(VALU_DEP_2) | instskip(SKIP_1) | instid1(VALU_DEP_2)
	v_add_co_u32 v3, vcc_lo, v3, v8
	s_wait_alu 0xfffd
	v_add_co_ci_u32_e32 v3, vcc_lo, v4, v9, vcc_lo
	s_wait_alu 0xfffd
	v_add_co_ci_u32_e32 v4, vcc_lo, 0, v11, vcc_lo
	s_delay_alu instid0(VALU_DEP_2) | instskip(SKIP_1) | instid1(VALU_DEP_2)
	v_add_co_u32 v8, vcc_lo, v3, v10
	s_wait_alu 0xfffd
	v_add_co_ci_u32_e64 v9, null, 0, v4, vcc_lo
	s_delay_alu instid0(VALU_DEP_2) | instskip(SKIP_1) | instid1(VALU_DEP_3)
	v_mul_lo_u32 v10, s45, v8
	v_mad_co_u64_u32 v[3:4], null, s44, v8, 0
	v_mul_lo_u32 v11, s44, v9
	s_delay_alu instid0(VALU_DEP_2) | instskip(NEXT) | instid1(VALU_DEP_2)
	v_sub_co_u32 v3, vcc_lo, v12, v3
	v_add3_u32 v4, v4, v11, v10
	v_add_co_u32 v11, s0, v8, 2
	s_wait_alu 0xf1ff
	v_add_co_ci_u32_e64 v12, null, 0, v9, s0
	s_delay_alu instid0(VALU_DEP_3) | instskip(SKIP_3) | instid1(VALU_DEP_3)
	v_sub_nc_u32_e32 v10, v13, v4
	v_sub_co_u32 v14, s0, v3, s44
	s_wait_alu 0xfffd
	v_sub_co_ci_u32_e64 v4, null, v13, v4, vcc_lo
	v_subrev_co_ci_u32_e64 v10, null, s45, v10, vcc_lo
	s_delay_alu instid0(VALU_DEP_3) | instskip(SKIP_1) | instid1(VALU_DEP_2)
	v_cmp_le_u32_e32 vcc_lo, s44, v14
	s_wait_alu 0xf1ff
	v_subrev_co_ci_u32_e64 v10, null, 0, v10, s0
	s_wait_alu 0xfffd
	v_cndmask_b32_e64 v13, 0, -1, vcc_lo
	s_delay_alu instid0(VALU_DEP_2)
	v_cmp_le_u32_e32 vcc_lo, s45, v10
	s_wait_alu 0xfffd
	v_cndmask_b32_e64 v14, 0, -1, vcc_lo
	v_cmp_le_u32_e32 vcc_lo, s44, v3
	s_wait_alu 0xfffd
	v_cndmask_b32_e64 v3, 0, -1, vcc_lo
	;; [unrolled: 3-line block ×3, first 2 shown]
	v_cmp_eq_u32_e32 vcc_lo, s45, v10
	s_wait_alu 0xfffd
	v_cndmask_b32_e32 v10, v14, v13, vcc_lo
	v_add_co_u32 v13, vcc_lo, v8, 1
	s_wait_alu 0xfffd
	v_add_co_ci_u32_e64 v14, null, 0, v9, vcc_lo
	v_cmp_eq_u32_e32 vcc_lo, s45, v4
	s_wait_alu 0xfffd
	v_cndmask_b32_e32 v3, v15, v3, vcc_lo
	v_cmp_ne_u32_e32 vcc_lo, 0, v10
	s_delay_alu instid0(VALU_DEP_2) | instskip(SKIP_3) | instid1(VALU_DEP_1)
	v_cmp_ne_u32_e64 s0, 0, v3
	s_wait_alu 0xfffd
	v_dual_cndmask_b32 v4, v14, v12 :: v_dual_cndmask_b32 v3, v13, v11
	s_wait_alu 0xf1ff
	v_cndmask_b32_e64 v4, v9, v4, s0
	s_delay_alu instid0(VALU_DEP_2) | instskip(NEXT) | instid1(VALU_DEP_2)
	v_cndmask_b32_e64 v3, v8, v3, s0
	v_xor_b32_e32 v4, v4, v5
	s_delay_alu instid0(VALU_DEP_2) | instskip(NEXT) | instid1(VALU_DEP_1)
	v_xor_b32_e32 v3, v3, v5
	v_sub_co_u32 v10, vcc_lo, v3, v5
	s_wait_alu 0xfffd
	s_delay_alu instid0(VALU_DEP_3)
	v_sub_co_ci_u32_e64 v11, null, v4, v5, vcc_lo
.LBB63_9:                               ;   in Loop: Header=BB63_3 Depth=1
	s_wait_alu 0xfffe
	s_and_not1_saveexec_b32 s0, s1
	s_cbranch_execz .LBB63_11
; %bb.10:                               ;   in Loop: Header=BB63_3 Depth=1
	s_sub_co_i32 s1, 0, s8
	v_mov_b32_e32 v11, v2
	s_wait_alu 0xfffe
	v_mul_lo_u32 v3, s1, v17
	s_delay_alu instid0(VALU_DEP_1) | instskip(NEXT) | instid1(VALU_DEP_1)
	v_mul_hi_u32 v3, v17, v3
	v_add_nc_u32_e32 v3, v17, v3
	s_delay_alu instid0(VALU_DEP_1) | instskip(NEXT) | instid1(VALU_DEP_1)
	v_mul_hi_u32 v3, v6, v3
	v_mul_lo_u32 v4, v3, s8
	v_add_nc_u32_e32 v5, 1, v3
	s_delay_alu instid0(VALU_DEP_2) | instskip(NEXT) | instid1(VALU_DEP_1)
	v_sub_nc_u32_e32 v4, v6, v4
	v_subrev_nc_u32_e32 v8, s8, v4
	v_cmp_le_u32_e32 vcc_lo, s8, v4
	s_wait_alu 0xfffd
	s_delay_alu instid0(VALU_DEP_2) | instskip(NEXT) | instid1(VALU_DEP_1)
	v_dual_cndmask_b32 v4, v4, v8 :: v_dual_cndmask_b32 v3, v3, v5
	v_cmp_le_u32_e32 vcc_lo, s8, v4
	s_delay_alu instid0(VALU_DEP_2) | instskip(SKIP_1) | instid1(VALU_DEP_1)
	v_add_nc_u32_e32 v5, 1, v3
	s_wait_alu 0xfffd
	v_cndmask_b32_e32 v10, v3, v5, vcc_lo
.LBB63_11:                              ;   in Loop: Header=BB63_3 Depth=1
	s_wait_alu 0xfffe
	s_or_b32 exec_lo, exec_lo, s0
	v_mul_lo_u32 v5, v7, s22
	v_mul_lo_u32 v12, v6, s23
	v_mad_co_u64_u32 v[3:4], null, v6, s22, 0
	v_mul_lo_u32 v13, v11, s8
	v_mul_lo_u32 v14, v10, s9
	v_mad_co_u64_u32 v[8:9], null, v10, s8, 0
	s_delay_alu instid0(VALU_DEP_4) | instskip(SKIP_1) | instid1(VALU_DEP_3)
	v_add3_u32 v5, v4, v12, v5
	v_sub_co_u32 v4, vcc_lo, v0, v3
	v_add3_u32 v3, v9, v14, v13
	s_wait_alu 0xfffd
	s_delay_alu instid0(VALU_DEP_3) | instskip(NEXT) | instid1(VALU_DEP_3)
	v_sub_co_ci_u32_e64 v5, null, v1, v5, vcc_lo
	v_mul_lo_u32 v9, s15, v4
	v_mad_co_u64_u32 v[12:13], null, s14, v4, 0
	s_wait_kmcnt 0x0
	v_mul_lo_u32 v20, s19, v4
	v_mul_lo_u32 v21, s14, v5
	v_mul_lo_u32 v22, s18, v5
	v_mad_co_u64_u32 v[14:15], null, s18, v4, 0
	v_sub_co_u32 v18, vcc_lo, v6, v8
	s_wait_alu 0xfffd
	v_sub_co_ci_u32_e64 v19, null, v7, v3, vcc_lo
	v_add3_u32 v13, v13, v21, v9
	s_delay_alu instid0(VALU_DEP_3) | instskip(SKIP_1) | instid1(VALU_DEP_4)
	v_mul_lo_u32 v3, s13, v18
	v_add3_u32 v15, v15, v22, v20
	v_mul_lo_u32 v21, s12, v19
	s_and_not1_b32 vcc_lo, exec_lo, s62
	v_mad_co_u64_u32 v[8:9], null, s12, v18, v[12:13]
	v_mul_lo_u32 v12, s16, v19
	v_mul_lo_u32 v13, s17, v18
	v_mad_co_u64_u32 v[6:7], null, s16, v18, v[14:15]
	s_delay_alu instid0(VALU_DEP_4) | instskip(NEXT) | instid1(VALU_DEP_2)
	v_add3_u32 v9, v3, v9, v21
	v_add3_u32 v7, v13, v7, v12
	s_wait_alu 0xfffe
	s_cbranch_vccnz .LBB63_29
; %bb.12:                               ;   in Loop: Header=BB63_3 Depth=1
	s_and_not1_b32 vcc_lo, exec_lo, s60
	s_wait_alu 0xfffe
	s_cbranch_vccnz .LBB63_18
; %bb.13:                               ;   in Loop: Header=BB63_3 Depth=1
	s_load_b64 s[42:43], s[34:35], 0x8
                                        ; implicit-def: $vgpr12_vgpr13
	s_mov_b32 s0, exec_lo
	s_wait_kmcnt 0x0
	v_or_b32_e32 v3, s43, v11
	s_delay_alu instid0(VALU_DEP_1)
	v_cmpx_ne_u64_e32 0, v[2:3]
	s_wait_alu 0xfffe
	s_xor_b32 s1, exec_lo, s0
	s_cbranch_execz .LBB63_15
; %bb.14:                               ;   in Loop: Header=BB63_3 Depth=1
	s_ashr_i32 s44, s43, 31
	v_ashrrev_i32_e32 v3, 31, v11
	s_wait_alu 0xfffe
	s_mov_b32 s45, s44
	s_wait_alu 0xfffe
	s_add_nc_u64 s[46:47], s[42:43], s[44:45]
	v_add_co_u32 v12, vcc_lo, v10, v3
	s_wait_alu 0xfffe
	s_xor_b64 s[46:47], s[46:47], s[44:45]
	s_wait_alu 0xfffd
	v_add_co_ci_u32_e64 v13, null, v11, v3, vcc_lo
	s_wait_alu 0xfffe
	s_cvt_f32_u32 s0, s46
	s_cvt_f32_u32 s26, s47
	s_sub_nc_u64 s[50:51], 0, s[46:47]
	v_xor_b32_e32 v22, v12, v3
	v_xor_b32_e32 v23, v13, v3
	s_wait_alu 0xfffe
	s_fmamk_f32 s0, s26, 0x4f800000, s0
	v_xor_b32_e32 v3, s44, v3
	s_wait_alu 0xfffe
	s_delay_alu instid0(SALU_CYCLE_1) | instskip(NEXT) | instid1(TRANS32_DEP_1)
	v_s_rcp_f32 s0, s0
	s_mul_f32 s0, s0, 0x5f7ffffc
	s_wait_alu 0xfffe
	s_delay_alu instid0(SALU_CYCLE_2) | instskip(SKIP_1) | instid1(SALU_CYCLE_2)
	s_mul_f32 s26, s0, 0x2f800000
	s_wait_alu 0xfffe
	s_trunc_f32 s26, s26
	s_wait_alu 0xfffe
	s_delay_alu instid0(SALU_CYCLE_2) | instskip(SKIP_2) | instid1(SALU_CYCLE_1)
	s_fmamk_f32 s0, s26, 0xcf800000, s0
	s_cvt_u32_f32 s49, s26
	s_wait_alu 0xfffe
	s_cvt_u32_f32 s48, s0
	s_wait_alu 0xfffe
	s_delay_alu instid0(SALU_CYCLE_2)
	s_mul_u64 s[52:53], s[50:51], s[48:49]
	s_wait_alu 0xfffe
	s_mul_hi_u32 s55, s48, s53
	s_mul_i32 s54, s48, s53
	s_mul_hi_u32 s26, s48, s52
	s_mul_i32 s41, s49, s52
	s_wait_alu 0xfffe
	s_add_nc_u64 s[54:55], s[26:27], s[54:55]
	s_mul_hi_u32 s0, s49, s52
	s_mul_hi_u32 s45, s49, s53
	s_wait_alu 0xfffe
	s_add_co_u32 s26, s54, s41
	s_add_co_ci_u32 s26, s55, s0
	s_mul_i32 s52, s49, s53
	s_add_co_ci_u32 s53, s45, 0
	s_wait_alu 0xfffe
	s_add_nc_u64 s[52:53], s[26:27], s[52:53]
	s_wait_alu 0xfffe
	s_add_co_u32 s48, s48, s52
	s_cselect_b32 s0, -1, 0
	s_wait_alu 0xfffe
	s_cmp_lg_u32 s0, 0
	s_add_co_ci_u32 s49, s49, s53
	s_wait_alu 0xfffe
	s_mul_u64 s[50:51], s[50:51], s[48:49]
	s_wait_alu 0xfffe
	s_mul_hi_u32 s53, s48, s51
	s_mul_i32 s52, s48, s51
	s_mul_hi_u32 s26, s48, s50
	s_mul_i32 s41, s49, s50
	s_wait_alu 0xfffe
	s_add_nc_u64 s[52:53], s[26:27], s[52:53]
	s_mul_hi_u32 s0, s49, s50
	s_mul_hi_u32 s45, s49, s51
	s_wait_alu 0xfffe
	s_add_co_u32 s26, s52, s41
	s_add_co_ci_u32 s26, s53, s0
	s_mul_i32 s50, s49, s51
	s_add_co_ci_u32 s51, s45, 0
	s_wait_alu 0xfffe
	s_add_nc_u64 s[50:51], s[26:27], s[50:51]
	s_wait_alu 0xfffe
	s_add_co_u32 s0, s48, s50
	s_cselect_b32 s26, -1, 0
	s_wait_alu 0xfffe
	v_mul_hi_u32 v24, v22, s0
	s_cmp_lg_u32 s26, 0
	v_mad_co_u64_u32 v[14:15], null, v23, s0, 0
	s_add_co_ci_u32 s26, s49, s51
	s_wait_alu 0xfffe
	v_mad_co_u64_u32 v[12:13], null, v22, s26, 0
	v_mad_co_u64_u32 v[20:21], null, v23, s26, 0
	s_delay_alu instid0(VALU_DEP_2) | instskip(SKIP_1) | instid1(VALU_DEP_3)
	v_add_co_u32 v12, vcc_lo, v24, v12
	s_wait_alu 0xfffd
	v_add_co_ci_u32_e64 v13, null, 0, v13, vcc_lo
	s_delay_alu instid0(VALU_DEP_2) | instskip(SKIP_1) | instid1(VALU_DEP_2)
	v_add_co_u32 v12, vcc_lo, v12, v14
	s_wait_alu 0xfffd
	v_add_co_ci_u32_e32 v12, vcc_lo, v13, v15, vcc_lo
	s_wait_alu 0xfffd
	v_add_co_ci_u32_e32 v13, vcc_lo, 0, v21, vcc_lo
	s_delay_alu instid0(VALU_DEP_2) | instskip(SKIP_1) | instid1(VALU_DEP_2)
	v_add_co_u32 v14, vcc_lo, v12, v20
	s_wait_alu 0xfffd
	v_add_co_ci_u32_e64 v15, null, 0, v13, vcc_lo
	s_delay_alu instid0(VALU_DEP_2) | instskip(SKIP_1) | instid1(VALU_DEP_3)
	v_mul_lo_u32 v20, s47, v14
	v_mad_co_u64_u32 v[12:13], null, s46, v14, 0
	v_mul_lo_u32 v21, s46, v15
	s_delay_alu instid0(VALU_DEP_2) | instskip(NEXT) | instid1(VALU_DEP_2)
	v_sub_co_u32 v12, vcc_lo, v22, v12
	v_add3_u32 v13, v13, v21, v20
	v_add_co_u32 v21, s0, v14, 2
	s_wait_alu 0xf1ff
	v_add_co_ci_u32_e64 v22, null, 0, v15, s0
	s_delay_alu instid0(VALU_DEP_3) | instskip(SKIP_3) | instid1(VALU_DEP_3)
	v_sub_nc_u32_e32 v20, v23, v13
	v_sub_co_u32 v24, s0, v12, s46
	s_wait_alu 0xfffd
	v_sub_co_ci_u32_e64 v13, null, v23, v13, vcc_lo
	v_subrev_co_ci_u32_e64 v20, null, s47, v20, vcc_lo
	s_delay_alu instid0(VALU_DEP_3) | instskip(SKIP_1) | instid1(VALU_DEP_2)
	v_cmp_le_u32_e32 vcc_lo, s46, v24
	s_wait_alu 0xf1ff
	v_subrev_co_ci_u32_e64 v20, null, 0, v20, s0
	s_wait_alu 0xfffd
	v_cndmask_b32_e64 v23, 0, -1, vcc_lo
	s_delay_alu instid0(VALU_DEP_2)
	v_cmp_le_u32_e32 vcc_lo, s47, v20
	s_wait_alu 0xfffd
	v_cndmask_b32_e64 v24, 0, -1, vcc_lo
	v_cmp_le_u32_e32 vcc_lo, s46, v12
	s_wait_alu 0xfffd
	v_cndmask_b32_e64 v12, 0, -1, vcc_lo
	;; [unrolled: 3-line block ×3, first 2 shown]
	v_cmp_eq_u32_e32 vcc_lo, s47, v20
	s_wait_alu 0xfffd
	v_cndmask_b32_e32 v20, v24, v23, vcc_lo
	v_add_co_u32 v23, vcc_lo, v14, 1
	s_wait_alu 0xfffd
	v_add_co_ci_u32_e64 v24, null, 0, v15, vcc_lo
	v_cmp_eq_u32_e32 vcc_lo, s47, v13
	s_wait_alu 0xfffd
	v_cndmask_b32_e32 v12, v25, v12, vcc_lo
	v_cmp_ne_u32_e32 vcc_lo, 0, v20
	s_wait_alu 0xfffd
	v_cndmask_b32_e32 v13, v24, v22, vcc_lo
	s_delay_alu instid0(VALU_DEP_3) | instskip(SKIP_2) | instid1(VALU_DEP_2)
	v_cmp_ne_u32_e64 s0, 0, v12
	v_cndmask_b32_e32 v12, v23, v21, vcc_lo
	s_wait_alu 0xf1ff
	v_cndmask_b32_e64 v13, v15, v13, s0
	s_delay_alu instid0(VALU_DEP_2) | instskip(NEXT) | instid1(VALU_DEP_2)
	v_cndmask_b32_e64 v12, v14, v12, s0
	v_xor_b32_e32 v13, v13, v3
	s_delay_alu instid0(VALU_DEP_2) | instskip(NEXT) | instid1(VALU_DEP_1)
	v_xor_b32_e32 v12, v12, v3
	v_sub_co_u32 v12, vcc_lo, v12, v3
	s_wait_alu 0xfffd
	s_delay_alu instid0(VALU_DEP_3)
	v_sub_co_ci_u32_e64 v13, null, v13, v3, vcc_lo
.LBB63_15:                              ;   in Loop: Header=BB63_3 Depth=1
	s_wait_alu 0xfffe
	s_and_not1_saveexec_b32 s0, s1
	s_cbranch_execz .LBB63_17
; %bb.16:                               ;   in Loop: Header=BB63_3 Depth=1
	v_cvt_f32_u32_e32 v3, s42
	s_sub_co_i32 s1, 0, s42
	s_delay_alu instid0(VALU_DEP_1) | instskip(NEXT) | instid1(TRANS32_DEP_1)
	v_rcp_iflag_f32_e32 v3, v3
	v_mul_f32_e32 v3, 0x4f7ffffe, v3
	s_delay_alu instid0(VALU_DEP_1) | instskip(SKIP_1) | instid1(VALU_DEP_1)
	v_cvt_u32_f32_e32 v3, v3
	s_wait_alu 0xfffe
	v_mul_lo_u32 v12, s1, v3
	s_delay_alu instid0(VALU_DEP_1) | instskip(NEXT) | instid1(VALU_DEP_1)
	v_mul_hi_u32 v12, v3, v12
	v_add_nc_u32_e32 v3, v3, v12
	s_delay_alu instid0(VALU_DEP_1) | instskip(NEXT) | instid1(VALU_DEP_1)
	v_mul_hi_u32 v3, v10, v3
	v_mul_lo_u32 v12, v3, s42
	v_add_nc_u32_e32 v13, 1, v3
	s_delay_alu instid0(VALU_DEP_2) | instskip(NEXT) | instid1(VALU_DEP_1)
	v_sub_nc_u32_e32 v12, v10, v12
	v_subrev_nc_u32_e32 v14, s42, v12
	v_cmp_le_u32_e32 vcc_lo, s42, v12
	s_wait_alu 0xfffd
	s_delay_alu instid0(VALU_DEP_2) | instskip(NEXT) | instid1(VALU_DEP_1)
	v_dual_cndmask_b32 v12, v12, v14 :: v_dual_cndmask_b32 v3, v3, v13
	v_cmp_le_u32_e32 vcc_lo, s42, v12
	s_delay_alu instid0(VALU_DEP_2) | instskip(SKIP_1) | instid1(VALU_DEP_1)
	v_add_nc_u32_e32 v13, 1, v3
	s_wait_alu 0xfffd
	v_dual_cndmask_b32 v12, v3, v13 :: v_dual_mov_b32 v13, v2
.LBB63_17:                              ;   in Loop: Header=BB63_3 Depth=1
	s_wait_alu 0xfffe
	s_or_b32 exec_lo, exec_lo, s0
	s_delay_alu instid0(VALU_DEP_1) | instskip(NEXT) | instid1(VALU_DEP_2)
	v_mul_lo_u32 v3, v13, s42
	v_mul_lo_u32 v20, v12, s43
	s_load_b64 s[0:1], s[34:35], 0xd0
	v_mad_co_u64_u32 v[14:15], null, v12, s42, 0
	s_load_b64 s[42:43], s[36:37], 0xd0
	v_add3_u32 v3, v15, v20, v3
	v_sub_co_u32 v10, vcc_lo, v10, v14
	s_wait_alu 0xfffd
	s_delay_alu instid0(VALU_DEP_2) | instskip(SKIP_1) | instid1(VALU_DEP_1)
	v_sub_co_ci_u32_e64 v3, null, v11, v3, vcc_lo
	s_wait_kmcnt 0x0
	v_mul_lo_u32 v11, s0, v3
	v_mul_lo_u32 v14, s1, v10
	v_mad_co_u64_u32 v[8:9], null, s0, v10, v[8:9]
	v_mul_lo_u32 v3, s42, v3
	v_mul_lo_u32 v15, s43, v10
	v_mad_co_u64_u32 v[6:7], null, s42, v10, v[6:7]
	s_mov_b64 s[0:1], s[30:31]
	v_add3_u32 v9, v14, v9, v11
	v_dual_mov_b32 v10, v12 :: v_dual_mov_b32 v11, v13
	v_add3_u32 v7, v15, v7, v3
	s_and_not1_b32 vcc_lo, exec_lo, s61
	s_wait_alu 0xfffe
	s_cbranch_vccz .LBB63_19
	s_branch .LBB63_29
.LBB63_18:                              ;   in Loop: Header=BB63_3 Depth=1
	s_mov_b64 s[0:1], s[28:29]
	s_and_not1_b32 vcc_lo, exec_lo, s61
	s_wait_alu 0xfffe
	s_cbranch_vccnz .LBB63_29
.LBB63_19:                              ;   in Loop: Header=BB63_3 Depth=1
	s_lshl_b64 s[44:45], s[0:1], 3
	s_add_nc_u64 s[46:47], s[0:1], 1
	s_wait_alu 0xfffe
	s_add_nc_u64 s[42:43], s[38:39], s[44:45]
	s_add_nc_u64 s[44:45], s[20:21], s[44:45]
	s_branch .LBB63_21
.LBB63_20:                              ;   in Loop: Header=BB63_21 Depth=2
	s_wait_alu 0xfffe
	s_or_b32 exec_lo, exec_lo, s0
	v_mul_lo_u32 v3, v13, s48
	v_mul_lo_u32 v24, v12, s49
	v_mad_co_u64_u32 v[20:21], null, v12, s48, 0
	s_load_b64 s[0:1], s[44:45], 0xc8
	s_load_b64 s[48:49], s[42:43], 0x0
	v_mul_lo_u32 v25, v15, s54
	v_mul_lo_u32 v26, v14, s55
	v_mad_co_u64_u32 v[22:23], null, v14, s54, 0
	v_add3_u32 v3, v21, v24, v3
	v_sub_co_u32 v10, vcc_lo, v10, v20
	s_add_nc_u64 s[46:47], s[46:47], -2
	s_add_nc_u64 s[42:43], s[42:43], -16
	s_wait_alu 0xfffd
	v_sub_co_ci_u32_e64 v3, null, v11, v3, vcc_lo
	v_mul_lo_u32 v11, s53, v10
	v_mad_co_u64_u32 v[8:9], null, s52, v10, v[8:9]
	s_delay_alu instid0(VALU_DEP_3)
	v_mul_lo_u32 v20, s52, v3
	v_mul_lo_u32 v21, s51, v10
	v_mad_co_u64_u32 v[6:7], null, s50, v10, v[6:7]
	v_mul_lo_u32 v3, s50, v3
	v_add3_u32 v10, v23, v26, v25
	s_wait_alu 0xfffe
	s_cmp_eq_u64 s[46:47], 0
	s_add_nc_u64 s[44:45], s[44:45], -16
	v_add3_u32 v9, v11, v9, v20
	v_sub_co_u32 v11, vcc_lo, v12, v22
	s_wait_alu 0xfffd
	v_sub_co_ci_u32_e64 v10, null, v13, v10, vcc_lo
	v_add3_u32 v7, v21, v7, v3
	s_wait_kmcnt 0x0
	v_mad_co_u64_u32 v[8:9], null, s0, v11, v[8:9]
	s_delay_alu instid0(VALU_DEP_3) | instskip(SKIP_4) | instid1(VALU_DEP_4)
	v_mul_lo_u32 v3, s0, v10
	v_mul_lo_u32 v12, s1, v11
	;; [unrolled: 1-line block ×4, first 2 shown]
	v_mad_co_u64_u32 v[6:7], null, s48, v11, v[6:7]
	v_add3_u32 v9, v12, v9, v3
	s_delay_alu instid0(VALU_DEP_2)
	v_add3_u32 v7, v13, v7, v10
	v_dual_mov_b32 v10, v14 :: v_dual_mov_b32 v11, v15
	s_cbranch_scc1 .LBB63_29
.LBB63_21:                              ;   Parent Loop BB63_3 Depth=1
                                        ; =>  This Inner Loop Header: Depth=2
	s_load_b64 s[48:49], s[44:45], 0x8
                                        ; implicit-def: $vgpr12_vgpr13
	s_mov_b32 s0, exec_lo
	s_wait_kmcnt 0x0
	v_or_b32_e32 v3, s49, v11
	s_delay_alu instid0(VALU_DEP_1)
	v_cmpx_ne_u64_e32 0, v[2:3]
	s_wait_alu 0xfffe
	s_xor_b32 s1, exec_lo, s0
	s_cbranch_execz .LBB63_23
; %bb.22:                               ;   in Loop: Header=BB63_21 Depth=2
	s_ashr_i32 s50, s49, 31
	v_ashrrev_i32_e32 v3, 31, v11
	s_wait_alu 0xfffe
	s_mov_b32 s51, s50
	s_wait_alu 0xfffe
	s_add_nc_u64 s[52:53], s[48:49], s[50:51]
	v_add_co_u32 v12, vcc_lo, v10, v3
	s_wait_alu 0xfffe
	s_xor_b64 s[52:53], s[52:53], s[50:51]
	s_wait_alu 0xfffd
	v_add_co_ci_u32_e64 v13, null, v11, v3, vcc_lo
	s_wait_alu 0xfffe
	s_cvt_f32_u32 s0, s52
	s_cvt_f32_u32 s26, s53
	s_sub_nc_u64 s[56:57], 0, s[52:53]
	v_xor_b32_e32 v22, v12, v3
	v_xor_b32_e32 v23, v13, v3
	s_wait_alu 0xfffe
	s_fmamk_f32 s0, s26, 0x4f800000, s0
	v_xor_b32_e32 v3, s50, v3
	s_wait_alu 0xfffe
	s_delay_alu instid0(SALU_CYCLE_1) | instskip(NEXT) | instid1(TRANS32_DEP_1)
	v_s_rcp_f32 s0, s0
	s_mul_f32 s0, s0, 0x5f7ffffc
	s_wait_alu 0xfffe
	s_delay_alu instid0(SALU_CYCLE_2) | instskip(SKIP_1) | instid1(SALU_CYCLE_2)
	s_mul_f32 s26, s0, 0x2f800000
	s_wait_alu 0xfffe
	s_trunc_f32 s26, s26
	s_wait_alu 0xfffe
	s_delay_alu instid0(SALU_CYCLE_2) | instskip(SKIP_2) | instid1(SALU_CYCLE_1)
	s_fmamk_f32 s0, s26, 0xcf800000, s0
	s_cvt_u32_f32 s55, s26
	s_wait_alu 0xfffe
	s_cvt_u32_f32 s54, s0
	s_wait_alu 0xfffe
	s_delay_alu instid0(SALU_CYCLE_2)
	s_mul_u64 s[58:59], s[56:57], s[54:55]
	s_wait_alu 0xfffe
	s_mul_hi_u32 s65, s54, s59
	s_mul_i32 s64, s54, s59
	s_mul_hi_u32 s26, s54, s58
	s_mul_i32 s41, s55, s58
	s_wait_alu 0xfffe
	s_add_nc_u64 s[64:65], s[26:27], s[64:65]
	s_mul_hi_u32 s0, s55, s58
	s_mul_hi_u32 s51, s55, s59
	s_add_co_u32 s26, s64, s41
	s_wait_alu 0xfffe
	s_add_co_ci_u32 s26, s65, s0
	s_mul_i32 s58, s55, s59
	s_add_co_ci_u32 s59, s51, 0
	s_wait_alu 0xfffe
	s_add_nc_u64 s[58:59], s[26:27], s[58:59]
	s_wait_alu 0xfffe
	s_add_co_u32 s54, s54, s58
	s_cselect_b32 s0, -1, 0
	s_wait_alu 0xfffe
	s_cmp_lg_u32 s0, 0
	s_add_co_ci_u32 s55, s55, s59
	s_wait_alu 0xfffe
	s_mul_u64 s[56:57], s[56:57], s[54:55]
	s_wait_alu 0xfffe
	s_mul_hi_u32 s59, s54, s57
	s_mul_i32 s58, s54, s57
	s_mul_hi_u32 s26, s54, s56
	s_mul_i32 s41, s55, s56
	s_wait_alu 0xfffe
	s_add_nc_u64 s[58:59], s[26:27], s[58:59]
	s_mul_hi_u32 s0, s55, s56
	s_mul_hi_u32 s51, s55, s57
	s_wait_alu 0xfffe
	s_add_co_u32 s26, s58, s41
	s_add_co_ci_u32 s26, s59, s0
	s_mul_i32 s56, s55, s57
	s_add_co_ci_u32 s57, s51, 0
	s_wait_alu 0xfffe
	s_add_nc_u64 s[56:57], s[26:27], s[56:57]
	s_wait_alu 0xfffe
	s_add_co_u32 s0, s54, s56
	s_cselect_b32 s26, -1, 0
	s_wait_alu 0xfffe
	v_mul_hi_u32 v24, v22, s0
	s_cmp_lg_u32 s26, 0
	v_mad_co_u64_u32 v[14:15], null, v23, s0, 0
	s_add_co_ci_u32 s26, s55, s57
	s_wait_alu 0xfffe
	v_mad_co_u64_u32 v[12:13], null, v22, s26, 0
	v_mad_co_u64_u32 v[20:21], null, v23, s26, 0
	s_delay_alu instid0(VALU_DEP_2) | instskip(SKIP_1) | instid1(VALU_DEP_3)
	v_add_co_u32 v12, vcc_lo, v24, v12
	s_wait_alu 0xfffd
	v_add_co_ci_u32_e64 v13, null, 0, v13, vcc_lo
	s_delay_alu instid0(VALU_DEP_2) | instskip(SKIP_1) | instid1(VALU_DEP_2)
	v_add_co_u32 v12, vcc_lo, v12, v14
	s_wait_alu 0xfffd
	v_add_co_ci_u32_e32 v12, vcc_lo, v13, v15, vcc_lo
	s_wait_alu 0xfffd
	v_add_co_ci_u32_e32 v13, vcc_lo, 0, v21, vcc_lo
	s_delay_alu instid0(VALU_DEP_2) | instskip(SKIP_1) | instid1(VALU_DEP_2)
	v_add_co_u32 v14, vcc_lo, v12, v20
	s_wait_alu 0xfffd
	v_add_co_ci_u32_e64 v15, null, 0, v13, vcc_lo
	s_delay_alu instid0(VALU_DEP_2) | instskip(SKIP_1) | instid1(VALU_DEP_3)
	v_mul_lo_u32 v20, s53, v14
	v_mad_co_u64_u32 v[12:13], null, s52, v14, 0
	v_mul_lo_u32 v21, s52, v15
	s_delay_alu instid0(VALU_DEP_2) | instskip(NEXT) | instid1(VALU_DEP_2)
	v_sub_co_u32 v12, vcc_lo, v22, v12
	v_add3_u32 v13, v13, v21, v20
	v_add_co_u32 v21, s0, v14, 2
	s_wait_alu 0xf1ff
	v_add_co_ci_u32_e64 v22, null, 0, v15, s0
	s_delay_alu instid0(VALU_DEP_3) | instskip(SKIP_3) | instid1(VALU_DEP_3)
	v_sub_nc_u32_e32 v20, v23, v13
	v_sub_co_u32 v24, s0, v12, s52
	s_wait_alu 0xfffd
	v_sub_co_ci_u32_e64 v13, null, v23, v13, vcc_lo
	v_subrev_co_ci_u32_e64 v20, null, s53, v20, vcc_lo
	s_delay_alu instid0(VALU_DEP_3) | instskip(SKIP_1) | instid1(VALU_DEP_2)
	v_cmp_le_u32_e32 vcc_lo, s52, v24
	s_wait_alu 0xf1ff
	v_subrev_co_ci_u32_e64 v20, null, 0, v20, s0
	s_wait_alu 0xfffd
	v_cndmask_b32_e64 v23, 0, -1, vcc_lo
	s_delay_alu instid0(VALU_DEP_2)
	v_cmp_le_u32_e32 vcc_lo, s53, v20
	s_wait_alu 0xfffd
	v_cndmask_b32_e64 v24, 0, -1, vcc_lo
	v_cmp_le_u32_e32 vcc_lo, s52, v12
	s_wait_alu 0xfffd
	v_cndmask_b32_e64 v12, 0, -1, vcc_lo
	v_cmp_le_u32_e32 vcc_lo, s53, v13
	s_wait_alu 0xfffd
	v_cndmask_b32_e64 v25, 0, -1, vcc_lo
	v_cmp_eq_u32_e32 vcc_lo, s53, v20
	s_wait_alu 0xfffd
	v_cndmask_b32_e32 v20, v24, v23, vcc_lo
	v_add_co_u32 v23, vcc_lo, v14, 1
	s_wait_alu 0xfffd
	v_add_co_ci_u32_e64 v24, null, 0, v15, vcc_lo
	v_cmp_eq_u32_e32 vcc_lo, s53, v13
	s_wait_alu 0xfffd
	v_cndmask_b32_e32 v12, v25, v12, vcc_lo
	v_cmp_ne_u32_e32 vcc_lo, 0, v20
	s_wait_alu 0xfffd
	v_cndmask_b32_e32 v13, v24, v22, vcc_lo
	s_delay_alu instid0(VALU_DEP_3) | instskip(SKIP_2) | instid1(VALU_DEP_2)
	v_cmp_ne_u32_e64 s0, 0, v12
	v_cndmask_b32_e32 v12, v23, v21, vcc_lo
	s_wait_alu 0xf1ff
	v_cndmask_b32_e64 v13, v15, v13, s0
	s_delay_alu instid0(VALU_DEP_2) | instskip(NEXT) | instid1(VALU_DEP_2)
	v_cndmask_b32_e64 v12, v14, v12, s0
	v_xor_b32_e32 v13, v13, v3
	s_delay_alu instid0(VALU_DEP_2) | instskip(NEXT) | instid1(VALU_DEP_1)
	v_xor_b32_e32 v12, v12, v3
	v_sub_co_u32 v12, vcc_lo, v12, v3
	s_wait_alu 0xfffd
	s_delay_alu instid0(VALU_DEP_3)
	v_sub_co_ci_u32_e64 v13, null, v13, v3, vcc_lo
.LBB63_23:                              ;   in Loop: Header=BB63_21 Depth=2
	s_wait_alu 0xfffe
	s_and_not1_saveexec_b32 s0, s1
	s_cbranch_execz .LBB63_25
; %bb.24:                               ;   in Loop: Header=BB63_21 Depth=2
	v_cvt_f32_u32_e32 v3, s48
	s_sub_co_i32 s1, 0, s48
	s_delay_alu instid0(VALU_DEP_1) | instskip(NEXT) | instid1(TRANS32_DEP_1)
	v_rcp_iflag_f32_e32 v3, v3
	v_mul_f32_e32 v3, 0x4f7ffffe, v3
	s_delay_alu instid0(VALU_DEP_1) | instskip(SKIP_1) | instid1(VALU_DEP_1)
	v_cvt_u32_f32_e32 v3, v3
	s_wait_alu 0xfffe
	v_mul_lo_u32 v12, s1, v3
	s_delay_alu instid0(VALU_DEP_1) | instskip(NEXT) | instid1(VALU_DEP_1)
	v_mul_hi_u32 v12, v3, v12
	v_add_nc_u32_e32 v3, v3, v12
	s_delay_alu instid0(VALU_DEP_1) | instskip(NEXT) | instid1(VALU_DEP_1)
	v_mul_hi_u32 v3, v10, v3
	v_mul_lo_u32 v12, v3, s48
	v_add_nc_u32_e32 v13, 1, v3
	s_delay_alu instid0(VALU_DEP_2) | instskip(NEXT) | instid1(VALU_DEP_1)
	v_sub_nc_u32_e32 v12, v10, v12
	v_subrev_nc_u32_e32 v14, s48, v12
	v_cmp_le_u32_e32 vcc_lo, s48, v12
	s_wait_alu 0xfffd
	s_delay_alu instid0(VALU_DEP_2) | instskip(NEXT) | instid1(VALU_DEP_1)
	v_dual_cndmask_b32 v12, v12, v14 :: v_dual_cndmask_b32 v3, v3, v13
	v_cmp_le_u32_e32 vcc_lo, s48, v12
	s_delay_alu instid0(VALU_DEP_2) | instskip(SKIP_1) | instid1(VALU_DEP_1)
	v_add_nc_u32_e32 v13, 1, v3
	s_wait_alu 0xfffd
	v_dual_cndmask_b32 v12, v3, v13 :: v_dual_mov_b32 v13, v2
.LBB63_25:                              ;   in Loop: Header=BB63_21 Depth=2
	s_wait_alu 0xfffe
	s_or_b32 exec_lo, exec_lo, s0
	s_clause 0x1
	s_load_b64 s[54:55], s[44:45], 0x0
	s_load_b64 s[52:53], s[44:45], 0xd0
	;; [unrolled: 1-line block ×3, first 2 shown]
                                        ; implicit-def: $vgpr14_vgpr15
	s_mov_b32 s0, exec_lo
	s_wait_kmcnt 0x0
	v_or_b32_e32 v3, s55, v13
	s_delay_alu instid0(VALU_DEP_1)
	v_cmpx_ne_u64_e32 0, v[2:3]
	s_wait_alu 0xfffe
	s_xor_b32 s1, exec_lo, s0
	s_cbranch_execz .LBB63_27
; %bb.26:                               ;   in Loop: Header=BB63_21 Depth=2
	s_ashr_i32 s56, s55, 31
	v_ashrrev_i32_e32 v3, 31, v13
	s_wait_alu 0xfffe
	s_mov_b32 s57, s56
	s_wait_alu 0xfffe
	s_add_nc_u64 s[58:59], s[54:55], s[56:57]
	v_add_co_u32 v14, vcc_lo, v12, v3
	s_wait_alu 0xfffe
	s_xor_b64 s[58:59], s[58:59], s[56:57]
	s_wait_alu 0xfffd
	v_add_co_ci_u32_e64 v15, null, v13, v3, vcc_lo
	s_wait_alu 0xfffe
	s_cvt_f32_u32 s0, s58
	s_cvt_f32_u32 s26, s59
	s_sub_nc_u64 s[66:67], 0, s[58:59]
	v_xor_b32_e32 v24, v14, v3
	v_xor_b32_e32 v25, v15, v3
	s_wait_alu 0xfffe
	s_fmamk_f32 s0, s26, 0x4f800000, s0
	v_xor_b32_e32 v3, s56, v3
	s_wait_alu 0xfffe
	s_delay_alu instid0(SALU_CYCLE_1) | instskip(NEXT) | instid1(TRANS32_DEP_1)
	v_s_rcp_f32 s0, s0
	s_mul_f32 s0, s0, 0x5f7ffffc
	s_wait_alu 0xfffe
	s_delay_alu instid0(SALU_CYCLE_2) | instskip(SKIP_1) | instid1(SALU_CYCLE_2)
	s_mul_f32 s26, s0, 0x2f800000
	s_wait_alu 0xfffe
	s_trunc_f32 s26, s26
	s_wait_alu 0xfffe
	s_delay_alu instid0(SALU_CYCLE_2) | instskip(SKIP_2) | instid1(SALU_CYCLE_1)
	s_fmamk_f32 s0, s26, 0xcf800000, s0
	s_cvt_u32_f32 s65, s26
	s_wait_alu 0xfffe
	s_cvt_u32_f32 s64, s0
	s_delay_alu instid0(SALU_CYCLE_3) | instskip(NEXT) | instid1(SALU_CYCLE_1)
	s_mul_u64 s[68:69], s[66:67], s[64:65]
	s_mul_hi_u32 s71, s64, s69
	s_mul_i32 s70, s64, s69
	s_mul_hi_u32 s26, s64, s68
	s_mul_i32 s41, s65, s68
	s_wait_alu 0xfffe
	s_add_nc_u64 s[70:71], s[26:27], s[70:71]
	s_mul_hi_u32 s0, s65, s68
	s_mul_hi_u32 s57, s65, s69
	s_add_co_u32 s26, s70, s41
	s_wait_alu 0xfffe
	s_add_co_ci_u32 s26, s71, s0
	s_mul_i32 s68, s65, s69
	s_add_co_ci_u32 s69, s57, 0
	s_wait_alu 0xfffe
	s_add_nc_u64 s[68:69], s[26:27], s[68:69]
	s_delay_alu instid0(SALU_CYCLE_1) | instskip(SKIP_4) | instid1(SALU_CYCLE_1)
	s_add_co_u32 s64, s64, s68
	s_cselect_b32 s0, -1, 0
	s_wait_alu 0xfffe
	s_cmp_lg_u32 s0, 0
	s_add_co_ci_u32 s65, s65, s69
	s_mul_u64 s[66:67], s[66:67], s[64:65]
	s_delay_alu instid0(SALU_CYCLE_1)
	s_mul_hi_u32 s69, s64, s67
	s_mul_i32 s68, s64, s67
	s_mul_hi_u32 s26, s64, s66
	s_mul_i32 s41, s65, s66
	s_wait_alu 0xfffe
	s_add_nc_u64 s[68:69], s[26:27], s[68:69]
	s_mul_hi_u32 s0, s65, s66
	s_mul_hi_u32 s57, s65, s67
	s_add_co_u32 s26, s68, s41
	s_wait_alu 0xfffe
	s_add_co_ci_u32 s26, s69, s0
	s_mul_i32 s66, s65, s67
	s_add_co_ci_u32 s67, s57, 0
	s_wait_alu 0xfffe
	s_add_nc_u64 s[66:67], s[26:27], s[66:67]
	s_delay_alu instid0(SALU_CYCLE_1)
	s_add_co_u32 s0, s64, s66
	s_cselect_b32 s26, -1, 0
	s_wait_alu 0xfffe
	v_mul_hi_u32 v26, v24, s0
	s_cmp_lg_u32 s26, 0
	v_mad_co_u64_u32 v[20:21], null, v25, s0, 0
	s_add_co_ci_u32 s26, s65, s67
	s_wait_alu 0xfffe
	v_mad_co_u64_u32 v[14:15], null, v24, s26, 0
	v_mad_co_u64_u32 v[22:23], null, v25, s26, 0
	s_delay_alu instid0(VALU_DEP_2) | instskip(SKIP_1) | instid1(VALU_DEP_3)
	v_add_co_u32 v14, vcc_lo, v26, v14
	s_wait_alu 0xfffd
	v_add_co_ci_u32_e64 v15, null, 0, v15, vcc_lo
	s_delay_alu instid0(VALU_DEP_2) | instskip(SKIP_1) | instid1(VALU_DEP_2)
	v_add_co_u32 v14, vcc_lo, v14, v20
	s_wait_alu 0xfffd
	v_add_co_ci_u32_e32 v14, vcc_lo, v15, v21, vcc_lo
	s_wait_alu 0xfffd
	v_add_co_ci_u32_e32 v15, vcc_lo, 0, v23, vcc_lo
	s_delay_alu instid0(VALU_DEP_2) | instskip(SKIP_1) | instid1(VALU_DEP_2)
	v_add_co_u32 v20, vcc_lo, v14, v22
	s_wait_alu 0xfffd
	v_add_co_ci_u32_e64 v21, null, 0, v15, vcc_lo
	s_delay_alu instid0(VALU_DEP_2) | instskip(SKIP_1) | instid1(VALU_DEP_3)
	v_mul_lo_u32 v22, s59, v20
	v_mad_co_u64_u32 v[14:15], null, s58, v20, 0
	v_mul_lo_u32 v23, s58, v21
	s_delay_alu instid0(VALU_DEP_2) | instskip(NEXT) | instid1(VALU_DEP_2)
	v_sub_co_u32 v14, vcc_lo, v24, v14
	v_add3_u32 v15, v15, v23, v22
	v_add_co_u32 v23, s0, v20, 2
	s_wait_alu 0xf1ff
	v_add_co_ci_u32_e64 v24, null, 0, v21, s0
	s_delay_alu instid0(VALU_DEP_3) | instskip(SKIP_3) | instid1(VALU_DEP_3)
	v_sub_nc_u32_e32 v22, v25, v15
	v_sub_co_u32 v26, s0, v14, s58
	s_wait_alu 0xfffd
	v_sub_co_ci_u32_e64 v15, null, v25, v15, vcc_lo
	v_subrev_co_ci_u32_e64 v22, null, s59, v22, vcc_lo
	s_delay_alu instid0(VALU_DEP_3) | instskip(SKIP_1) | instid1(VALU_DEP_2)
	v_cmp_le_u32_e32 vcc_lo, s58, v26
	s_wait_alu 0xf1ff
	v_subrev_co_ci_u32_e64 v22, null, 0, v22, s0
	s_wait_alu 0xfffd
	v_cndmask_b32_e64 v25, 0, -1, vcc_lo
	s_delay_alu instid0(VALU_DEP_2)
	v_cmp_le_u32_e32 vcc_lo, s59, v22
	s_wait_alu 0xfffd
	v_cndmask_b32_e64 v26, 0, -1, vcc_lo
	v_cmp_le_u32_e32 vcc_lo, s58, v14
	s_wait_alu 0xfffd
	v_cndmask_b32_e64 v14, 0, -1, vcc_lo
	;; [unrolled: 3-line block ×3, first 2 shown]
	v_cmp_eq_u32_e32 vcc_lo, s59, v22
	s_wait_alu 0xfffd
	v_cndmask_b32_e32 v22, v26, v25, vcc_lo
	v_add_co_u32 v25, vcc_lo, v20, 1
	s_wait_alu 0xfffd
	v_add_co_ci_u32_e64 v26, null, 0, v21, vcc_lo
	v_cmp_eq_u32_e32 vcc_lo, s59, v15
	s_wait_alu 0xfffd
	v_cndmask_b32_e32 v14, v27, v14, vcc_lo
	v_cmp_ne_u32_e32 vcc_lo, 0, v22
	s_wait_alu 0xfffd
	v_cndmask_b32_e32 v15, v26, v24, vcc_lo
	s_delay_alu instid0(VALU_DEP_3) | instskip(SKIP_2) | instid1(VALU_DEP_2)
	v_cmp_ne_u32_e64 s0, 0, v14
	v_cndmask_b32_e32 v14, v25, v23, vcc_lo
	s_wait_alu 0xf1ff
	v_cndmask_b32_e64 v15, v21, v15, s0
	s_delay_alu instid0(VALU_DEP_2) | instskip(NEXT) | instid1(VALU_DEP_2)
	v_cndmask_b32_e64 v14, v20, v14, s0
	v_xor_b32_e32 v15, v15, v3
	s_delay_alu instid0(VALU_DEP_2) | instskip(NEXT) | instid1(VALU_DEP_1)
	v_xor_b32_e32 v14, v14, v3
	v_sub_co_u32 v14, vcc_lo, v14, v3
	s_wait_alu 0xfffd
	s_delay_alu instid0(VALU_DEP_3)
	v_sub_co_ci_u32_e64 v15, null, v15, v3, vcc_lo
.LBB63_27:                              ;   in Loop: Header=BB63_21 Depth=2
	s_wait_alu 0xfffe
	s_and_not1_saveexec_b32 s0, s1
	s_cbranch_execz .LBB63_20
; %bb.28:                               ;   in Loop: Header=BB63_21 Depth=2
	v_cvt_f32_u32_e32 v3, s54
	s_sub_co_i32 s1, 0, s54
	s_delay_alu instid0(VALU_DEP_1) | instskip(NEXT) | instid1(TRANS32_DEP_1)
	v_rcp_iflag_f32_e32 v3, v3
	v_mul_f32_e32 v3, 0x4f7ffffe, v3
	s_delay_alu instid0(VALU_DEP_1) | instskip(SKIP_1) | instid1(VALU_DEP_1)
	v_cvt_u32_f32_e32 v3, v3
	s_wait_alu 0xfffe
	v_mul_lo_u32 v14, s1, v3
	s_delay_alu instid0(VALU_DEP_1) | instskip(NEXT) | instid1(VALU_DEP_1)
	v_mul_hi_u32 v14, v3, v14
	v_add_nc_u32_e32 v3, v3, v14
	s_delay_alu instid0(VALU_DEP_1) | instskip(NEXT) | instid1(VALU_DEP_1)
	v_mul_hi_u32 v3, v12, v3
	v_mul_lo_u32 v14, v3, s54
	v_add_nc_u32_e32 v15, 1, v3
	s_delay_alu instid0(VALU_DEP_2) | instskip(NEXT) | instid1(VALU_DEP_1)
	v_sub_nc_u32_e32 v14, v12, v14
	v_subrev_nc_u32_e32 v20, s54, v14
	v_cmp_le_u32_e32 vcc_lo, s54, v14
	s_wait_alu 0xfffd
	s_delay_alu instid0(VALU_DEP_2) | instskip(NEXT) | instid1(VALU_DEP_1)
	v_dual_cndmask_b32 v14, v14, v20 :: v_dual_cndmask_b32 v3, v3, v15
	v_cmp_le_u32_e32 vcc_lo, s54, v14
	s_delay_alu instid0(VALU_DEP_2) | instskip(SKIP_1) | instid1(VALU_DEP_1)
	v_add_nc_u32_e32 v15, 1, v3
	s_wait_alu 0xfffd
	v_dual_cndmask_b32 v14, v3, v15 :: v_dual_mov_b32 v15, v2
	s_branch .LBB63_20
.LBB63_29:                              ;   in Loop: Header=BB63_3 Depth=1
	v_sub_co_u32 v10, vcc_lo, v4, v18
	s_wait_alu 0xfffd
	v_sub_co_ci_u32_e64 v11, null, v5, v19, vcc_lo
	s_delay_alu instid0(VALU_DEP_2) | instskip(SKIP_1) | instid1(VALU_DEP_2)
	v_add_co_u32 v12, vcc_lo, v10, 2
	s_wait_alu 0xfffd
	v_add_co_ci_u32_e64 v13, null, 0, v11, vcc_lo
	s_delay_alu instid0(VALU_DEP_1)
	v_cmp_le_i64_e32 vcc_lo, s[4:5], v[12:13]
	v_dual_mov_b32 v12, 0 :: v_dual_mov_b32 v13, 0
	s_and_saveexec_b32 s0, vcc_lo
	s_cbranch_execz .LBB63_35
; %bb.30:                               ;   in Loop: Header=BB63_3 Depth=1
	v_dual_mov_b32 v3, 0 :: v_dual_mov_b32 v12, 0
	s_mov_b32 s1, exec_lo
	v_cmpx_gt_i64_e64 s[10:11], v[4:5]
	s_cbranch_execz .LBB63_34
; %bb.31:                               ;   in Loop: Header=BB63_3 Depth=1
	v_lshlrev_b64_e32 v[8:9], 2, v[8:9]
	s_delay_alu instid0(VALU_DEP_1) | instskip(SKIP_1) | instid1(VALU_DEP_2)
	v_add_co_u32 v8, vcc_lo, s2, v8
	s_wait_alu 0xfffd
	v_add_co_ci_u32_e64 v9, null, s3, v9, vcc_lo
	v_add_co_u32 v12, vcc_lo, v4, 1
	s_wait_alu 0xfffd
	v_add_co_ci_u32_e64 v13, null, 0, v5, vcc_lo
	global_load_b32 v3, v[8:9], off
	v_cmp_gt_i64_e32 vcc_lo, s[10:11], v[12:13]
	v_mov_b32_e32 v12, 0
	s_and_saveexec_b32 s26, vcc_lo
	s_wait_alu 0xfffe
	s_xor_b32 s26, exec_lo, s26
	s_cbranch_execz .LBB63_33
; %bb.32:                               ;   in Loop: Header=BB63_3 Depth=1
	s_lshl_b64 s[42:43], s[14:15], 2
	s_wait_alu 0xfffe
	v_add_co_u32 v8, vcc_lo, v8, s42
	s_wait_alu 0xfffd
	v_add_co_ci_u32_e64 v9, null, s43, v9, vcc_lo
	global_load_b32 v12, v[8:9], off
.LBB63_33:                              ;   in Loop: Header=BB63_3 Depth=1
	s_wait_alu 0xfffe
	s_or_b32 exec_lo, exec_lo, s26
.LBB63_34:                              ;   in Loop: Header=BB63_3 Depth=1
	s_wait_alu 0xfffe
	s_or_b32 exec_lo, exec_lo, s1
	v_add_co_u32 v8, vcc_lo, v10, 1
	s_wait_alu 0xfffd
	v_add_co_ci_u32_e64 v9, null, 0, v11, vcc_lo
	v_cmp_le_i64_e32 vcc_lo, s[4:5], v[10:11]
	s_wait_loadcnt 0x0
	s_wait_alu 0xfffd
	v_cndmask_b32_e32 v13, 0, v3, vcc_lo
	v_cmp_le_i64_e32 vcc_lo, s[4:5], v[8:9]
	s_wait_alu 0xfffd
	v_cndmask_b32_e32 v12, 0, v12, vcc_lo
.LBB63_35:                              ;   in Loop: Header=BB63_3 Depth=1
	s_wait_alu 0xfffe
	s_or_b32 exec_lo, exec_lo, s0
	s_delay_alu instid0(SALU_CYCLE_1)
	s_mov_b32 s0, exec_lo
	v_cmpx_gt_i64_e64 s[10:11], v[4:5]
	s_cbranch_execz .LBB63_2
; %bb.36:                               ;   in Loop: Header=BB63_3 Depth=1
	v_lshlrev_b64_e32 v[6:7], 2, v[6:7]
	v_add_co_u32 v8, vcc_lo, v4, 1
	s_wait_alu 0xfffd
	v_add_co_ci_u32_e64 v9, null, 0, v5, vcc_lo
	s_mov_b32 s1, exec_lo
	v_add_co_u32 v3, vcc_lo, s24, v6
	s_wait_alu 0xfffd
	v_add_co_ci_u32_e64 v4, null, s25, v7, vcc_lo
	global_store_b32 v[3:4], v13, off
	v_cmpx_gt_i64_e64 s[10:11], v[8:9]
	s_wait_alu 0xfffe
	s_xor_b32 s1, exec_lo, s1
	s_cbranch_execz .LBB63_2
; %bb.37:                               ;   in Loop: Header=BB63_3 Depth=1
	s_lshl_b64 s[42:43], s[18:19], 2
	s_wait_alu 0xfffe
	v_add_co_u32 v3, vcc_lo, v3, s42
	s_wait_alu 0xfffd
	v_add_co_ci_u32_e64 v4, null, s43, v4, vcc_lo
	global_store_b32 v[3:4], v12, off
	s_branch .LBB63_2
.LBB63_38:
	s_endpgm
	.section	.rodata,"a",@progbits
	.p2align	6, 0x0
	.amdhsa_kernel _ZN2at6native16triu_tril_kernelIilLb1ELi2ELb0EEEvNS_4cuda6detail10TensorInfoIT_T0_EENS4_IKS5_S6_EEllS6_
		.amdhsa_group_segment_fixed_size 0
		.amdhsa_private_segment_fixed_size 0
		.amdhsa_kernarg_size 1112
		.amdhsa_user_sgpr_count 2
		.amdhsa_user_sgpr_dispatch_ptr 0
		.amdhsa_user_sgpr_queue_ptr 0
		.amdhsa_user_sgpr_kernarg_segment_ptr 1
		.amdhsa_user_sgpr_dispatch_id 0
		.amdhsa_user_sgpr_private_segment_size 0
		.amdhsa_wavefront_size32 1
		.amdhsa_uses_dynamic_stack 0
		.amdhsa_enable_private_segment 0
		.amdhsa_system_sgpr_workgroup_id_x 1
		.amdhsa_system_sgpr_workgroup_id_y 0
		.amdhsa_system_sgpr_workgroup_id_z 0
		.amdhsa_system_sgpr_workgroup_info 0
		.amdhsa_system_vgpr_workitem_id 0
		.amdhsa_next_free_vgpr 28
		.amdhsa_next_free_sgpr 72
		.amdhsa_reserve_vcc 1
		.amdhsa_float_round_mode_32 0
		.amdhsa_float_round_mode_16_64 0
		.amdhsa_float_denorm_mode_32 3
		.amdhsa_float_denorm_mode_16_64 3
		.amdhsa_fp16_overflow 0
		.amdhsa_workgroup_processor_mode 1
		.amdhsa_memory_ordered 1
		.amdhsa_forward_progress 1
		.amdhsa_inst_pref_size 51
		.amdhsa_round_robin_scheduling 0
		.amdhsa_exception_fp_ieee_invalid_op 0
		.amdhsa_exception_fp_denorm_src 0
		.amdhsa_exception_fp_ieee_div_zero 0
		.amdhsa_exception_fp_ieee_overflow 0
		.amdhsa_exception_fp_ieee_underflow 0
		.amdhsa_exception_fp_ieee_inexact 0
		.amdhsa_exception_int_div_zero 0
	.end_amdhsa_kernel
	.section	.text._ZN2at6native16triu_tril_kernelIilLb1ELi2ELb0EEEvNS_4cuda6detail10TensorInfoIT_T0_EENS4_IKS5_S6_EEllS6_,"axG",@progbits,_ZN2at6native16triu_tril_kernelIilLb1ELi2ELb0EEEvNS_4cuda6detail10TensorInfoIT_T0_EENS4_IKS5_S6_EEllS6_,comdat
.Lfunc_end63:
	.size	_ZN2at6native16triu_tril_kernelIilLb1ELi2ELb0EEEvNS_4cuda6detail10TensorInfoIT_T0_EENS4_IKS5_S6_EEllS6_, .Lfunc_end63-_ZN2at6native16triu_tril_kernelIilLb1ELi2ELb0EEEvNS_4cuda6detail10TensorInfoIT_T0_EENS4_IKS5_S6_EEllS6_
                                        ; -- End function
	.set _ZN2at6native16triu_tril_kernelIilLb1ELi2ELb0EEEvNS_4cuda6detail10TensorInfoIT_T0_EENS4_IKS5_S6_EEllS6_.num_vgpr, 28
	.set _ZN2at6native16triu_tril_kernelIilLb1ELi2ELb0EEEvNS_4cuda6detail10TensorInfoIT_T0_EENS4_IKS5_S6_EEllS6_.num_agpr, 0
	.set _ZN2at6native16triu_tril_kernelIilLb1ELi2ELb0EEEvNS_4cuda6detail10TensorInfoIT_T0_EENS4_IKS5_S6_EEllS6_.numbered_sgpr, 72
	.set _ZN2at6native16triu_tril_kernelIilLb1ELi2ELb0EEEvNS_4cuda6detail10TensorInfoIT_T0_EENS4_IKS5_S6_EEllS6_.num_named_barrier, 0
	.set _ZN2at6native16triu_tril_kernelIilLb1ELi2ELb0EEEvNS_4cuda6detail10TensorInfoIT_T0_EENS4_IKS5_S6_EEllS6_.private_seg_size, 0
	.set _ZN2at6native16triu_tril_kernelIilLb1ELi2ELb0EEEvNS_4cuda6detail10TensorInfoIT_T0_EENS4_IKS5_S6_EEllS6_.uses_vcc, 1
	.set _ZN2at6native16triu_tril_kernelIilLb1ELi2ELb0EEEvNS_4cuda6detail10TensorInfoIT_T0_EENS4_IKS5_S6_EEllS6_.uses_flat_scratch, 0
	.set _ZN2at6native16triu_tril_kernelIilLb1ELi2ELb0EEEvNS_4cuda6detail10TensorInfoIT_T0_EENS4_IKS5_S6_EEllS6_.has_dyn_sized_stack, 0
	.set _ZN2at6native16triu_tril_kernelIilLb1ELi2ELb0EEEvNS_4cuda6detail10TensorInfoIT_T0_EENS4_IKS5_S6_EEllS6_.has_recursion, 0
	.set _ZN2at6native16triu_tril_kernelIilLb1ELi2ELb0EEEvNS_4cuda6detail10TensorInfoIT_T0_EENS4_IKS5_S6_EEllS6_.has_indirect_call, 0
	.section	.AMDGPU.csdata,"",@progbits
; Kernel info:
; codeLenInByte = 6496
; TotalNumSgprs: 74
; NumVgprs: 28
; ScratchSize: 0
; MemoryBound: 0
; FloatMode: 240
; IeeeMode: 1
; LDSByteSize: 0 bytes/workgroup (compile time only)
; SGPRBlocks: 0
; VGPRBlocks: 3
; NumSGPRsForWavesPerEU: 74
; NumVGPRsForWavesPerEU: 28
; Occupancy: 16
; WaveLimiterHint : 0
; COMPUTE_PGM_RSRC2:SCRATCH_EN: 0
; COMPUTE_PGM_RSRC2:USER_SGPR: 2
; COMPUTE_PGM_RSRC2:TRAP_HANDLER: 0
; COMPUTE_PGM_RSRC2:TGID_X_EN: 1
; COMPUTE_PGM_RSRC2:TGID_Y_EN: 0
; COMPUTE_PGM_RSRC2:TGID_Z_EN: 0
; COMPUTE_PGM_RSRC2:TIDIG_COMP_CNT: 0
	.section	.text._ZN2at6native16triu_tril_kernelIliLb1ELi2ELb1EEEvNS_4cuda6detail10TensorInfoIT_T0_EENS4_IKS5_S6_EEllS6_,"axG",@progbits,_ZN2at6native16triu_tril_kernelIliLb1ELi2ELb1EEEvNS_4cuda6detail10TensorInfoIT_T0_EENS4_IKS5_S6_EEllS6_,comdat
	.protected	_ZN2at6native16triu_tril_kernelIliLb1ELi2ELb1EEEvNS_4cuda6detail10TensorInfoIT_T0_EENS4_IKS5_S6_EEllS6_ ; -- Begin function _ZN2at6native16triu_tril_kernelIliLb1ELi2ELb1EEEvNS_4cuda6detail10TensorInfoIT_T0_EENS4_IKS5_S6_EEllS6_
	.globl	_ZN2at6native16triu_tril_kernelIliLb1ELi2ELb1EEEvNS_4cuda6detail10TensorInfoIT_T0_EENS4_IKS5_S6_EEllS6_
	.p2align	8
	.type	_ZN2at6native16triu_tril_kernelIliLb1ELi2ELb1EEEvNS_4cuda6detail10TensorInfoIT_T0_EENS4_IKS5_S6_EEllS6_,@function
_ZN2at6native16triu_tril_kernelIliLb1ELi2ELb1EEEvNS_4cuda6detail10TensorInfoIT_T0_EENS4_IKS5_S6_EEllS6_: ; @_ZN2at6native16triu_tril_kernelIliLb1ELi2ELb1EEEvNS_4cuda6detail10TensorInfoIT_T0_EENS4_IKS5_S6_EEllS6_
; %bb.0:
	s_clause 0x1
	s_load_b32 s2, s[0:1], 0x1d4
	s_load_b128 s[4:7], s[0:1], 0x1b0
	v_mov_b32_e32 v2, 0
	s_mov_b32 s3, exec_lo
	s_delay_alu instid0(VALU_DEP_1)
	v_mov_b32_e32 v1, v2
	s_wait_kmcnt 0x0
	s_and_b32 s2, s2, 0xffff
	s_delay_alu instid0(VALU_DEP_1) | instid1(SALU_CYCLE_1)
	v_mad_co_u64_u32 v[0:1], null, s2, ttmp9, v[0:1]
	s_delay_alu instid0(VALU_DEP_1) | instskip(NEXT) | instid1(VALU_DEP_1)
	v_lshlrev_b64_e32 v[0:1], 1, v[0:1]
	v_cmpx_gt_i64_e64 s[6:7], v[0:1]
	s_cbranch_execz .LBB64_60
; %bb.1:
	s_clause 0x1
	s_load_b32 s20, s[0:1], 0x1a8
	s_load_b32 s8, s[0:1], 0x1c0
	s_add_nc_u64 s[12:13], s[0:1], 0x1c8
	s_add_nc_u64 s[10:11], s[0:1], 0xd8
	s_load_b32 s3, s[12:13], 0x0
	s_mov_b32 s19, 0
	s_mov_b32 s57, 0
	s_wait_kmcnt 0x0
	s_ashr_i32 s21, s20, 31
	v_cvt_f32_u32_e32 v3, s8
	s_lshl_b64 s[22:23], s[20:21], 2
	s_add_co_i32 s9, s20, 6
	s_add_nc_u64 s[12:13], s[10:11], s[22:23]
	s_mul_i32 s3, s3, s2
	s_clause 0x1
	s_load_b32 s14, s[12:13], 0x0
	s_load_b64 s[16:17], s[0:1], 0x0
	v_rcp_iflag_f32_e32 v3, v3
	s_and_b32 s18, s20, 7
	s_add_co_i32 s33, s20, -3
	s_and_b32 s52, s9, 7
	s_lshl_b32 s53, s3, 1
	s_ashr_i32 s9, s8, 31
	v_cmp_gt_i64_e64 s56, s[20:21], 2
	s_add_nc_u64 s[20:21], s[0:1], s[22:23]
	s_wait_kmcnt 0x0
	v_cvt_f32_u32_e32 v4, s14
	s_ashr_i32 s15, s14, 31
	s_cmp_lg_u32 s18, 2
	s_cselect_b32 s54, -1, 0
	s_delay_alu instid0(VALU_DEP_1)
	v_rcp_iflag_f32_e32 v4, v4
	v_mul_f32_e32 v3, 0x4f7ffffe, v3
	s_cmp_gt_u32 s33, 6
	s_cselect_b32 s55, -1, 0
	s_sub_co_i32 s2, 0, s8
	s_wait_alu 0xfffe
	s_ashr_i32 s22, s9, 31
	s_ashr_i32 s24, s15, 31
	s_delay_alu instid0(TRANS32_DEP_1) | instskip(SKIP_1) | instid1(VALU_DEP_2)
	v_mul_f32_e32 v4, 0x4f7ffffe, v4
	v_cvt_u32_f32_e32 v3, v3
	v_cvt_u32_f32_e32 v24, v4
	s_delay_alu instid0(VALU_DEP_2) | instskip(NEXT) | instid1(VALU_DEP_1)
	v_mul_lo_u32 v5, s2, v3
	v_mul_hi_u32 v5, v3, v5
	s_delay_alu instid0(VALU_DEP_1)
	v_add_nc_u32_e32 v25, v3, v5
	s_branch .LBB64_3
.LBB64_2:                               ;   in Loop: Header=BB64_3 Depth=1
	s_wait_alu 0xfffe
	s_or_b32 exec_lo, exec_lo, s23
	v_add_co_u32 v0, vcc_lo, v0, s53
	s_wait_alu 0xfffd
	v_add_co_ci_u32_e64 v1, null, 0, v1, vcc_lo
	s_delay_alu instid0(VALU_DEP_1) | instskip(SKIP_1) | instid1(SALU_CYCLE_1)
	v_cmp_le_i64_e32 vcc_lo, s[6:7], v[0:1]
	s_or_b32 s57, vcc_lo, s57
	s_and_not1_b32 exec_lo, exec_lo, s57
	s_cbranch_execz .LBB64_60
.LBB64_3:                               ; =>This Loop Header: Depth=1
                                        ;     Child Loop BB64_16 Depth 2
                                        ;     Child Loop BB64_22 Depth 2
	v_or_b32_e32 v3, s9, v1
                                        ; implicit-def: $vgpr4_vgpr5
	s_mov_b32 s2, exec_lo
	s_delay_alu instid0(VALU_DEP_1)
	v_cmpx_ne_u64_e32 0, v[2:3]
	s_wait_alu 0xfffe
	s_xor_b32 s3, exec_lo, s2
	s_cbranch_execz .LBB64_5
; %bb.4:                                ;   in Loop: Header=BB64_3 Depth=1
	s_mov_b32 s23, s22
	v_ashrrev_i32_e32 v9, 31, v1
	s_wait_alu 0xfffe
	s_add_nc_u64 s[26:27], s[8:9], s[22:23]
	s_wait_alu 0xfffe
	s_xor_b64 s[26:27], s[26:27], s[22:23]
	v_add_co_u32 v3, vcc_lo, v0, v9
	s_wait_alu 0xfffe
	s_cvt_f32_u32 s2, s26
	s_cvt_f32_u32 s18, s27
	s_sub_nc_u64 s[30:31], 0, s[26:27]
	s_wait_alu 0xfffd
	v_add_co_ci_u32_e64 v4, null, v1, v9, vcc_lo
	s_wait_alu 0xfffe
	s_fmamk_f32 s2, s18, 0x4f800000, s2
	v_xor_b32_e32 v10, v3, v9
	s_delay_alu instid0(VALU_DEP_2) | instskip(SKIP_2) | instid1(TRANS32_DEP_1)
	v_xor_b32_e32 v11, v4, v9
	s_wait_alu 0xfffe
	v_s_rcp_f32 s2, s2
	s_mul_f32 s2, s2, 0x5f7ffffc
	s_wait_alu 0xfffe
	s_delay_alu instid0(SALU_CYCLE_2) | instskip(SKIP_1) | instid1(SALU_CYCLE_2)
	s_mul_f32 s18, s2, 0x2f800000
	s_wait_alu 0xfffe
	s_trunc_f32 s18, s18
	s_wait_alu 0xfffe
	s_delay_alu instid0(SALU_CYCLE_2) | instskip(SKIP_2) | instid1(SALU_CYCLE_1)
	s_fmamk_f32 s2, s18, 0xcf800000, s2
	s_cvt_u32_f32 s29, s18
	s_wait_alu 0xfffe
	s_cvt_u32_f32 s28, s2
	s_wait_alu 0xfffe
	s_delay_alu instid0(SALU_CYCLE_2)
	s_mul_u64 s[34:35], s[30:31], s[28:29]
	s_wait_alu 0xfffe
	s_mul_hi_u32 s37, s28, s35
	s_mul_i32 s36, s28, s35
	s_mul_hi_u32 s18, s28, s34
	s_mul_i32 s23, s29, s34
	s_wait_alu 0xfffe
	s_add_nc_u64 s[36:37], s[18:19], s[36:37]
	s_mul_hi_u32 s2, s29, s34
	s_mul_hi_u32 s25, s29, s35
	s_wait_alu 0xfffe
	s_add_co_u32 s18, s36, s23
	s_add_co_ci_u32 s18, s37, s2
	s_mul_i32 s34, s29, s35
	s_add_co_ci_u32 s35, s25, 0
	s_wait_alu 0xfffe
	s_add_nc_u64 s[34:35], s[18:19], s[34:35]
	s_wait_alu 0xfffe
	s_add_co_u32 s28, s28, s34
	s_cselect_b32 s2, -1, 0
	s_wait_alu 0xfffe
	s_cmp_lg_u32 s2, 0
	s_add_co_ci_u32 s29, s29, s35
	s_wait_alu 0xfffe
	s_mul_u64 s[30:31], s[30:31], s[28:29]
	s_wait_alu 0xfffe
	s_mul_hi_u32 s35, s28, s31
	s_mul_i32 s34, s28, s31
	s_mul_hi_u32 s18, s28, s30
	s_mul_i32 s23, s29, s30
	s_wait_alu 0xfffe
	s_add_nc_u64 s[34:35], s[18:19], s[34:35]
	s_mul_hi_u32 s2, s29, s30
	s_mul_hi_u32 s25, s29, s31
	s_wait_alu 0xfffe
	s_add_co_u32 s18, s34, s23
	s_add_co_ci_u32 s18, s35, s2
	s_mul_i32 s30, s29, s31
	s_add_co_ci_u32 s31, s25, 0
	s_wait_alu 0xfffe
	s_add_nc_u64 s[30:31], s[18:19], s[30:31]
	s_wait_alu 0xfffe
	s_add_co_u32 s2, s28, s30
	s_cselect_b32 s18, -1, 0
	s_wait_alu 0xfffe
	v_mul_hi_u32 v12, v10, s2
	s_cmp_lg_u32 s18, 0
	v_mad_co_u64_u32 v[5:6], null, v11, s2, 0
	s_add_co_ci_u32 s18, s29, s31
	s_wait_alu 0xfffe
	v_mad_co_u64_u32 v[3:4], null, v10, s18, 0
	v_mad_co_u64_u32 v[7:8], null, v11, s18, 0
	s_delay_alu instid0(VALU_DEP_2) | instskip(SKIP_1) | instid1(VALU_DEP_3)
	v_add_co_u32 v3, vcc_lo, v12, v3
	s_wait_alu 0xfffd
	v_add_co_ci_u32_e64 v4, null, 0, v4, vcc_lo
	s_delay_alu instid0(VALU_DEP_2) | instskip(SKIP_1) | instid1(VALU_DEP_2)
	v_add_co_u32 v3, vcc_lo, v3, v5
	s_wait_alu 0xfffd
	v_add_co_ci_u32_e32 v3, vcc_lo, v4, v6, vcc_lo
	s_wait_alu 0xfffd
	v_add_co_ci_u32_e32 v4, vcc_lo, 0, v8, vcc_lo
	s_delay_alu instid0(VALU_DEP_2) | instskip(SKIP_1) | instid1(VALU_DEP_2)
	v_add_co_u32 v5, vcc_lo, v3, v7
	s_wait_alu 0xfffd
	v_add_co_ci_u32_e64 v6, null, 0, v4, vcc_lo
	s_delay_alu instid0(VALU_DEP_2) | instskip(SKIP_1) | instid1(VALU_DEP_3)
	v_mul_lo_u32 v7, s27, v5
	v_mad_co_u64_u32 v[3:4], null, s26, v5, 0
	v_mul_lo_u32 v8, s26, v6
	s_delay_alu instid0(VALU_DEP_2) | instskip(NEXT) | instid1(VALU_DEP_2)
	v_sub_co_u32 v3, vcc_lo, v10, v3
	v_add3_u32 v4, v4, v8, v7
	v_add_co_u32 v8, s2, v5, 2
	s_wait_alu 0xf1ff
	v_add_co_ci_u32_e64 v10, null, 0, v6, s2
	s_delay_alu instid0(VALU_DEP_3) | instskip(SKIP_3) | instid1(VALU_DEP_3)
	v_sub_nc_u32_e32 v7, v11, v4
	v_sub_co_u32 v12, s2, v3, s26
	s_wait_alu 0xfffd
	v_sub_co_ci_u32_e64 v4, null, v11, v4, vcc_lo
	v_subrev_co_ci_u32_e64 v7, null, s27, v7, vcc_lo
	s_delay_alu instid0(VALU_DEP_3) | instskip(SKIP_1) | instid1(VALU_DEP_2)
	v_cmp_le_u32_e32 vcc_lo, s26, v12
	s_wait_alu 0xf1ff
	v_subrev_co_ci_u32_e64 v7, null, 0, v7, s2
	s_wait_alu 0xfffd
	v_cndmask_b32_e64 v11, 0, -1, vcc_lo
	s_delay_alu instid0(VALU_DEP_2)
	v_cmp_le_u32_e32 vcc_lo, s27, v7
	s_wait_alu 0xfffd
	v_cndmask_b32_e64 v12, 0, -1, vcc_lo
	v_cmp_le_u32_e32 vcc_lo, s26, v3
	s_wait_alu 0xfffd
	v_cndmask_b32_e64 v3, 0, -1, vcc_lo
	;; [unrolled: 3-line block ×3, first 2 shown]
	v_cmp_eq_u32_e32 vcc_lo, s27, v7
	s_wait_alu 0xfffd
	v_cndmask_b32_e32 v7, v12, v11, vcc_lo
	v_add_co_u32 v11, vcc_lo, v5, 1
	s_wait_alu 0xfffd
	v_add_co_ci_u32_e64 v12, null, 0, v6, vcc_lo
	v_cmp_eq_u32_e32 vcc_lo, s27, v4
	s_wait_alu 0xfffd
	v_cndmask_b32_e32 v3, v13, v3, vcc_lo
	v_cmp_ne_u32_e32 vcc_lo, 0, v7
	v_xor_b32_e32 v7, s22, v9
	s_wait_alu 0xfffd
	v_cndmask_b32_e32 v4, v12, v10, vcc_lo
	v_cmp_ne_u32_e64 s2, 0, v3
	v_cndmask_b32_e32 v3, v11, v8, vcc_lo
	s_wait_alu 0xf1ff
	s_delay_alu instid0(VALU_DEP_2) | instskip(NEXT) | instid1(VALU_DEP_2)
	v_cndmask_b32_e64 v4, v6, v4, s2
	v_cndmask_b32_e64 v3, v5, v3, s2
	s_delay_alu instid0(VALU_DEP_2) | instskip(NEXT) | instid1(VALU_DEP_2)
	v_xor_b32_e32 v5, v4, v7
	v_xor_b32_e32 v3, v3, v7
	s_delay_alu instid0(VALU_DEP_1) | instskip(SKIP_1) | instid1(VALU_DEP_3)
	v_sub_co_u32 v4, vcc_lo, v3, v7
	s_wait_alu 0xfffd
	v_sub_co_ci_u32_e64 v5, null, v5, v7, vcc_lo
.LBB64_5:                               ;   in Loop: Header=BB64_3 Depth=1
	s_wait_alu 0xfffe
	s_and_not1_saveexec_b32 s2, s3
	s_cbranch_execz .LBB64_7
; %bb.6:                                ;   in Loop: Header=BB64_3 Depth=1
	v_mul_hi_u32 v3, v0, v25
	s_delay_alu instid0(VALU_DEP_1) | instskip(NEXT) | instid1(VALU_DEP_1)
	v_mul_lo_u32 v4, v3, s8
	v_sub_nc_u32_e32 v4, v0, v4
	s_delay_alu instid0(VALU_DEP_1) | instskip(SKIP_2) | instid1(VALU_DEP_2)
	v_subrev_nc_u32_e32 v6, s8, v4
	v_cmp_le_u32_e32 vcc_lo, s8, v4
	s_wait_alu 0xfffd
	v_dual_cndmask_b32 v4, v4, v6 :: v_dual_add_nc_u32 v5, 1, v3
	s_delay_alu instid0(VALU_DEP_1) | instskip(NEXT) | instid1(VALU_DEP_2)
	v_cndmask_b32_e32 v3, v3, v5, vcc_lo
	v_cmp_le_u32_e32 vcc_lo, s8, v4
	s_delay_alu instid0(VALU_DEP_2) | instskip(SKIP_1) | instid1(VALU_DEP_1)
	v_add_nc_u32_e32 v5, 1, v3
	s_wait_alu 0xfffd
	v_dual_cndmask_b32 v4, v3, v5 :: v_dual_mov_b32 v5, v2
.LBB64_7:                               ;   in Loop: Header=BB64_3 Depth=1
	s_wait_alu 0xfffe
	s_or_b32 exec_lo, exec_lo, s2
	s_delay_alu instid0(VALU_DEP_1) | instskip(SKIP_1) | instid1(VALU_DEP_1)
	v_or_b32_e32 v3, s15, v5
                                        ; implicit-def: $vgpr6_vgpr7
	s_mov_b32 s2, exec_lo
	v_cmpx_ne_u64_e32 0, v[2:3]
	s_wait_alu 0xfffe
	s_xor_b32 s3, exec_lo, s2
	s_cbranch_execz .LBB64_9
; %bb.8:                                ;   in Loop: Header=BB64_3 Depth=1
	s_mov_b32 s25, s24
	v_ashrrev_i32_e32 v3, 31, v5
	s_wait_alu 0xfffe
	s_add_nc_u64 s[26:27], s[14:15], s[24:25]
	s_wait_alu 0xfffe
	s_xor_b64 s[26:27], s[26:27], s[24:25]
	v_add_co_u32 v6, vcc_lo, v4, v3
	s_wait_alu 0xfffe
	s_cvt_f32_u32 s2, s26
	s_cvt_f32_u32 s18, s27
	s_sub_nc_u64 s[30:31], 0, s[26:27]
	s_wait_alu 0xfffd
	v_add_co_ci_u32_e64 v5, null, v5, v3, vcc_lo
	s_wait_alu 0xfffe
	s_fmamk_f32 s2, s18, 0x4f800000, s2
	v_xor_b32_e32 v11, v6, v3
	s_delay_alu instid0(VALU_DEP_2) | instskip(SKIP_3) | instid1(TRANS32_DEP_1)
	v_xor_b32_e32 v12, v5, v3
	s_wait_alu 0xfffe
	v_s_rcp_f32 s2, s2
	v_xor_b32_e32 v3, s24, v3
	s_mul_f32 s2, s2, 0x5f7ffffc
	s_wait_alu 0xfffe
	s_delay_alu instid0(SALU_CYCLE_2) | instskip(SKIP_1) | instid1(SALU_CYCLE_2)
	s_mul_f32 s18, s2, 0x2f800000
	s_wait_alu 0xfffe
	s_trunc_f32 s18, s18
	s_wait_alu 0xfffe
	s_delay_alu instid0(SALU_CYCLE_2) | instskip(SKIP_2) | instid1(SALU_CYCLE_1)
	s_fmamk_f32 s2, s18, 0xcf800000, s2
	s_cvt_u32_f32 s29, s18
	s_wait_alu 0xfffe
	s_cvt_u32_f32 s28, s2
	s_wait_alu 0xfffe
	s_delay_alu instid0(SALU_CYCLE_2)
	s_mul_u64 s[34:35], s[30:31], s[28:29]
	s_wait_alu 0xfffe
	s_mul_hi_u32 s37, s28, s35
	s_mul_i32 s36, s28, s35
	s_mul_hi_u32 s18, s28, s34
	s_mul_i32 s23, s29, s34
	s_wait_alu 0xfffe
	s_add_nc_u64 s[36:37], s[18:19], s[36:37]
	s_mul_hi_u32 s2, s29, s34
	s_mul_hi_u32 s25, s29, s35
	s_wait_alu 0xfffe
	s_add_co_u32 s18, s36, s23
	s_add_co_ci_u32 s18, s37, s2
	s_mul_i32 s34, s29, s35
	s_add_co_ci_u32 s35, s25, 0
	s_wait_alu 0xfffe
	s_add_nc_u64 s[34:35], s[18:19], s[34:35]
	s_wait_alu 0xfffe
	s_add_co_u32 s28, s28, s34
	s_cselect_b32 s2, -1, 0
	s_wait_alu 0xfffe
	s_cmp_lg_u32 s2, 0
	s_add_co_ci_u32 s29, s29, s35
	s_wait_alu 0xfffe
	s_mul_u64 s[30:31], s[30:31], s[28:29]
	s_wait_alu 0xfffe
	s_mul_hi_u32 s35, s28, s31
	s_mul_i32 s34, s28, s31
	s_mul_hi_u32 s18, s28, s30
	s_mul_i32 s23, s29, s30
	s_wait_alu 0xfffe
	s_add_nc_u64 s[34:35], s[18:19], s[34:35]
	s_mul_hi_u32 s2, s29, s30
	s_mul_hi_u32 s25, s29, s31
	s_wait_alu 0xfffe
	s_add_co_u32 s18, s34, s23
	s_add_co_ci_u32 s18, s35, s2
	s_mul_i32 s30, s29, s31
	s_add_co_ci_u32 s31, s25, 0
	s_wait_alu 0xfffe
	s_add_nc_u64 s[30:31], s[18:19], s[30:31]
	s_wait_alu 0xfffe
	s_add_co_u32 s2, s28, s30
	s_cselect_b32 s18, -1, 0
	s_wait_alu 0xfffe
	v_mul_hi_u32 v13, v11, s2
	s_cmp_lg_u32 s18, 0
	v_mad_co_u64_u32 v[7:8], null, v12, s2, 0
	s_add_co_ci_u32 s18, s29, s31
	s_wait_alu 0xfffe
	v_mad_co_u64_u32 v[5:6], null, v11, s18, 0
	v_mad_co_u64_u32 v[9:10], null, v12, s18, 0
	s_delay_alu instid0(VALU_DEP_2) | instskip(SKIP_1) | instid1(VALU_DEP_3)
	v_add_co_u32 v5, vcc_lo, v13, v5
	s_wait_alu 0xfffd
	v_add_co_ci_u32_e64 v6, null, 0, v6, vcc_lo
	s_delay_alu instid0(VALU_DEP_2) | instskip(SKIP_1) | instid1(VALU_DEP_2)
	v_add_co_u32 v5, vcc_lo, v5, v7
	s_wait_alu 0xfffd
	v_add_co_ci_u32_e32 v5, vcc_lo, v6, v8, vcc_lo
	s_wait_alu 0xfffd
	v_add_co_ci_u32_e32 v6, vcc_lo, 0, v10, vcc_lo
	s_delay_alu instid0(VALU_DEP_2) | instskip(SKIP_1) | instid1(VALU_DEP_2)
	v_add_co_u32 v7, vcc_lo, v5, v9
	s_wait_alu 0xfffd
	v_add_co_ci_u32_e64 v8, null, 0, v6, vcc_lo
	s_delay_alu instid0(VALU_DEP_2) | instskip(SKIP_1) | instid1(VALU_DEP_3)
	v_mul_lo_u32 v9, s27, v7
	v_mad_co_u64_u32 v[5:6], null, s26, v7, 0
	v_mul_lo_u32 v10, s26, v8
	s_delay_alu instid0(VALU_DEP_2) | instskip(NEXT) | instid1(VALU_DEP_2)
	v_sub_co_u32 v5, vcc_lo, v11, v5
	v_add3_u32 v6, v6, v10, v9
	v_add_co_u32 v10, s2, v7, 2
	s_wait_alu 0xf1ff
	v_add_co_ci_u32_e64 v11, null, 0, v8, s2
	s_delay_alu instid0(VALU_DEP_3) | instskip(SKIP_3) | instid1(VALU_DEP_3)
	v_sub_nc_u32_e32 v9, v12, v6
	v_sub_co_u32 v13, s2, v5, s26
	s_wait_alu 0xfffd
	v_sub_co_ci_u32_e64 v6, null, v12, v6, vcc_lo
	v_subrev_co_ci_u32_e64 v9, null, s27, v9, vcc_lo
	s_delay_alu instid0(VALU_DEP_3) | instskip(SKIP_1) | instid1(VALU_DEP_2)
	v_cmp_le_u32_e32 vcc_lo, s26, v13
	s_wait_alu 0xf1ff
	v_subrev_co_ci_u32_e64 v9, null, 0, v9, s2
	s_wait_alu 0xfffd
	v_cndmask_b32_e64 v12, 0, -1, vcc_lo
	s_delay_alu instid0(VALU_DEP_2)
	v_cmp_le_u32_e32 vcc_lo, s27, v9
	s_wait_alu 0xfffd
	v_cndmask_b32_e64 v13, 0, -1, vcc_lo
	v_cmp_le_u32_e32 vcc_lo, s26, v5
	s_wait_alu 0xfffd
	v_cndmask_b32_e64 v5, 0, -1, vcc_lo
	;; [unrolled: 3-line block ×3, first 2 shown]
	v_cmp_eq_u32_e32 vcc_lo, s27, v9
	s_wait_alu 0xfffd
	v_cndmask_b32_e32 v9, v13, v12, vcc_lo
	v_add_co_u32 v12, vcc_lo, v7, 1
	s_wait_alu 0xfffd
	v_add_co_ci_u32_e64 v13, null, 0, v8, vcc_lo
	v_cmp_eq_u32_e32 vcc_lo, s27, v6
	s_wait_alu 0xfffd
	v_cndmask_b32_e32 v5, v14, v5, vcc_lo
	v_cmp_ne_u32_e32 vcc_lo, 0, v9
	s_wait_alu 0xfffd
	v_cndmask_b32_e32 v6, v13, v11, vcc_lo
	s_delay_alu instid0(VALU_DEP_3) | instskip(SKIP_2) | instid1(VALU_DEP_2)
	v_cmp_ne_u32_e64 s2, 0, v5
	v_cndmask_b32_e32 v5, v12, v10, vcc_lo
	s_wait_alu 0xf1ff
	v_cndmask_b32_e64 v6, v8, v6, s2
	s_delay_alu instid0(VALU_DEP_2) | instskip(NEXT) | instid1(VALU_DEP_2)
	v_cndmask_b32_e64 v5, v7, v5, s2
	v_xor_b32_e32 v7, v6, v3
	s_delay_alu instid0(VALU_DEP_2) | instskip(NEXT) | instid1(VALU_DEP_1)
	v_xor_b32_e32 v5, v5, v3
	v_sub_co_u32 v6, vcc_lo, v5, v3
	s_wait_alu 0xfffd
	s_delay_alu instid0(VALU_DEP_3)
	v_sub_co_ci_u32_e64 v7, null, v7, v3, vcc_lo
.LBB64_9:                               ;   in Loop: Header=BB64_3 Depth=1
	s_wait_alu 0xfffe
	s_and_not1_saveexec_b32 s2, s3
	s_cbranch_execz .LBB64_11
; %bb.10:                               ;   in Loop: Header=BB64_3 Depth=1
	s_sub_co_i32 s3, 0, s14
	s_wait_alu 0xfffe
	v_mul_lo_u32 v3, s3, v24
	s_delay_alu instid0(VALU_DEP_1) | instskip(NEXT) | instid1(VALU_DEP_1)
	v_mul_hi_u32 v3, v24, v3
	v_add_nc_u32_e32 v3, v24, v3
	s_delay_alu instid0(VALU_DEP_1) | instskip(NEXT) | instid1(VALU_DEP_1)
	v_mul_hi_u32 v3, v4, v3
	v_mul_lo_u32 v5, v3, s14
	v_add_nc_u32_e32 v6, 1, v3
	s_delay_alu instid0(VALU_DEP_2) | instskip(NEXT) | instid1(VALU_DEP_1)
	v_sub_nc_u32_e32 v5, v4, v5
	v_subrev_nc_u32_e32 v7, s14, v5
	v_cmp_le_u32_e32 vcc_lo, s14, v5
	s_wait_alu 0xfffd
	s_delay_alu instid0(VALU_DEP_2) | instskip(SKIP_2) | instid1(VALU_DEP_3)
	v_cndmask_b32_e32 v5, v5, v7, vcc_lo
	v_mov_b32_e32 v7, v2
	v_cndmask_b32_e32 v3, v3, v6, vcc_lo
	v_cmp_le_u32_e32 vcc_lo, s14, v5
	s_delay_alu instid0(VALU_DEP_2) | instskip(SKIP_1) | instid1(VALU_DEP_1)
	v_add_nc_u32_e32 v6, 1, v3
	s_wait_alu 0xfffd
	v_cndmask_b32_e32 v6, v3, v6, vcc_lo
.LBB64_11:                              ;   in Loop: Header=BB64_3 Depth=1
	s_wait_alu 0xfffe
	s_or_b32 exec_lo, exec_lo, s2
	v_mad_co_u64_u32 v[8:9], null, v4, s8, 0
	s_delay_alu instid0(VALU_DEP_2) | instskip(SKIP_3) | instid1(VALU_DEP_1)
	v_mad_co_u64_u32 v[9:10], null, v6, s14, 0
	s_mov_b32 s23, exec_lo
	v_sub_co_u32 v27, null, v0, v8
	v_sub_co_u32 v26, null, v4, v9
	v_sub_nc_u32_e32 v3, v27, v26
	s_delay_alu instid0(VALU_DEP_1) | instskip(NEXT) | instid1(VALU_DEP_1)
	v_ashrrev_i32_e32 v4, 31, v3
	v_cmpx_gt_i64_e64 s[4:5], v[3:4]
	s_cbranch_execz .LBB64_2
; %bb.12:                               ;   in Loop: Header=BB64_3 Depth=1
	s_load_b64 s[2:3], s[20:21], 0x64
	s_and_not1_b32 vcc_lo, exec_lo, s56
	s_wait_kmcnt 0x0
	v_mul_lo_u32 v3, s3, v27
	s_delay_alu instid0(VALU_DEP_1)
	v_mad_co_u64_u32 v[4:5], null, s2, v26, v[3:4]
	s_wait_alu 0xfffe
	s_cbranch_vccnz .LBB64_56
; %bb.13:                               ;   in Loop: Header=BB64_3 Depth=1
	s_mov_b32 s25, s52
	s_and_not1_b32 vcc_lo, exec_lo, s54
	s_mov_b32 s18, s33
	s_mov_b32 s2, s33
	s_wait_alu 0xfffe
	s_cbranch_vccz .LBB64_16
; %bb.14:                               ;   in Loop: Header=BB64_3 Depth=1
	s_and_not1_b32 vcc_lo, exec_lo, s55
	s_wait_alu 0xfffe
	s_cbranch_vccz .LBB64_21
	s_branch .LBB64_56
.LBB64_15:                              ;   in Loop: Header=BB64_16 Depth=2
	s_wait_alu 0xfffe
	s_or_b32 exec_lo, exec_lo, s2
	s_add_nc_u64 s[26:27], s[0:1], s[26:27]
	v_mul_lo_u32 v3, v8, s28
	s_load_b32 s2, s[26:27], 0x6c
	s_add_co_i32 s25, s25, -1
	s_add_co_i32 s18, s18, -1
	s_wait_alu 0xfffe
	s_cmp_lg_u32 s25, 0
	s_delay_alu instid0(VALU_DEP_1) | instskip(SKIP_2) | instid1(VALU_DEP_2)
	v_sub_nc_u32_e32 v3, v6, v3
	v_dual_mov_b32 v6, v8 :: v_dual_mov_b32 v7, v9
	s_wait_kmcnt 0x0
	v_mad_co_u64_u32 v[4:5], null, s2, v3, v[4:5]
	s_cbranch_scc0 .LBB64_20
.LBB64_16:                              ;   Parent Loop BB64_3 Depth=1
                                        ; =>  This Inner Loop Header: Depth=2
	s_lshl_b64 s[26:27], s[18:19], 2
                                        ; implicit-def: $vgpr8_vgpr9
	s_mov_b32 s2, exec_lo
	s_wait_alu 0xfffe
	s_add_nc_u64 s[28:29], s[10:11], s[26:27]
	s_load_b32 s28, s[28:29], 0x8
	s_wait_kmcnt 0x0
	s_ashr_i32 s29, s28, 31
	s_wait_alu 0xfffe
	v_or_b32_e32 v3, s29, v7
	s_delay_alu instid0(VALU_DEP_1)
	v_cmpx_ne_u64_e32 0, v[2:3]
	s_xor_b32 s36, exec_lo, s2
	s_cbranch_execz .LBB64_18
; %bb.17:                               ;   in Loop: Header=BB64_16 Depth=2
	s_ashr_i32 s30, s29, 31
	s_mov_b32 s43, s19
	s_wait_alu 0xfffe
	s_mov_b32 s31, s30
	s_mov_b32 s47, s19
	s_wait_alu 0xfffe
	s_add_nc_u64 s[34:35], s[28:29], s[30:31]
	v_ashrrev_i32_e32 v3, 31, v7
	s_wait_alu 0xfffe
	s_xor_b64 s[34:35], s[34:35], s[30:31]
	s_wait_alu 0xfffe
	s_cvt_f32_u32 s2, s34
	s_cvt_f32_u32 s29, s35
	s_sub_nc_u64 s[40:41], 0, s[34:35]
	v_add_co_u32 v5, vcc_lo, v6, v3
	s_wait_alu 0xfffe
	s_fmamk_f32 s2, s29, 0x4f800000, s2
	s_wait_alu 0xfffd
	v_add_co_ci_u32_e64 v7, null, v7, v3, vcc_lo
	v_xor_b32_e32 v5, v5, v3
	s_wait_alu 0xfffe
	v_s_rcp_f32 s2, s2
	s_delay_alu instid0(VALU_DEP_2) | instskip(SKIP_1) | instid1(TRANS32_DEP_1)
	v_xor_b32_e32 v13, v7, v3
	v_xor_b32_e32 v3, s30, v3
	s_mul_f32 s2, s2, 0x5f7ffffc
	s_wait_alu 0xfffe
	s_delay_alu instid0(SALU_CYCLE_2) | instskip(SKIP_1) | instid1(SALU_CYCLE_2)
	s_mul_f32 s29, s2, 0x2f800000
	s_wait_alu 0xfffe
	s_trunc_f32 s29, s29
	s_wait_alu 0xfffe
	s_delay_alu instid0(SALU_CYCLE_2) | instskip(SKIP_2) | instid1(SALU_CYCLE_1)
	s_fmamk_f32 s2, s29, 0xcf800000, s2
	s_cvt_u32_f32 s39, s29
	s_wait_alu 0xfffe
	s_cvt_u32_f32 s38, s2
	s_wait_alu 0xfffe
	s_delay_alu instid0(SALU_CYCLE_2)
	s_mul_u64 s[44:45], s[40:41], s[38:39]
	s_wait_alu 0xfffe
	s_mul_hi_u32 s49, s38, s45
	s_mul_i32 s48, s38, s45
	s_mul_hi_u32 s42, s38, s44
	s_mul_i32 s29, s39, s44
	s_wait_alu 0xfffe
	s_add_nc_u64 s[42:43], s[42:43], s[48:49]
	s_mul_hi_u32 s2, s39, s44
	s_mul_hi_u32 s31, s39, s45
	s_wait_alu 0xfffe
	s_add_co_u32 s29, s42, s29
	s_add_co_ci_u32 s46, s43, s2
	s_mul_i32 s44, s39, s45
	s_add_co_ci_u32 s45, s31, 0
	s_wait_alu 0xfffe
	s_add_nc_u64 s[42:43], s[46:47], s[44:45]
	s_mov_b32 s45, s19
	s_wait_alu 0xfffe
	s_add_co_u32 s38, s38, s42
	s_cselect_b32 s2, -1, 0
	s_wait_alu 0xfffe
	s_cmp_lg_u32 s2, 0
	s_add_co_ci_u32 s39, s39, s43
	s_mov_b32 s43, s19
	s_wait_alu 0xfffe
	s_mul_u64 s[40:41], s[40:41], s[38:39]
	s_wait_alu 0xfffe
	s_mul_hi_u32 s47, s38, s41
	s_mul_i32 s46, s38, s41
	s_mul_hi_u32 s44, s38, s40
	s_mul_i32 s29, s39, s40
	s_wait_alu 0xfffe
	s_add_nc_u64 s[44:45], s[44:45], s[46:47]
	s_mul_hi_u32 s2, s39, s40
	s_mul_hi_u32 s31, s39, s41
	s_wait_alu 0xfffe
	s_add_co_u32 s29, s44, s29
	s_add_co_ci_u32 s42, s45, s2
	s_mul_i32 s40, s39, s41
	s_add_co_ci_u32 s41, s31, 0
	s_wait_alu 0xfffe
	s_add_nc_u64 s[40:41], s[42:43], s[40:41]
	s_wait_alu 0xfffe
	s_add_co_u32 s2, s38, s40
	s_cselect_b32 s29, -1, 0
	s_wait_alu 0xfffe
	v_mul_hi_u32 v14, v5, s2
	s_cmp_lg_u32 s29, 0
	v_mad_co_u64_u32 v[9:10], null, v13, s2, 0
	s_add_co_ci_u32 s29, s39, s41
	s_wait_alu 0xfffe
	v_mad_co_u64_u32 v[7:8], null, v5, s29, 0
	v_mad_co_u64_u32 v[11:12], null, v13, s29, 0
	s_delay_alu instid0(VALU_DEP_2) | instskip(SKIP_1) | instid1(VALU_DEP_3)
	v_add_co_u32 v7, vcc_lo, v14, v7
	s_wait_alu 0xfffd
	v_add_co_ci_u32_e64 v8, null, 0, v8, vcc_lo
	s_delay_alu instid0(VALU_DEP_2) | instskip(SKIP_1) | instid1(VALU_DEP_2)
	v_add_co_u32 v7, vcc_lo, v7, v9
	s_wait_alu 0xfffd
	v_add_co_ci_u32_e32 v7, vcc_lo, v8, v10, vcc_lo
	s_wait_alu 0xfffd
	v_add_co_ci_u32_e32 v8, vcc_lo, 0, v12, vcc_lo
	s_delay_alu instid0(VALU_DEP_2) | instskip(SKIP_1) | instid1(VALU_DEP_2)
	v_add_co_u32 v9, vcc_lo, v7, v11
	s_wait_alu 0xfffd
	v_add_co_ci_u32_e64 v10, null, 0, v8, vcc_lo
	s_delay_alu instid0(VALU_DEP_2) | instskip(SKIP_1) | instid1(VALU_DEP_3)
	v_mul_lo_u32 v11, s35, v9
	v_mad_co_u64_u32 v[7:8], null, s34, v9, 0
	v_mul_lo_u32 v12, s34, v10
	s_delay_alu instid0(VALU_DEP_2) | instskip(NEXT) | instid1(VALU_DEP_2)
	v_sub_co_u32 v5, vcc_lo, v5, v7
	v_add3_u32 v8, v8, v12, v11
	s_delay_alu instid0(VALU_DEP_1) | instskip(SKIP_2) | instid1(VALU_DEP_2)
	v_sub_nc_u32_e32 v11, v13, v8
	s_wait_alu 0xfffd
	v_sub_co_ci_u32_e64 v8, null, v13, v8, vcc_lo
	v_subrev_co_ci_u32_e64 v7, null, s35, v11, vcc_lo
	v_add_co_u32 v11, s2, v9, 2
	s_wait_alu 0xf1ff
	v_add_co_ci_u32_e64 v12, null, 0, v10, s2
	v_sub_co_u32 v14, s2, v5, s34
	s_wait_alu 0xf1ff
	v_subrev_co_ci_u32_e64 v7, null, 0, v7, s2
	s_delay_alu instid0(VALU_DEP_2) | instskip(SKIP_2) | instid1(VALU_DEP_3)
	v_cmp_le_u32_e32 vcc_lo, s34, v14
	s_wait_alu 0xfffd
	v_cndmask_b32_e64 v13, 0, -1, vcc_lo
	v_cmp_le_u32_e32 vcc_lo, s35, v7
	s_wait_alu 0xfffd
	v_cndmask_b32_e64 v14, 0, -1, vcc_lo
	;; [unrolled: 3-line block ×4, first 2 shown]
	v_cmp_eq_u32_e32 vcc_lo, s35, v7
	s_wait_alu 0xfffd
	v_cndmask_b32_e32 v7, v14, v13, vcc_lo
	v_add_co_u32 v13, vcc_lo, v9, 1
	s_wait_alu 0xfffd
	v_add_co_ci_u32_e64 v14, null, 0, v10, vcc_lo
	v_cmp_eq_u32_e32 vcc_lo, s35, v8
	s_wait_alu 0xfffd
	v_cndmask_b32_e32 v5, v15, v5, vcc_lo
	v_cmp_ne_u32_e32 vcc_lo, 0, v7
	s_delay_alu instid0(VALU_DEP_2) | instskip(SKIP_4) | instid1(VALU_DEP_2)
	v_cmp_ne_u32_e64 s2, 0, v5
	s_wait_alu 0xfffd
	v_cndmask_b32_e32 v5, v13, v11, vcc_lo
	v_cndmask_b32_e32 v7, v14, v12, vcc_lo
	s_wait_alu 0xf1ff
	v_cndmask_b32_e64 v5, v9, v5, s2
	s_delay_alu instid0(VALU_DEP_2) | instskip(NEXT) | instid1(VALU_DEP_2)
	v_cndmask_b32_e64 v7, v10, v7, s2
	v_xor_b32_e32 v5, v5, v3
	s_delay_alu instid0(VALU_DEP_2) | instskip(NEXT) | instid1(VALU_DEP_2)
	v_xor_b32_e32 v7, v7, v3
	v_sub_co_u32 v8, vcc_lo, v5, v3
	s_wait_alu 0xfffd
	s_delay_alu instid0(VALU_DEP_2)
	v_sub_co_ci_u32_e64 v9, null, v7, v3, vcc_lo
.LBB64_18:                              ;   in Loop: Header=BB64_16 Depth=2
	s_wait_alu 0xfffe
	s_and_not1_saveexec_b32 s2, s36
	s_cbranch_execz .LBB64_15
; %bb.19:                               ;   in Loop: Header=BB64_16 Depth=2
	v_cvt_f32_u32_e32 v3, s28
	s_sub_co_i32 s29, 0, s28
	v_mov_b32_e32 v9, v2
	s_delay_alu instid0(VALU_DEP_2) | instskip(NEXT) | instid1(TRANS32_DEP_1)
	v_rcp_iflag_f32_e32 v3, v3
	v_mul_f32_e32 v3, 0x4f7ffffe, v3
	s_delay_alu instid0(VALU_DEP_1) | instskip(SKIP_1) | instid1(VALU_DEP_1)
	v_cvt_u32_f32_e32 v3, v3
	s_wait_alu 0xfffe
	v_mul_lo_u32 v5, s29, v3
	s_delay_alu instid0(VALU_DEP_1) | instskip(NEXT) | instid1(VALU_DEP_1)
	v_mul_hi_u32 v5, v3, v5
	v_add_nc_u32_e32 v3, v3, v5
	s_delay_alu instid0(VALU_DEP_1) | instskip(NEXT) | instid1(VALU_DEP_1)
	v_mul_hi_u32 v3, v6, v3
	v_mul_lo_u32 v5, v3, s28
	v_add_nc_u32_e32 v7, 1, v3
	s_delay_alu instid0(VALU_DEP_2) | instskip(NEXT) | instid1(VALU_DEP_1)
	v_sub_nc_u32_e32 v5, v6, v5
	v_cmp_le_u32_e32 vcc_lo, s28, v5
	v_subrev_nc_u32_e32 v8, s28, v5
	s_wait_alu 0xfffd
	v_cndmask_b32_e32 v3, v3, v7, vcc_lo
	s_delay_alu instid0(VALU_DEP_1) | instskip(NEXT) | instid1(VALU_DEP_3)
	v_add_nc_u32_e32 v7, 1, v3
	v_cndmask_b32_e32 v5, v5, v8, vcc_lo
	s_delay_alu instid0(VALU_DEP_1) | instskip(SKIP_1) | instid1(VALU_DEP_3)
	v_cmp_le_u32_e32 vcc_lo, s28, v5
	s_wait_alu 0xfffd
	v_cndmask_b32_e32 v8, v3, v7, vcc_lo
	s_branch .LBB64_15
.LBB64_20:                              ;   in Loop: Header=BB64_3 Depth=1
	s_mov_b32 s2, s18
	s_and_not1_b32 vcc_lo, exec_lo, s55
	s_wait_alu 0xfffe
	s_cbranch_vccnz .LBB64_56
.LBB64_21:                              ;   in Loop: Header=BB64_3 Depth=1
	s_add_co_i32 s26, s2, -7
.LBB64_22:                              ;   Parent Loop BB64_3 Depth=1
                                        ; =>  This Inner Loop Header: Depth=2
	s_wait_alu 0xfffe
	s_add_co_i32 s18, s26, 7
                                        ; implicit-def: $vgpr8_vgpr9
	s_mov_b32 s2, exec_lo
	s_wait_alu 0xfffe
	s_lshl_b64 s[34:35], s[18:19], 2
	s_wait_alu 0xfffe
	s_add_nc_u64 s[28:29], s[10:11], s[34:35]
	s_load_b32 s28, s[28:29], 0x8
	s_wait_kmcnt 0x0
	s_ashr_i32 s29, s28, 31
	s_wait_alu 0xfffe
	v_or_b32_e32 v3, s29, v7
	s_delay_alu instid0(VALU_DEP_1)
	v_cmpx_ne_u64_e32 0, v[2:3]
	s_xor_b32 s25, exec_lo, s2
	s_cbranch_execz .LBB64_24
; %bb.23:                               ;   in Loop: Header=BB64_22 Depth=2
	s_ashr_i32 s30, s29, 31
	v_ashrrev_i32_e32 v3, 31, v7
	s_wait_alu 0xfffe
	s_mov_b32 s31, s30
	s_wait_alu 0xfffe
	s_add_nc_u64 s[36:37], s[28:29], s[30:31]
	v_add_co_u32 v5, vcc_lo, v6, v3
	s_wait_alu 0xfffe
	s_xor_b64 s[36:37], s[36:37], s[30:31]
	s_wait_alu 0xfffd
	v_add_co_ci_u32_e64 v7, null, v7, v3, vcc_lo
	s_wait_alu 0xfffe
	s_cvt_f32_u32 s2, s36
	s_cvt_f32_u32 s18, s37
	s_sub_nc_u64 s[40:41], 0, s[36:37]
	v_xor_b32_e32 v5, v5, v3
	v_xor_b32_e32 v13, v7, v3
	s_wait_alu 0xfffe
	s_fmamk_f32 s2, s18, 0x4f800000, s2
	v_xor_b32_e32 v3, s30, v3
	s_wait_alu 0xfffe
	s_delay_alu instid0(SALU_CYCLE_1) | instskip(NEXT) | instid1(TRANS32_DEP_1)
	v_s_rcp_f32 s2, s2
	s_mul_f32 s2, s2, 0x5f7ffffc
	s_wait_alu 0xfffe
	s_delay_alu instid0(SALU_CYCLE_2) | instskip(SKIP_1) | instid1(SALU_CYCLE_2)
	s_mul_f32 s18, s2, 0x2f800000
	s_wait_alu 0xfffe
	s_trunc_f32 s18, s18
	s_wait_alu 0xfffe
	s_delay_alu instid0(SALU_CYCLE_2) | instskip(SKIP_2) | instid1(SALU_CYCLE_1)
	s_fmamk_f32 s2, s18, 0xcf800000, s2
	s_cvt_u32_f32 s39, s18
	s_wait_alu 0xfffe
	s_cvt_u32_f32 s38, s2
	s_wait_alu 0xfffe
	s_delay_alu instid0(SALU_CYCLE_2)
	s_mul_u64 s[42:43], s[40:41], s[38:39]
	s_wait_alu 0xfffe
	s_mul_hi_u32 s45, s38, s43
	s_mul_i32 s44, s38, s43
	s_mul_hi_u32 s18, s38, s42
	s_mul_i32 s27, s39, s42
	s_wait_alu 0xfffe
	s_add_nc_u64 s[44:45], s[18:19], s[44:45]
	s_mul_hi_u32 s2, s39, s42
	s_mul_hi_u32 s29, s39, s43
	s_wait_alu 0xfffe
	s_add_co_u32 s18, s44, s27
	s_add_co_ci_u32 s18, s45, s2
	s_mul_i32 s42, s39, s43
	s_add_co_ci_u32 s43, s29, 0
	s_wait_alu 0xfffe
	s_add_nc_u64 s[42:43], s[18:19], s[42:43]
	s_wait_alu 0xfffe
	s_add_co_u32 s38, s38, s42
	s_cselect_b32 s2, -1, 0
	s_wait_alu 0xfffe
	s_cmp_lg_u32 s2, 0
	s_add_co_ci_u32 s39, s39, s43
	s_wait_alu 0xfffe
	s_mul_u64 s[40:41], s[40:41], s[38:39]
	s_wait_alu 0xfffe
	s_mul_hi_u32 s43, s38, s41
	s_mul_i32 s42, s38, s41
	s_mul_hi_u32 s18, s38, s40
	s_mul_i32 s27, s39, s40
	s_wait_alu 0xfffe
	s_add_nc_u64 s[42:43], s[18:19], s[42:43]
	s_mul_hi_u32 s2, s39, s40
	s_mul_hi_u32 s29, s39, s41
	s_wait_alu 0xfffe
	s_add_co_u32 s18, s42, s27
	s_add_co_ci_u32 s18, s43, s2
	s_mul_i32 s40, s39, s41
	s_add_co_ci_u32 s41, s29, 0
	s_wait_alu 0xfffe
	s_add_nc_u64 s[40:41], s[18:19], s[40:41]
	s_wait_alu 0xfffe
	s_add_co_u32 s2, s38, s40
	s_cselect_b32 s18, -1, 0
	s_wait_alu 0xfffe
	v_mul_hi_u32 v14, v5, s2
	s_cmp_lg_u32 s18, 0
	v_mad_co_u64_u32 v[9:10], null, v13, s2, 0
	s_add_co_ci_u32 s18, s39, s41
	s_wait_alu 0xfffe
	v_mad_co_u64_u32 v[7:8], null, v5, s18, 0
	v_mad_co_u64_u32 v[11:12], null, v13, s18, 0
	s_delay_alu instid0(VALU_DEP_2) | instskip(SKIP_1) | instid1(VALU_DEP_3)
	v_add_co_u32 v7, vcc_lo, v14, v7
	s_wait_alu 0xfffd
	v_add_co_ci_u32_e64 v8, null, 0, v8, vcc_lo
	s_delay_alu instid0(VALU_DEP_2) | instskip(SKIP_1) | instid1(VALU_DEP_2)
	v_add_co_u32 v7, vcc_lo, v7, v9
	s_wait_alu 0xfffd
	v_add_co_ci_u32_e32 v7, vcc_lo, v8, v10, vcc_lo
	s_wait_alu 0xfffd
	v_add_co_ci_u32_e32 v8, vcc_lo, 0, v12, vcc_lo
	s_delay_alu instid0(VALU_DEP_2) | instskip(SKIP_1) | instid1(VALU_DEP_2)
	v_add_co_u32 v9, vcc_lo, v7, v11
	s_wait_alu 0xfffd
	v_add_co_ci_u32_e64 v10, null, 0, v8, vcc_lo
	s_delay_alu instid0(VALU_DEP_2) | instskip(SKIP_1) | instid1(VALU_DEP_3)
	v_mul_lo_u32 v11, s37, v9
	v_mad_co_u64_u32 v[7:8], null, s36, v9, 0
	v_mul_lo_u32 v12, s36, v10
	s_delay_alu instid0(VALU_DEP_2) | instskip(NEXT) | instid1(VALU_DEP_2)
	v_sub_co_u32 v5, vcc_lo, v5, v7
	v_add3_u32 v8, v8, v12, v11
	s_delay_alu instid0(VALU_DEP_1) | instskip(SKIP_2) | instid1(VALU_DEP_2)
	v_sub_nc_u32_e32 v11, v13, v8
	s_wait_alu 0xfffd
	v_sub_co_ci_u32_e64 v8, null, v13, v8, vcc_lo
	v_subrev_co_ci_u32_e64 v7, null, s37, v11, vcc_lo
	v_add_co_u32 v11, s2, v9, 2
	s_wait_alu 0xf1ff
	v_add_co_ci_u32_e64 v12, null, 0, v10, s2
	v_sub_co_u32 v14, s2, v5, s36
	s_wait_alu 0xf1ff
	v_subrev_co_ci_u32_e64 v7, null, 0, v7, s2
	s_delay_alu instid0(VALU_DEP_2) | instskip(SKIP_2) | instid1(VALU_DEP_3)
	v_cmp_le_u32_e32 vcc_lo, s36, v14
	s_wait_alu 0xfffd
	v_cndmask_b32_e64 v13, 0, -1, vcc_lo
	v_cmp_le_u32_e32 vcc_lo, s37, v7
	s_wait_alu 0xfffd
	v_cndmask_b32_e64 v14, 0, -1, vcc_lo
	;; [unrolled: 3-line block ×4, first 2 shown]
	v_cmp_eq_u32_e32 vcc_lo, s37, v7
	s_wait_alu 0xfffd
	v_cndmask_b32_e32 v7, v14, v13, vcc_lo
	v_add_co_u32 v13, vcc_lo, v9, 1
	s_wait_alu 0xfffd
	v_add_co_ci_u32_e64 v14, null, 0, v10, vcc_lo
	v_cmp_eq_u32_e32 vcc_lo, s37, v8
	s_wait_alu 0xfffd
	v_cndmask_b32_e32 v5, v15, v5, vcc_lo
	v_cmp_ne_u32_e32 vcc_lo, 0, v7
	s_delay_alu instid0(VALU_DEP_2) | instskip(SKIP_4) | instid1(VALU_DEP_2)
	v_cmp_ne_u32_e64 s2, 0, v5
	s_wait_alu 0xfffd
	v_cndmask_b32_e32 v5, v13, v11, vcc_lo
	v_cndmask_b32_e32 v7, v14, v12, vcc_lo
	s_wait_alu 0xf1ff
	v_cndmask_b32_e64 v5, v9, v5, s2
	s_delay_alu instid0(VALU_DEP_2) | instskip(NEXT) | instid1(VALU_DEP_2)
	v_cndmask_b32_e64 v7, v10, v7, s2
	v_xor_b32_e32 v5, v5, v3
	s_delay_alu instid0(VALU_DEP_2) | instskip(NEXT) | instid1(VALU_DEP_2)
	v_xor_b32_e32 v7, v7, v3
	v_sub_co_u32 v8, vcc_lo, v5, v3
	s_wait_alu 0xfffd
	s_delay_alu instid0(VALU_DEP_2)
	v_sub_co_ci_u32_e64 v9, null, v7, v3, vcc_lo
.LBB64_24:                              ;   in Loop: Header=BB64_22 Depth=2
	s_wait_alu 0xfffe
	s_and_not1_saveexec_b32 s2, s25
	s_cbranch_execz .LBB64_26
; %bb.25:                               ;   in Loop: Header=BB64_22 Depth=2
	v_cvt_f32_u32_e32 v3, s28
	s_sub_co_i32 s18, 0, s28
	v_mov_b32_e32 v9, v2
	s_delay_alu instid0(VALU_DEP_2) | instskip(NEXT) | instid1(TRANS32_DEP_1)
	v_rcp_iflag_f32_e32 v3, v3
	v_mul_f32_e32 v3, 0x4f7ffffe, v3
	s_delay_alu instid0(VALU_DEP_1) | instskip(SKIP_1) | instid1(VALU_DEP_1)
	v_cvt_u32_f32_e32 v3, v3
	s_wait_alu 0xfffe
	v_mul_lo_u32 v5, s18, v3
	s_delay_alu instid0(VALU_DEP_1) | instskip(NEXT) | instid1(VALU_DEP_1)
	v_mul_hi_u32 v5, v3, v5
	v_add_nc_u32_e32 v3, v3, v5
	s_delay_alu instid0(VALU_DEP_1) | instskip(NEXT) | instid1(VALU_DEP_1)
	v_mul_hi_u32 v3, v6, v3
	v_mul_lo_u32 v5, v3, s28
	v_add_nc_u32_e32 v7, 1, v3
	s_delay_alu instid0(VALU_DEP_2) | instskip(NEXT) | instid1(VALU_DEP_1)
	v_sub_nc_u32_e32 v5, v6, v5
	v_cmp_le_u32_e32 vcc_lo, s28, v5
	v_subrev_nc_u32_e32 v8, s28, v5
	s_wait_alu 0xfffd
	v_cndmask_b32_e32 v3, v3, v7, vcc_lo
	s_delay_alu instid0(VALU_DEP_1) | instskip(NEXT) | instid1(VALU_DEP_3)
	v_add_nc_u32_e32 v7, 1, v3
	v_cndmask_b32_e32 v5, v5, v8, vcc_lo
	s_delay_alu instid0(VALU_DEP_1) | instskip(SKIP_1) | instid1(VALU_DEP_3)
	v_cmp_le_u32_e32 vcc_lo, s28, v5
	s_wait_alu 0xfffd
	v_cndmask_b32_e32 v8, v3, v7, vcc_lo
.LBB64_26:                              ;   in Loop: Header=BB64_22 Depth=2
	s_wait_alu 0xfffe
	s_or_b32 exec_lo, exec_lo, s2
	s_add_co_i32 s18, s26, 6
	s_add_nc_u64 s[34:35], s[0:1], s[34:35]
	s_wait_alu 0xfffe
	s_lshl_b64 s[36:37], s[18:19], 2
                                        ; implicit-def: $vgpr10_vgpr11
	s_mov_b32 s2, exec_lo
	s_wait_alu 0xfffe
	s_add_nc_u64 s[30:31], s[10:11], s[36:37]
	s_clause 0x1
	s_load_b32 s25, s[34:35], 0x6c
	s_load_b32 s30, s[30:31], 0x8
	s_wait_kmcnt 0x0
	s_ashr_i32 s31, s30, 31
	s_wait_alu 0xfffe
	v_or_b32_e32 v3, s31, v9
	s_delay_alu instid0(VALU_DEP_1)
	v_cmpx_ne_u64_e32 0, v[2:3]
	s_xor_b32 s27, exec_lo, s2
	s_cbranch_execz .LBB64_28
; %bb.27:                               ;   in Loop: Header=BB64_22 Depth=2
	s_ashr_i32 s34, s31, 31
	v_ashrrev_i32_e32 v3, 31, v9
	s_wait_alu 0xfffe
	s_mov_b32 s35, s34
	s_wait_alu 0xfffe
	s_add_nc_u64 s[38:39], s[30:31], s[34:35]
	v_add_co_u32 v5, vcc_lo, v8, v3
	s_wait_alu 0xfffe
	s_xor_b64 s[38:39], s[38:39], s[34:35]
	s_wait_alu 0xfffd
	v_add_co_ci_u32_e64 v7, null, v9, v3, vcc_lo
	s_wait_alu 0xfffe
	s_cvt_f32_u32 s2, s38
	s_cvt_f32_u32 s18, s39
	s_sub_nc_u64 s[42:43], 0, s[38:39]
	v_xor_b32_e32 v5, v5, v3
	v_xor_b32_e32 v7, v7, v3
	s_wait_alu 0xfffe
	s_fmamk_f32 s2, s18, 0x4f800000, s2
	v_xor_b32_e32 v3, s34, v3
	s_wait_alu 0xfffe
	s_delay_alu instid0(SALU_CYCLE_1) | instskip(NEXT) | instid1(TRANS32_DEP_1)
	v_s_rcp_f32 s2, s2
	s_mul_f32 s2, s2, 0x5f7ffffc
	s_wait_alu 0xfffe
	s_delay_alu instid0(SALU_CYCLE_2) | instskip(SKIP_1) | instid1(SALU_CYCLE_2)
	s_mul_f32 s18, s2, 0x2f800000
	s_wait_alu 0xfffe
	s_trunc_f32 s18, s18
	s_wait_alu 0xfffe
	s_delay_alu instid0(SALU_CYCLE_2) | instskip(SKIP_2) | instid1(SALU_CYCLE_1)
	s_fmamk_f32 s2, s18, 0xcf800000, s2
	s_cvt_u32_f32 s41, s18
	s_wait_alu 0xfffe
	s_cvt_u32_f32 s40, s2
	s_wait_alu 0xfffe
	s_delay_alu instid0(SALU_CYCLE_2)
	s_mul_u64 s[44:45], s[42:43], s[40:41]
	s_wait_alu 0xfffe
	s_mul_hi_u32 s47, s40, s45
	s_mul_i32 s46, s40, s45
	s_mul_hi_u32 s18, s40, s44
	s_mul_i32 s29, s41, s44
	s_wait_alu 0xfffe
	s_add_nc_u64 s[46:47], s[18:19], s[46:47]
	s_mul_hi_u32 s2, s41, s44
	s_mul_hi_u32 s31, s41, s45
	s_wait_alu 0xfffe
	s_add_co_u32 s18, s46, s29
	s_add_co_ci_u32 s18, s47, s2
	s_mul_i32 s44, s41, s45
	s_add_co_ci_u32 s45, s31, 0
	s_wait_alu 0xfffe
	s_add_nc_u64 s[44:45], s[18:19], s[44:45]
	s_wait_alu 0xfffe
	s_add_co_u32 s40, s40, s44
	s_cselect_b32 s2, -1, 0
	s_wait_alu 0xfffe
	s_cmp_lg_u32 s2, 0
	s_add_co_ci_u32 s41, s41, s45
	s_wait_alu 0xfffe
	s_mul_u64 s[42:43], s[42:43], s[40:41]
	s_wait_alu 0xfffe
	s_mul_hi_u32 s45, s40, s43
	s_mul_i32 s44, s40, s43
	s_mul_hi_u32 s18, s40, s42
	s_mul_i32 s29, s41, s42
	s_wait_alu 0xfffe
	s_add_nc_u64 s[44:45], s[18:19], s[44:45]
	s_mul_hi_u32 s2, s41, s42
	s_mul_hi_u32 s31, s41, s43
	s_wait_alu 0xfffe
	s_add_co_u32 s18, s44, s29
	s_add_co_ci_u32 s18, s45, s2
	s_mul_i32 s42, s41, s43
	s_add_co_ci_u32 s43, s31, 0
	s_wait_alu 0xfffe
	s_add_nc_u64 s[42:43], s[18:19], s[42:43]
	s_wait_alu 0xfffe
	s_add_co_u32 s2, s40, s42
	s_cselect_b32 s18, -1, 0
	s_wait_alu 0xfffe
	v_mul_hi_u32 v15, v5, s2
	s_cmp_lg_u32 s18, 0
	v_mad_co_u64_u32 v[11:12], null, v7, s2, 0
	s_add_co_ci_u32 s18, s41, s43
	s_wait_alu 0xfffe
	v_mad_co_u64_u32 v[9:10], null, v5, s18, 0
	v_mad_co_u64_u32 v[13:14], null, v7, s18, 0
	s_delay_alu instid0(VALU_DEP_2) | instskip(SKIP_1) | instid1(VALU_DEP_3)
	v_add_co_u32 v9, vcc_lo, v15, v9
	s_wait_alu 0xfffd
	v_add_co_ci_u32_e64 v10, null, 0, v10, vcc_lo
	s_delay_alu instid0(VALU_DEP_2) | instskip(SKIP_1) | instid1(VALU_DEP_2)
	v_add_co_u32 v9, vcc_lo, v9, v11
	s_wait_alu 0xfffd
	v_add_co_ci_u32_e32 v9, vcc_lo, v10, v12, vcc_lo
	s_wait_alu 0xfffd
	v_add_co_ci_u32_e32 v10, vcc_lo, 0, v14, vcc_lo
	s_delay_alu instid0(VALU_DEP_2) | instskip(SKIP_1) | instid1(VALU_DEP_2)
	v_add_co_u32 v11, vcc_lo, v9, v13
	s_wait_alu 0xfffd
	v_add_co_ci_u32_e64 v12, null, 0, v10, vcc_lo
	s_delay_alu instid0(VALU_DEP_2) | instskip(SKIP_1) | instid1(VALU_DEP_3)
	v_mul_lo_u32 v13, s39, v11
	v_mad_co_u64_u32 v[9:10], null, s38, v11, 0
	v_mul_lo_u32 v14, s38, v12
	s_delay_alu instid0(VALU_DEP_2) | instskip(NEXT) | instid1(VALU_DEP_2)
	v_sub_co_u32 v5, vcc_lo, v5, v9
	v_add3_u32 v10, v10, v14, v13
	s_delay_alu instid0(VALU_DEP_1) | instskip(SKIP_2) | instid1(VALU_DEP_2)
	v_sub_nc_u32_e32 v13, v7, v10
	s_wait_alu 0xfffd
	v_sub_co_ci_u32_e64 v7, null, v7, v10, vcc_lo
	v_subrev_co_ci_u32_e64 v9, null, s39, v13, vcc_lo
	v_add_co_u32 v13, s2, v11, 2
	s_wait_alu 0xf1ff
	v_add_co_ci_u32_e64 v14, null, 0, v12, s2
	v_sub_co_u32 v15, s2, v5, s38
	s_wait_alu 0xf1ff
	v_subrev_co_ci_u32_e64 v9, null, 0, v9, s2
	s_delay_alu instid0(VALU_DEP_2) | instskip(SKIP_2) | instid1(VALU_DEP_3)
	v_cmp_le_u32_e32 vcc_lo, s38, v15
	s_wait_alu 0xfffd
	v_cndmask_b32_e64 v10, 0, -1, vcc_lo
	v_cmp_le_u32_e32 vcc_lo, s39, v9
	s_wait_alu 0xfffd
	v_cndmask_b32_e64 v15, 0, -1, vcc_lo
	;; [unrolled: 3-line block ×4, first 2 shown]
	v_cmp_eq_u32_e32 vcc_lo, s39, v9
	s_wait_alu 0xfffd
	v_cndmask_b32_e32 v9, v15, v10, vcc_lo
	v_add_co_u32 v10, vcc_lo, v11, 1
	s_wait_alu 0xfffd
	v_add_co_ci_u32_e64 v15, null, 0, v12, vcc_lo
	v_cmp_eq_u32_e32 vcc_lo, s39, v7
	s_wait_alu 0xfffd
	v_cndmask_b32_e32 v5, v16, v5, vcc_lo
	v_cmp_ne_u32_e32 vcc_lo, 0, v9
	s_delay_alu instid0(VALU_DEP_2) | instskip(SKIP_4) | instid1(VALU_DEP_2)
	v_cmp_ne_u32_e64 s2, 0, v5
	s_wait_alu 0xfffd
	v_cndmask_b32_e32 v5, v10, v13, vcc_lo
	v_cndmask_b32_e32 v7, v15, v14, vcc_lo
	s_wait_alu 0xf1ff
	v_cndmask_b32_e64 v5, v11, v5, s2
	s_delay_alu instid0(VALU_DEP_2) | instskip(NEXT) | instid1(VALU_DEP_2)
	v_cndmask_b32_e64 v7, v12, v7, s2
	v_xor_b32_e32 v5, v5, v3
	s_delay_alu instid0(VALU_DEP_2) | instskip(NEXT) | instid1(VALU_DEP_2)
	v_xor_b32_e32 v7, v7, v3
	v_sub_co_u32 v10, vcc_lo, v5, v3
	s_wait_alu 0xfffd
	s_delay_alu instid0(VALU_DEP_2)
	v_sub_co_ci_u32_e64 v11, null, v7, v3, vcc_lo
.LBB64_28:                              ;   in Loop: Header=BB64_22 Depth=2
	s_wait_alu 0xfffe
	s_and_not1_saveexec_b32 s2, s27
	s_cbranch_execz .LBB64_30
; %bb.29:                               ;   in Loop: Header=BB64_22 Depth=2
	v_cvt_f32_u32_e32 v3, s30
	s_sub_co_i32 s18, 0, s30
	v_mov_b32_e32 v11, v2
	s_delay_alu instid0(VALU_DEP_2) | instskip(NEXT) | instid1(TRANS32_DEP_1)
	v_rcp_iflag_f32_e32 v3, v3
	v_mul_f32_e32 v3, 0x4f7ffffe, v3
	s_delay_alu instid0(VALU_DEP_1) | instskip(SKIP_1) | instid1(VALU_DEP_1)
	v_cvt_u32_f32_e32 v3, v3
	s_wait_alu 0xfffe
	v_mul_lo_u32 v5, s18, v3
	s_delay_alu instid0(VALU_DEP_1) | instskip(NEXT) | instid1(VALU_DEP_1)
	v_mul_hi_u32 v5, v3, v5
	v_add_nc_u32_e32 v3, v3, v5
	s_delay_alu instid0(VALU_DEP_1) | instskip(NEXT) | instid1(VALU_DEP_1)
	v_mul_hi_u32 v3, v8, v3
	v_mul_lo_u32 v5, v3, s30
	v_add_nc_u32_e32 v7, 1, v3
	s_delay_alu instid0(VALU_DEP_2) | instskip(NEXT) | instid1(VALU_DEP_1)
	v_sub_nc_u32_e32 v5, v8, v5
	v_cmp_le_u32_e32 vcc_lo, s30, v5
	v_subrev_nc_u32_e32 v9, s30, v5
	s_wait_alu 0xfffd
	v_cndmask_b32_e32 v3, v3, v7, vcc_lo
	s_delay_alu instid0(VALU_DEP_1) | instskip(NEXT) | instid1(VALU_DEP_3)
	v_add_nc_u32_e32 v7, 1, v3
	v_cndmask_b32_e32 v5, v5, v9, vcc_lo
	s_delay_alu instid0(VALU_DEP_1) | instskip(SKIP_1) | instid1(VALU_DEP_3)
	v_cmp_le_u32_e32 vcc_lo, s30, v5
	s_wait_alu 0xfffd
	v_cndmask_b32_e32 v10, v3, v7, vcc_lo
.LBB64_30:                              ;   in Loop: Header=BB64_22 Depth=2
	s_wait_alu 0xfffe
	s_or_b32 exec_lo, exec_lo, s2
	s_add_co_i32 s18, s26, 5
	s_add_nc_u64 s[36:37], s[0:1], s[36:37]
	s_wait_alu 0xfffe
	s_lshl_b64 s[38:39], s[18:19], 2
                                        ; implicit-def: $vgpr12_vgpr13
	s_mov_b32 s2, exec_lo
	s_wait_alu 0xfffe
	s_add_nc_u64 s[34:35], s[10:11], s[38:39]
	s_clause 0x1
	s_load_b32 s29, s[36:37], 0x6c
	s_load_b32 s34, s[34:35], 0x8
	s_wait_kmcnt 0x0
	s_ashr_i32 s35, s34, 31
	s_wait_alu 0xfffe
	v_or_b32_e32 v3, s35, v11
	s_delay_alu instid0(VALU_DEP_1)
	v_cmpx_ne_u64_e32 0, v[2:3]
	s_xor_b32 s27, exec_lo, s2
	s_cbranch_execz .LBB64_32
; %bb.31:                               ;   in Loop: Header=BB64_22 Depth=2
	s_ashr_i32 s36, s35, 31
	v_ashrrev_i32_e32 v3, 31, v11
	s_wait_alu 0xfffe
	s_mov_b32 s37, s36
	s_wait_alu 0xfffe
	s_add_nc_u64 s[40:41], s[34:35], s[36:37]
	v_add_co_u32 v5, vcc_lo, v10, v3
	s_wait_alu 0xfffe
	s_xor_b64 s[40:41], s[40:41], s[36:37]
	s_wait_alu 0xfffd
	v_add_co_ci_u32_e64 v7, null, v11, v3, vcc_lo
	s_wait_alu 0xfffe
	s_cvt_f32_u32 s2, s40
	s_cvt_f32_u32 s18, s41
	s_sub_nc_u64 s[44:45], 0, s[40:41]
	v_xor_b32_e32 v5, v5, v3
	v_xor_b32_e32 v7, v7, v3
	s_wait_alu 0xfffe
	s_fmamk_f32 s2, s18, 0x4f800000, s2
	v_xor_b32_e32 v3, s36, v3
	s_wait_alu 0xfffe
	s_delay_alu instid0(SALU_CYCLE_1) | instskip(NEXT) | instid1(TRANS32_DEP_1)
	v_s_rcp_f32 s2, s2
	s_mul_f32 s2, s2, 0x5f7ffffc
	s_wait_alu 0xfffe
	s_delay_alu instid0(SALU_CYCLE_2) | instskip(SKIP_1) | instid1(SALU_CYCLE_2)
	s_mul_f32 s18, s2, 0x2f800000
	s_wait_alu 0xfffe
	s_trunc_f32 s18, s18
	s_wait_alu 0xfffe
	s_delay_alu instid0(SALU_CYCLE_2) | instskip(SKIP_2) | instid1(SALU_CYCLE_1)
	s_fmamk_f32 s2, s18, 0xcf800000, s2
	s_cvt_u32_f32 s43, s18
	s_wait_alu 0xfffe
	s_cvt_u32_f32 s42, s2
	s_wait_alu 0xfffe
	s_delay_alu instid0(SALU_CYCLE_2)
	s_mul_u64 s[46:47], s[44:45], s[42:43]
	s_wait_alu 0xfffe
	s_mul_hi_u32 s49, s42, s47
	s_mul_i32 s48, s42, s47
	s_mul_hi_u32 s18, s42, s46
	s_mul_i32 s31, s43, s46
	s_wait_alu 0xfffe
	s_add_nc_u64 s[48:49], s[18:19], s[48:49]
	s_mul_hi_u32 s2, s43, s46
	s_mul_hi_u32 s35, s43, s47
	s_wait_alu 0xfffe
	s_add_co_u32 s18, s48, s31
	s_add_co_ci_u32 s18, s49, s2
	s_mul_i32 s46, s43, s47
	s_add_co_ci_u32 s47, s35, 0
	s_wait_alu 0xfffe
	s_add_nc_u64 s[46:47], s[18:19], s[46:47]
	s_wait_alu 0xfffe
	s_add_co_u32 s42, s42, s46
	s_cselect_b32 s2, -1, 0
	s_wait_alu 0xfffe
	s_cmp_lg_u32 s2, 0
	s_add_co_ci_u32 s43, s43, s47
	s_wait_alu 0xfffe
	s_mul_u64 s[44:45], s[44:45], s[42:43]
	s_wait_alu 0xfffe
	s_mul_hi_u32 s47, s42, s45
	s_mul_i32 s46, s42, s45
	s_mul_hi_u32 s18, s42, s44
	s_mul_i32 s31, s43, s44
	s_wait_alu 0xfffe
	s_add_nc_u64 s[46:47], s[18:19], s[46:47]
	s_mul_hi_u32 s2, s43, s44
	s_mul_hi_u32 s35, s43, s45
	s_wait_alu 0xfffe
	s_add_co_u32 s18, s46, s31
	s_add_co_ci_u32 s18, s47, s2
	s_mul_i32 s44, s43, s45
	s_add_co_ci_u32 s45, s35, 0
	s_wait_alu 0xfffe
	s_add_nc_u64 s[44:45], s[18:19], s[44:45]
	s_wait_alu 0xfffe
	s_add_co_u32 s2, s42, s44
	s_cselect_b32 s18, -1, 0
	s_wait_alu 0xfffe
	v_mul_hi_u32 v9, v5, s2
	s_cmp_lg_u32 s18, 0
	v_mad_co_u64_u32 v[13:14], null, v7, s2, 0
	s_add_co_ci_u32 s18, s43, s45
	s_wait_alu 0xfffe
	v_mad_co_u64_u32 v[11:12], null, v5, s18, 0
	v_mad_co_u64_u32 v[15:16], null, v7, s18, 0
	s_delay_alu instid0(VALU_DEP_2) | instskip(SKIP_1) | instid1(VALU_DEP_3)
	v_add_co_u32 v9, vcc_lo, v9, v11
	s_wait_alu 0xfffd
	v_add_co_ci_u32_e64 v11, null, 0, v12, vcc_lo
	s_delay_alu instid0(VALU_DEP_2) | instskip(SKIP_1) | instid1(VALU_DEP_2)
	v_add_co_u32 v9, vcc_lo, v9, v13
	s_wait_alu 0xfffd
	v_add_co_ci_u32_e32 v9, vcc_lo, v11, v14, vcc_lo
	s_wait_alu 0xfffd
	v_add_co_ci_u32_e32 v11, vcc_lo, 0, v16, vcc_lo
	s_delay_alu instid0(VALU_DEP_2) | instskip(SKIP_1) | instid1(VALU_DEP_2)
	v_add_co_u32 v9, vcc_lo, v9, v15
	s_wait_alu 0xfffd
	v_add_co_ci_u32_e64 v13, null, 0, v11, vcc_lo
	s_delay_alu instid0(VALU_DEP_2) | instskip(SKIP_1) | instid1(VALU_DEP_3)
	v_mul_lo_u32 v14, s41, v9
	v_mad_co_u64_u32 v[11:12], null, s40, v9, 0
	v_mul_lo_u32 v15, s40, v13
	s_delay_alu instid0(VALU_DEP_2) | instskip(NEXT) | instid1(VALU_DEP_2)
	v_sub_co_u32 v5, vcc_lo, v5, v11
	v_add3_u32 v12, v12, v15, v14
	s_delay_alu instid0(VALU_DEP_1) | instskip(SKIP_2) | instid1(VALU_DEP_2)
	v_sub_nc_u32_e32 v14, v7, v12
	s_wait_alu 0xfffd
	v_sub_co_ci_u32_e64 v7, null, v7, v12, vcc_lo
	v_subrev_co_ci_u32_e64 v11, null, s41, v14, vcc_lo
	v_add_co_u32 v14, s2, v9, 2
	s_wait_alu 0xf1ff
	v_add_co_ci_u32_e64 v15, null, 0, v13, s2
	v_sub_co_u32 v16, s2, v5, s40
	s_wait_alu 0xf1ff
	v_subrev_co_ci_u32_e64 v11, null, 0, v11, s2
	s_delay_alu instid0(VALU_DEP_2) | instskip(SKIP_2) | instid1(VALU_DEP_3)
	v_cmp_le_u32_e32 vcc_lo, s40, v16
	s_wait_alu 0xfffd
	v_cndmask_b32_e64 v12, 0, -1, vcc_lo
	v_cmp_le_u32_e32 vcc_lo, s41, v11
	s_wait_alu 0xfffd
	v_cndmask_b32_e64 v16, 0, -1, vcc_lo
	;; [unrolled: 3-line block ×4, first 2 shown]
	v_cmp_eq_u32_e32 vcc_lo, s41, v11
	s_wait_alu 0xfffd
	v_cndmask_b32_e32 v11, v16, v12, vcc_lo
	v_add_co_u32 v12, vcc_lo, v9, 1
	s_wait_alu 0xfffd
	v_add_co_ci_u32_e64 v16, null, 0, v13, vcc_lo
	v_cmp_eq_u32_e32 vcc_lo, s41, v7
	s_wait_alu 0xfffd
	v_cndmask_b32_e32 v5, v17, v5, vcc_lo
	v_cmp_ne_u32_e32 vcc_lo, 0, v11
	s_delay_alu instid0(VALU_DEP_2) | instskip(SKIP_4) | instid1(VALU_DEP_2)
	v_cmp_ne_u32_e64 s2, 0, v5
	s_wait_alu 0xfffd
	v_cndmask_b32_e32 v5, v12, v14, vcc_lo
	v_cndmask_b32_e32 v7, v16, v15, vcc_lo
	s_wait_alu 0xf1ff
	v_cndmask_b32_e64 v5, v9, v5, s2
	s_delay_alu instid0(VALU_DEP_2) | instskip(NEXT) | instid1(VALU_DEP_2)
	v_cndmask_b32_e64 v7, v13, v7, s2
	v_xor_b32_e32 v5, v5, v3
	s_delay_alu instid0(VALU_DEP_2) | instskip(NEXT) | instid1(VALU_DEP_2)
	v_xor_b32_e32 v7, v7, v3
	v_sub_co_u32 v12, vcc_lo, v5, v3
	s_wait_alu 0xfffd
	s_delay_alu instid0(VALU_DEP_2)
	v_sub_co_ci_u32_e64 v13, null, v7, v3, vcc_lo
.LBB64_32:                              ;   in Loop: Header=BB64_22 Depth=2
	s_wait_alu 0xfffe
	s_and_not1_saveexec_b32 s2, s27
	s_cbranch_execz .LBB64_34
; %bb.33:                               ;   in Loop: Header=BB64_22 Depth=2
	v_cvt_f32_u32_e32 v3, s34
	s_sub_co_i32 s18, 0, s34
	v_mov_b32_e32 v13, v2
	s_delay_alu instid0(VALU_DEP_2) | instskip(NEXT) | instid1(TRANS32_DEP_1)
	v_rcp_iflag_f32_e32 v3, v3
	v_mul_f32_e32 v3, 0x4f7ffffe, v3
	s_delay_alu instid0(VALU_DEP_1) | instskip(SKIP_1) | instid1(VALU_DEP_1)
	v_cvt_u32_f32_e32 v3, v3
	s_wait_alu 0xfffe
	v_mul_lo_u32 v5, s18, v3
	s_delay_alu instid0(VALU_DEP_1) | instskip(NEXT) | instid1(VALU_DEP_1)
	v_mul_hi_u32 v5, v3, v5
	v_add_nc_u32_e32 v3, v3, v5
	s_delay_alu instid0(VALU_DEP_1) | instskip(NEXT) | instid1(VALU_DEP_1)
	v_mul_hi_u32 v3, v10, v3
	v_mul_lo_u32 v5, v3, s34
	v_add_nc_u32_e32 v7, 1, v3
	s_delay_alu instid0(VALU_DEP_2) | instskip(NEXT) | instid1(VALU_DEP_1)
	v_sub_nc_u32_e32 v5, v10, v5
	v_cmp_le_u32_e32 vcc_lo, s34, v5
	v_subrev_nc_u32_e32 v9, s34, v5
	s_wait_alu 0xfffd
	v_cndmask_b32_e32 v3, v3, v7, vcc_lo
	s_delay_alu instid0(VALU_DEP_1) | instskip(NEXT) | instid1(VALU_DEP_3)
	v_add_nc_u32_e32 v7, 1, v3
	v_cndmask_b32_e32 v5, v5, v9, vcc_lo
	s_delay_alu instid0(VALU_DEP_1) | instskip(SKIP_1) | instid1(VALU_DEP_3)
	v_cmp_le_u32_e32 vcc_lo, s34, v5
	s_wait_alu 0xfffd
	v_cndmask_b32_e32 v12, v3, v7, vcc_lo
.LBB64_34:                              ;   in Loop: Header=BB64_22 Depth=2
	s_wait_alu 0xfffe
	s_or_b32 exec_lo, exec_lo, s2
	s_add_co_i32 s18, s26, 4
	s_add_nc_u64 s[38:39], s[0:1], s[38:39]
	s_wait_alu 0xfffe
	s_lshl_b64 s[40:41], s[18:19], 2
                                        ; implicit-def: $vgpr14_vgpr15
	s_mov_b32 s2, exec_lo
	s_wait_alu 0xfffe
	s_add_nc_u64 s[36:37], s[10:11], s[40:41]
	s_clause 0x1
	s_load_b32 s31, s[38:39], 0x6c
	s_load_b32 s36, s[36:37], 0x8
	s_wait_kmcnt 0x0
	s_ashr_i32 s37, s36, 31
	s_wait_alu 0xfffe
	v_or_b32_e32 v3, s37, v13
	s_delay_alu instid0(VALU_DEP_1)
	v_cmpx_ne_u64_e32 0, v[2:3]
	s_xor_b32 s27, exec_lo, s2
	s_cbranch_execz .LBB64_36
; %bb.35:                               ;   in Loop: Header=BB64_22 Depth=2
	s_ashr_i32 s38, s37, 31
	v_ashrrev_i32_e32 v3, 31, v13
	s_wait_alu 0xfffe
	s_mov_b32 s39, s38
	s_wait_alu 0xfffe
	s_add_nc_u64 s[42:43], s[36:37], s[38:39]
	v_add_co_u32 v5, vcc_lo, v12, v3
	s_wait_alu 0xfffe
	s_xor_b64 s[42:43], s[42:43], s[38:39]
	s_wait_alu 0xfffd
	v_add_co_ci_u32_e64 v7, null, v13, v3, vcc_lo
	s_wait_alu 0xfffe
	s_cvt_f32_u32 s2, s42
	s_cvt_f32_u32 s18, s43
	s_sub_nc_u64 s[46:47], 0, s[42:43]
	v_xor_b32_e32 v5, v5, v3
	v_xor_b32_e32 v7, v7, v3
	s_wait_alu 0xfffe
	s_fmamk_f32 s2, s18, 0x4f800000, s2
	v_xor_b32_e32 v3, s38, v3
	s_wait_alu 0xfffe
	s_delay_alu instid0(SALU_CYCLE_1) | instskip(NEXT) | instid1(TRANS32_DEP_1)
	v_s_rcp_f32 s2, s2
	s_mul_f32 s2, s2, 0x5f7ffffc
	s_wait_alu 0xfffe
	s_delay_alu instid0(SALU_CYCLE_2) | instskip(SKIP_1) | instid1(SALU_CYCLE_2)
	s_mul_f32 s18, s2, 0x2f800000
	s_wait_alu 0xfffe
	s_trunc_f32 s18, s18
	s_wait_alu 0xfffe
	s_delay_alu instid0(SALU_CYCLE_2) | instskip(SKIP_2) | instid1(SALU_CYCLE_1)
	s_fmamk_f32 s2, s18, 0xcf800000, s2
	s_cvt_u32_f32 s45, s18
	s_wait_alu 0xfffe
	s_cvt_u32_f32 s44, s2
	s_wait_alu 0xfffe
	s_delay_alu instid0(SALU_CYCLE_2)
	s_mul_u64 s[48:49], s[46:47], s[44:45]
	s_wait_alu 0xfffe
	s_mul_hi_u32 s51, s44, s49
	s_mul_i32 s50, s44, s49
	s_mul_hi_u32 s18, s44, s48
	s_mul_i32 s35, s45, s48
	s_wait_alu 0xfffe
	s_add_nc_u64 s[50:51], s[18:19], s[50:51]
	s_mul_hi_u32 s2, s45, s48
	s_mul_hi_u32 s37, s45, s49
	s_wait_alu 0xfffe
	s_add_co_u32 s18, s50, s35
	s_add_co_ci_u32 s18, s51, s2
	s_mul_i32 s48, s45, s49
	s_add_co_ci_u32 s49, s37, 0
	s_wait_alu 0xfffe
	s_add_nc_u64 s[48:49], s[18:19], s[48:49]
	s_wait_alu 0xfffe
	s_add_co_u32 s44, s44, s48
	s_cselect_b32 s2, -1, 0
	s_wait_alu 0xfffe
	s_cmp_lg_u32 s2, 0
	s_add_co_ci_u32 s45, s45, s49
	s_wait_alu 0xfffe
	s_mul_u64 s[46:47], s[46:47], s[44:45]
	s_wait_alu 0xfffe
	s_mul_hi_u32 s49, s44, s47
	s_mul_i32 s48, s44, s47
	s_mul_hi_u32 s18, s44, s46
	s_mul_i32 s35, s45, s46
	s_wait_alu 0xfffe
	s_add_nc_u64 s[48:49], s[18:19], s[48:49]
	s_mul_hi_u32 s2, s45, s46
	s_mul_hi_u32 s37, s45, s47
	s_wait_alu 0xfffe
	s_add_co_u32 s18, s48, s35
	s_add_co_ci_u32 s18, s49, s2
	s_mul_i32 s46, s45, s47
	s_add_co_ci_u32 s47, s37, 0
	s_wait_alu 0xfffe
	s_add_nc_u64 s[46:47], s[18:19], s[46:47]
	s_wait_alu 0xfffe
	s_add_co_u32 s2, s44, s46
	s_cselect_b32 s18, -1, 0
	s_wait_alu 0xfffe
	v_mul_hi_u32 v9, v5, s2
	s_cmp_lg_u32 s18, 0
	v_mad_co_u64_u32 v[15:16], null, v7, s2, 0
	s_add_co_ci_u32 s18, s45, s47
	s_wait_alu 0xfffe
	v_mad_co_u64_u32 v[13:14], null, v5, s18, 0
	v_mad_co_u64_u32 v[17:18], null, v7, s18, 0
	s_delay_alu instid0(VALU_DEP_2) | instskip(SKIP_1) | instid1(VALU_DEP_3)
	v_add_co_u32 v9, vcc_lo, v9, v13
	s_wait_alu 0xfffd
	v_add_co_ci_u32_e64 v11, null, 0, v14, vcc_lo
	s_delay_alu instid0(VALU_DEP_2) | instskip(SKIP_1) | instid1(VALU_DEP_2)
	v_add_co_u32 v9, vcc_lo, v9, v15
	s_wait_alu 0xfffd
	v_add_co_ci_u32_e32 v9, vcc_lo, v11, v16, vcc_lo
	s_wait_alu 0xfffd
	v_add_co_ci_u32_e32 v11, vcc_lo, 0, v18, vcc_lo
	s_delay_alu instid0(VALU_DEP_2) | instskip(SKIP_1) | instid1(VALU_DEP_2)
	v_add_co_u32 v9, vcc_lo, v9, v17
	s_wait_alu 0xfffd
	v_add_co_ci_u32_e64 v11, null, 0, v11, vcc_lo
	s_delay_alu instid0(VALU_DEP_2) | instskip(SKIP_1) | instid1(VALU_DEP_3)
	v_mul_lo_u32 v15, s43, v9
	v_mad_co_u64_u32 v[13:14], null, s42, v9, 0
	v_mul_lo_u32 v16, s42, v11
	s_delay_alu instid0(VALU_DEP_2) | instskip(NEXT) | instid1(VALU_DEP_2)
	v_sub_co_u32 v5, vcc_lo, v5, v13
	v_add3_u32 v14, v14, v16, v15
	s_delay_alu instid0(VALU_DEP_1) | instskip(SKIP_2) | instid1(VALU_DEP_2)
	v_sub_nc_u32_e32 v15, v7, v14
	s_wait_alu 0xfffd
	v_sub_co_ci_u32_e64 v7, null, v7, v14, vcc_lo
	v_subrev_co_ci_u32_e64 v13, null, s43, v15, vcc_lo
	v_add_co_u32 v15, s2, v9, 2
	s_wait_alu 0xf1ff
	v_add_co_ci_u32_e64 v16, null, 0, v11, s2
	v_sub_co_u32 v17, s2, v5, s42
	s_wait_alu 0xf1ff
	v_subrev_co_ci_u32_e64 v13, null, 0, v13, s2
	s_delay_alu instid0(VALU_DEP_2) | instskip(SKIP_2) | instid1(VALU_DEP_3)
	v_cmp_le_u32_e32 vcc_lo, s42, v17
	s_wait_alu 0xfffd
	v_cndmask_b32_e64 v14, 0, -1, vcc_lo
	v_cmp_le_u32_e32 vcc_lo, s43, v13
	s_wait_alu 0xfffd
	v_cndmask_b32_e64 v17, 0, -1, vcc_lo
	v_cmp_le_u32_e32 vcc_lo, s42, v5
	s_wait_alu 0xfffd
	v_cndmask_b32_e64 v5, 0, -1, vcc_lo
	v_cmp_le_u32_e32 vcc_lo, s43, v7
	s_wait_alu 0xfffd
	v_cndmask_b32_e64 v18, 0, -1, vcc_lo
	v_cmp_eq_u32_e32 vcc_lo, s43, v13
	s_wait_alu 0xfffd
	v_cndmask_b32_e32 v13, v17, v14, vcc_lo
	v_add_co_u32 v14, vcc_lo, v9, 1
	s_wait_alu 0xfffd
	v_add_co_ci_u32_e64 v17, null, 0, v11, vcc_lo
	v_cmp_eq_u32_e32 vcc_lo, s43, v7
	s_wait_alu 0xfffd
	v_cndmask_b32_e32 v5, v18, v5, vcc_lo
	v_cmp_ne_u32_e32 vcc_lo, 0, v13
	s_delay_alu instid0(VALU_DEP_2) | instskip(SKIP_4) | instid1(VALU_DEP_2)
	v_cmp_ne_u32_e64 s2, 0, v5
	s_wait_alu 0xfffd
	v_cndmask_b32_e32 v5, v14, v15, vcc_lo
	v_cndmask_b32_e32 v7, v17, v16, vcc_lo
	s_wait_alu 0xf1ff
	v_cndmask_b32_e64 v5, v9, v5, s2
	s_delay_alu instid0(VALU_DEP_2) | instskip(NEXT) | instid1(VALU_DEP_2)
	v_cndmask_b32_e64 v7, v11, v7, s2
	v_xor_b32_e32 v5, v5, v3
	s_delay_alu instid0(VALU_DEP_2) | instskip(NEXT) | instid1(VALU_DEP_2)
	v_xor_b32_e32 v7, v7, v3
	v_sub_co_u32 v14, vcc_lo, v5, v3
	s_wait_alu 0xfffd
	s_delay_alu instid0(VALU_DEP_2)
	v_sub_co_ci_u32_e64 v15, null, v7, v3, vcc_lo
.LBB64_36:                              ;   in Loop: Header=BB64_22 Depth=2
	s_wait_alu 0xfffe
	s_and_not1_saveexec_b32 s2, s27
	s_cbranch_execz .LBB64_38
; %bb.37:                               ;   in Loop: Header=BB64_22 Depth=2
	v_cvt_f32_u32_e32 v3, s36
	s_sub_co_i32 s18, 0, s36
	v_mov_b32_e32 v15, v2
	s_delay_alu instid0(VALU_DEP_2) | instskip(NEXT) | instid1(TRANS32_DEP_1)
	v_rcp_iflag_f32_e32 v3, v3
	v_mul_f32_e32 v3, 0x4f7ffffe, v3
	s_delay_alu instid0(VALU_DEP_1) | instskip(SKIP_1) | instid1(VALU_DEP_1)
	v_cvt_u32_f32_e32 v3, v3
	s_wait_alu 0xfffe
	v_mul_lo_u32 v5, s18, v3
	s_delay_alu instid0(VALU_DEP_1) | instskip(NEXT) | instid1(VALU_DEP_1)
	v_mul_hi_u32 v5, v3, v5
	v_add_nc_u32_e32 v3, v3, v5
	s_delay_alu instid0(VALU_DEP_1) | instskip(NEXT) | instid1(VALU_DEP_1)
	v_mul_hi_u32 v3, v12, v3
	v_mul_lo_u32 v5, v3, s36
	v_add_nc_u32_e32 v7, 1, v3
	s_delay_alu instid0(VALU_DEP_2) | instskip(NEXT) | instid1(VALU_DEP_1)
	v_sub_nc_u32_e32 v5, v12, v5
	v_cmp_le_u32_e32 vcc_lo, s36, v5
	v_subrev_nc_u32_e32 v9, s36, v5
	s_wait_alu 0xfffd
	v_cndmask_b32_e32 v3, v3, v7, vcc_lo
	s_delay_alu instid0(VALU_DEP_1) | instskip(NEXT) | instid1(VALU_DEP_3)
	v_add_nc_u32_e32 v7, 1, v3
	v_cndmask_b32_e32 v5, v5, v9, vcc_lo
	s_delay_alu instid0(VALU_DEP_1) | instskip(SKIP_1) | instid1(VALU_DEP_3)
	v_cmp_le_u32_e32 vcc_lo, s36, v5
	s_wait_alu 0xfffd
	v_cndmask_b32_e32 v14, v3, v7, vcc_lo
.LBB64_38:                              ;   in Loop: Header=BB64_22 Depth=2
	s_wait_alu 0xfffe
	s_or_b32 exec_lo, exec_lo, s2
	s_add_co_i32 s18, s26, 3
	s_add_nc_u64 s[40:41], s[0:1], s[40:41]
	s_wait_alu 0xfffe
	s_lshl_b64 s[42:43], s[18:19], 2
                                        ; implicit-def: $vgpr16_vgpr17
	s_mov_b32 s2, exec_lo
	s_wait_alu 0xfffe
	s_add_nc_u64 s[38:39], s[10:11], s[42:43]
	s_clause 0x1
	s_load_b32 s35, s[40:41], 0x6c
	s_load_b32 s38, s[38:39], 0x8
	s_wait_kmcnt 0x0
	s_ashr_i32 s39, s38, 31
	s_wait_alu 0xfffe
	v_or_b32_e32 v3, s39, v15
	s_delay_alu instid0(VALU_DEP_1)
	v_cmpx_ne_u64_e32 0, v[2:3]
	s_xor_b32 s27, exec_lo, s2
	s_cbranch_execz .LBB64_40
; %bb.39:                               ;   in Loop: Header=BB64_22 Depth=2
	s_ashr_i32 s40, s39, 31
	v_ashrrev_i32_e32 v3, 31, v15
	s_wait_alu 0xfffe
	s_mov_b32 s41, s40
	s_wait_alu 0xfffe
	s_add_nc_u64 s[44:45], s[38:39], s[40:41]
	v_add_co_u32 v5, vcc_lo, v14, v3
	s_wait_alu 0xfffe
	s_xor_b64 s[44:45], s[44:45], s[40:41]
	s_wait_alu 0xfffd
	v_add_co_ci_u32_e64 v7, null, v15, v3, vcc_lo
	s_wait_alu 0xfffe
	s_cvt_f32_u32 s2, s44
	s_cvt_f32_u32 s18, s45
	s_sub_nc_u64 s[48:49], 0, s[44:45]
	v_xor_b32_e32 v5, v5, v3
	v_xor_b32_e32 v7, v7, v3
	s_wait_alu 0xfffe
	s_fmamk_f32 s2, s18, 0x4f800000, s2
	v_xor_b32_e32 v3, s40, v3
	s_wait_alu 0xfffe
	s_delay_alu instid0(SALU_CYCLE_1) | instskip(NEXT) | instid1(TRANS32_DEP_1)
	v_s_rcp_f32 s2, s2
	s_mul_f32 s2, s2, 0x5f7ffffc
	s_wait_alu 0xfffe
	s_delay_alu instid0(SALU_CYCLE_2) | instskip(SKIP_1) | instid1(SALU_CYCLE_2)
	s_mul_f32 s18, s2, 0x2f800000
	s_wait_alu 0xfffe
	s_trunc_f32 s18, s18
	s_wait_alu 0xfffe
	s_delay_alu instid0(SALU_CYCLE_2) | instskip(SKIP_2) | instid1(SALU_CYCLE_1)
	s_fmamk_f32 s2, s18, 0xcf800000, s2
	s_cvt_u32_f32 s47, s18
	s_wait_alu 0xfffe
	s_cvt_u32_f32 s46, s2
	s_wait_alu 0xfffe
	s_delay_alu instid0(SALU_CYCLE_2)
	s_mul_u64 s[50:51], s[48:49], s[46:47]
	s_wait_alu 0xfffe
	s_mul_hi_u32 s59, s46, s51
	s_mul_i32 s58, s46, s51
	s_mul_hi_u32 s18, s46, s50
	s_mul_i32 s37, s47, s50
	s_wait_alu 0xfffe
	s_add_nc_u64 s[58:59], s[18:19], s[58:59]
	s_mul_hi_u32 s2, s47, s50
	s_mul_hi_u32 s39, s47, s51
	s_add_co_u32 s18, s58, s37
	s_wait_alu 0xfffe
	s_add_co_ci_u32 s18, s59, s2
	s_mul_i32 s50, s47, s51
	s_add_co_ci_u32 s51, s39, 0
	s_wait_alu 0xfffe
	s_add_nc_u64 s[50:51], s[18:19], s[50:51]
	s_wait_alu 0xfffe
	s_add_co_u32 s46, s46, s50
	s_cselect_b32 s2, -1, 0
	s_wait_alu 0xfffe
	s_cmp_lg_u32 s2, 0
	s_add_co_ci_u32 s47, s47, s51
	s_wait_alu 0xfffe
	s_mul_u64 s[48:49], s[48:49], s[46:47]
	s_wait_alu 0xfffe
	s_mul_hi_u32 s51, s46, s49
	s_mul_i32 s50, s46, s49
	s_mul_hi_u32 s18, s46, s48
	s_mul_i32 s37, s47, s48
	s_wait_alu 0xfffe
	s_add_nc_u64 s[50:51], s[18:19], s[50:51]
	s_mul_hi_u32 s2, s47, s48
	s_mul_hi_u32 s39, s47, s49
	s_wait_alu 0xfffe
	s_add_co_u32 s18, s50, s37
	s_add_co_ci_u32 s18, s51, s2
	s_mul_i32 s48, s47, s49
	s_add_co_ci_u32 s49, s39, 0
	s_wait_alu 0xfffe
	s_add_nc_u64 s[48:49], s[18:19], s[48:49]
	s_wait_alu 0xfffe
	s_add_co_u32 s2, s46, s48
	s_cselect_b32 s18, -1, 0
	s_wait_alu 0xfffe
	v_mul_hi_u32 v9, v5, s2
	s_cmp_lg_u32 s18, 0
	v_mad_co_u64_u32 v[17:18], null, v7, s2, 0
	s_add_co_ci_u32 s18, s47, s49
	s_wait_alu 0xfffe
	v_mad_co_u64_u32 v[15:16], null, v5, s18, 0
	v_mad_co_u64_u32 v[19:20], null, v7, s18, 0
	s_delay_alu instid0(VALU_DEP_2) | instskip(SKIP_1) | instid1(VALU_DEP_3)
	v_add_co_u32 v9, vcc_lo, v9, v15
	s_wait_alu 0xfffd
	v_add_co_ci_u32_e64 v11, null, 0, v16, vcc_lo
	s_delay_alu instid0(VALU_DEP_2) | instskip(SKIP_1) | instid1(VALU_DEP_2)
	v_add_co_u32 v9, vcc_lo, v9, v17
	s_wait_alu 0xfffd
	v_add_co_ci_u32_e32 v9, vcc_lo, v11, v18, vcc_lo
	s_wait_alu 0xfffd
	v_add_co_ci_u32_e32 v11, vcc_lo, 0, v20, vcc_lo
	s_delay_alu instid0(VALU_DEP_2) | instskip(SKIP_1) | instid1(VALU_DEP_2)
	v_add_co_u32 v9, vcc_lo, v9, v19
	s_wait_alu 0xfffd
	v_add_co_ci_u32_e64 v11, null, 0, v11, vcc_lo
	s_delay_alu instid0(VALU_DEP_2) | instskip(SKIP_1) | instid1(VALU_DEP_3)
	v_mul_lo_u32 v13, s45, v9
	v_mad_co_u64_u32 v[15:16], null, s44, v9, 0
	v_mul_lo_u32 v17, s44, v11
	s_delay_alu instid0(VALU_DEP_2) | instskip(NEXT) | instid1(VALU_DEP_2)
	v_sub_co_u32 v5, vcc_lo, v5, v15
	v_add3_u32 v13, v16, v17, v13
	s_delay_alu instid0(VALU_DEP_1) | instskip(SKIP_2) | instid1(VALU_DEP_2)
	v_sub_nc_u32_e32 v16, v7, v13
	s_wait_alu 0xfffd
	v_sub_co_ci_u32_e64 v7, null, v7, v13, vcc_lo
	v_subrev_co_ci_u32_e64 v15, null, s45, v16, vcc_lo
	v_add_co_u32 v16, s2, v9, 2
	s_wait_alu 0xf1ff
	v_add_co_ci_u32_e64 v17, null, 0, v11, s2
	v_sub_co_u32 v18, s2, v5, s44
	s_wait_alu 0xf1ff
	v_subrev_co_ci_u32_e64 v15, null, 0, v15, s2
	s_delay_alu instid0(VALU_DEP_2) | instskip(SKIP_2) | instid1(VALU_DEP_3)
	v_cmp_le_u32_e32 vcc_lo, s44, v18
	s_wait_alu 0xfffd
	v_cndmask_b32_e64 v13, 0, -1, vcc_lo
	v_cmp_le_u32_e32 vcc_lo, s45, v15
	s_wait_alu 0xfffd
	v_cndmask_b32_e64 v18, 0, -1, vcc_lo
	;; [unrolled: 3-line block ×4, first 2 shown]
	v_cmp_eq_u32_e32 vcc_lo, s45, v15
	s_wait_alu 0xfffd
	v_cndmask_b32_e32 v13, v18, v13, vcc_lo
	v_add_co_u32 v15, vcc_lo, v9, 1
	s_wait_alu 0xfffd
	v_add_co_ci_u32_e64 v18, null, 0, v11, vcc_lo
	v_cmp_eq_u32_e32 vcc_lo, s45, v7
	s_wait_alu 0xfffd
	v_cndmask_b32_e32 v5, v19, v5, vcc_lo
	v_cmp_ne_u32_e32 vcc_lo, 0, v13
	s_delay_alu instid0(VALU_DEP_2) | instskip(SKIP_4) | instid1(VALU_DEP_2)
	v_cmp_ne_u32_e64 s2, 0, v5
	s_wait_alu 0xfffd
	v_cndmask_b32_e32 v5, v15, v16, vcc_lo
	v_cndmask_b32_e32 v7, v18, v17, vcc_lo
	s_wait_alu 0xf1ff
	v_cndmask_b32_e64 v5, v9, v5, s2
	s_delay_alu instid0(VALU_DEP_2) | instskip(NEXT) | instid1(VALU_DEP_2)
	v_cndmask_b32_e64 v7, v11, v7, s2
	v_xor_b32_e32 v5, v5, v3
	s_delay_alu instid0(VALU_DEP_2) | instskip(NEXT) | instid1(VALU_DEP_2)
	v_xor_b32_e32 v7, v7, v3
	v_sub_co_u32 v16, vcc_lo, v5, v3
	s_wait_alu 0xfffd
	s_delay_alu instid0(VALU_DEP_2)
	v_sub_co_ci_u32_e64 v17, null, v7, v3, vcc_lo
.LBB64_40:                              ;   in Loop: Header=BB64_22 Depth=2
	s_wait_alu 0xfffe
	s_and_not1_saveexec_b32 s2, s27
	s_cbranch_execz .LBB64_42
; %bb.41:                               ;   in Loop: Header=BB64_22 Depth=2
	v_cvt_f32_u32_e32 v3, s38
	s_sub_co_i32 s18, 0, s38
	v_mov_b32_e32 v17, v2
	s_delay_alu instid0(VALU_DEP_2) | instskip(NEXT) | instid1(TRANS32_DEP_1)
	v_rcp_iflag_f32_e32 v3, v3
	v_mul_f32_e32 v3, 0x4f7ffffe, v3
	s_delay_alu instid0(VALU_DEP_1) | instskip(SKIP_1) | instid1(VALU_DEP_1)
	v_cvt_u32_f32_e32 v3, v3
	s_wait_alu 0xfffe
	v_mul_lo_u32 v5, s18, v3
	s_delay_alu instid0(VALU_DEP_1) | instskip(NEXT) | instid1(VALU_DEP_1)
	v_mul_hi_u32 v5, v3, v5
	v_add_nc_u32_e32 v3, v3, v5
	s_delay_alu instid0(VALU_DEP_1) | instskip(NEXT) | instid1(VALU_DEP_1)
	v_mul_hi_u32 v3, v14, v3
	v_mul_lo_u32 v5, v3, s38
	v_add_nc_u32_e32 v7, 1, v3
	s_delay_alu instid0(VALU_DEP_2) | instskip(NEXT) | instid1(VALU_DEP_1)
	v_sub_nc_u32_e32 v5, v14, v5
	v_cmp_le_u32_e32 vcc_lo, s38, v5
	v_subrev_nc_u32_e32 v9, s38, v5
	s_wait_alu 0xfffd
	v_cndmask_b32_e32 v3, v3, v7, vcc_lo
	s_delay_alu instid0(VALU_DEP_1) | instskip(NEXT) | instid1(VALU_DEP_3)
	v_add_nc_u32_e32 v7, 1, v3
	v_cndmask_b32_e32 v5, v5, v9, vcc_lo
	s_delay_alu instid0(VALU_DEP_1) | instskip(SKIP_1) | instid1(VALU_DEP_3)
	v_cmp_le_u32_e32 vcc_lo, s38, v5
	s_wait_alu 0xfffd
	v_cndmask_b32_e32 v16, v3, v7, vcc_lo
.LBB64_42:                              ;   in Loop: Header=BB64_22 Depth=2
	s_wait_alu 0xfffe
	s_or_b32 exec_lo, exec_lo, s2
	s_add_co_i32 s18, s26, 2
	s_add_nc_u64 s[42:43], s[0:1], s[42:43]
	s_wait_alu 0xfffe
	s_lshl_b64 s[44:45], s[18:19], 2
                                        ; implicit-def: $vgpr18_vgpr19
	s_mov_b32 s2, exec_lo
	s_wait_alu 0xfffe
	s_add_nc_u64 s[40:41], s[10:11], s[44:45]
	s_clause 0x1
	s_load_b32 s37, s[42:43], 0x6c
	s_load_b32 s40, s[40:41], 0x8
	s_wait_kmcnt 0x0
	s_ashr_i32 s41, s40, 31
	s_wait_alu 0xfffe
	v_or_b32_e32 v3, s41, v17
	s_delay_alu instid0(VALU_DEP_1)
	v_cmpx_ne_u64_e32 0, v[2:3]
	s_xor_b32 s27, exec_lo, s2
	s_cbranch_execz .LBB64_44
; %bb.43:                               ;   in Loop: Header=BB64_22 Depth=2
	s_ashr_i32 s42, s41, 31
	v_ashrrev_i32_e32 v3, 31, v17
	s_wait_alu 0xfffe
	s_mov_b32 s43, s42
	s_wait_alu 0xfffe
	s_add_nc_u64 s[46:47], s[40:41], s[42:43]
	v_add_co_u32 v5, vcc_lo, v16, v3
	s_wait_alu 0xfffe
	s_xor_b64 s[46:47], s[46:47], s[42:43]
	s_wait_alu 0xfffd
	v_add_co_ci_u32_e64 v7, null, v17, v3, vcc_lo
	s_wait_alu 0xfffe
	s_cvt_f32_u32 s2, s46
	s_cvt_f32_u32 s18, s47
	s_sub_nc_u64 s[50:51], 0, s[46:47]
	v_xor_b32_e32 v5, v5, v3
	v_xor_b32_e32 v7, v7, v3
	s_wait_alu 0xfffe
	s_fmamk_f32 s2, s18, 0x4f800000, s2
	v_xor_b32_e32 v3, s42, v3
	s_wait_alu 0xfffe
	s_delay_alu instid0(SALU_CYCLE_1) | instskip(NEXT) | instid1(TRANS32_DEP_1)
	v_s_rcp_f32 s2, s2
	s_mul_f32 s2, s2, 0x5f7ffffc
	s_wait_alu 0xfffe
	s_delay_alu instid0(SALU_CYCLE_2) | instskip(SKIP_1) | instid1(SALU_CYCLE_2)
	s_mul_f32 s18, s2, 0x2f800000
	s_wait_alu 0xfffe
	s_trunc_f32 s18, s18
	s_wait_alu 0xfffe
	s_delay_alu instid0(SALU_CYCLE_2) | instskip(SKIP_2) | instid1(SALU_CYCLE_1)
	s_fmamk_f32 s2, s18, 0xcf800000, s2
	s_cvt_u32_f32 s49, s18
	s_wait_alu 0xfffe
	s_cvt_u32_f32 s48, s2
	s_wait_alu 0xfffe
	s_delay_alu instid0(SALU_CYCLE_2) | instskip(NEXT) | instid1(SALU_CYCLE_1)
	s_mul_u64 s[58:59], s[50:51], s[48:49]
	s_mul_hi_u32 s61, s48, s59
	s_mul_i32 s60, s48, s59
	s_mul_hi_u32 s18, s48, s58
	s_mul_i32 s39, s49, s58
	s_wait_alu 0xfffe
	s_add_nc_u64 s[60:61], s[18:19], s[60:61]
	s_mul_hi_u32 s2, s49, s58
	s_mul_hi_u32 s41, s49, s59
	s_add_co_u32 s18, s60, s39
	s_wait_alu 0xfffe
	s_add_co_ci_u32 s18, s61, s2
	s_mul_i32 s58, s49, s59
	s_add_co_ci_u32 s59, s41, 0
	s_wait_alu 0xfffe
	s_add_nc_u64 s[58:59], s[18:19], s[58:59]
	s_delay_alu instid0(SALU_CYCLE_1)
	s_add_co_u32 s48, s48, s58
	s_cselect_b32 s2, -1, 0
	s_wait_alu 0xfffe
	s_cmp_lg_u32 s2, 0
	s_add_co_ci_u32 s49, s49, s59
	s_wait_alu 0xfffe
	s_mul_u64 s[50:51], s[50:51], s[48:49]
	s_wait_alu 0xfffe
	s_mul_hi_u32 s59, s48, s51
	s_mul_i32 s58, s48, s51
	s_mul_hi_u32 s18, s48, s50
	s_mul_i32 s39, s49, s50
	s_wait_alu 0xfffe
	s_add_nc_u64 s[58:59], s[18:19], s[58:59]
	s_mul_hi_u32 s2, s49, s50
	s_mul_hi_u32 s41, s49, s51
	s_add_co_u32 s18, s58, s39
	s_wait_alu 0xfffe
	s_add_co_ci_u32 s18, s59, s2
	s_mul_i32 s50, s49, s51
	s_add_co_ci_u32 s51, s41, 0
	s_wait_alu 0xfffe
	s_add_nc_u64 s[50:51], s[18:19], s[50:51]
	s_wait_alu 0xfffe
	s_add_co_u32 s2, s48, s50
	s_cselect_b32 s18, -1, 0
	s_wait_alu 0xfffe
	v_mul_hi_u32 v9, v5, s2
	s_cmp_lg_u32 s18, 0
	v_mad_co_u64_u32 v[19:20], null, v7, s2, 0
	s_add_co_ci_u32 s18, s49, s51
	s_wait_alu 0xfffe
	v_mad_co_u64_u32 v[17:18], null, v5, s18, 0
	v_mad_co_u64_u32 v[21:22], null, v7, s18, 0
	s_delay_alu instid0(VALU_DEP_2) | instskip(SKIP_1) | instid1(VALU_DEP_3)
	v_add_co_u32 v9, vcc_lo, v9, v17
	s_wait_alu 0xfffd
	v_add_co_ci_u32_e64 v11, null, 0, v18, vcc_lo
	s_delay_alu instid0(VALU_DEP_2) | instskip(SKIP_1) | instid1(VALU_DEP_2)
	v_add_co_u32 v9, vcc_lo, v9, v19
	s_wait_alu 0xfffd
	v_add_co_ci_u32_e32 v9, vcc_lo, v11, v20, vcc_lo
	s_wait_alu 0xfffd
	v_add_co_ci_u32_e32 v11, vcc_lo, 0, v22, vcc_lo
	s_delay_alu instid0(VALU_DEP_2) | instskip(SKIP_1) | instid1(VALU_DEP_2)
	v_add_co_u32 v9, vcc_lo, v9, v21
	s_wait_alu 0xfffd
	v_add_co_ci_u32_e64 v11, null, 0, v11, vcc_lo
	s_delay_alu instid0(VALU_DEP_2) | instskip(SKIP_1) | instid1(VALU_DEP_3)
	v_mul_lo_u32 v13, s47, v9
	v_mad_co_u64_u32 v[17:18], null, s46, v9, 0
	v_mul_lo_u32 v15, s46, v11
	s_delay_alu instid0(VALU_DEP_2) | instskip(NEXT) | instid1(VALU_DEP_2)
	v_sub_co_u32 v5, vcc_lo, v5, v17
	v_add3_u32 v13, v18, v15, v13
	v_add_co_u32 v17, s2, v9, 2
	s_wait_alu 0xf1ff
	v_add_co_ci_u32_e64 v18, null, 0, v11, s2
	s_delay_alu instid0(VALU_DEP_3) | instskip(SKIP_3) | instid1(VALU_DEP_3)
	v_sub_nc_u32_e32 v15, v7, v13
	v_sub_co_u32 v19, s2, v5, s46
	s_wait_alu 0xfffd
	v_sub_co_ci_u32_e64 v7, null, v7, v13, vcc_lo
	v_subrev_co_ci_u32_e64 v15, null, s47, v15, vcc_lo
	s_delay_alu instid0(VALU_DEP_3) | instskip(SKIP_1) | instid1(VALU_DEP_2)
	v_cmp_le_u32_e32 vcc_lo, s46, v19
	s_wait_alu 0xf1ff
	v_subrev_co_ci_u32_e64 v15, null, 0, v15, s2
	s_wait_alu 0xfffd
	v_cndmask_b32_e64 v13, 0, -1, vcc_lo
	s_delay_alu instid0(VALU_DEP_2)
	v_cmp_le_u32_e32 vcc_lo, s47, v15
	s_wait_alu 0xfffd
	v_cndmask_b32_e64 v19, 0, -1, vcc_lo
	v_cmp_le_u32_e32 vcc_lo, s46, v5
	s_wait_alu 0xfffd
	v_cndmask_b32_e64 v5, 0, -1, vcc_lo
	;; [unrolled: 3-line block ×3, first 2 shown]
	v_cmp_eq_u32_e32 vcc_lo, s47, v15
	s_wait_alu 0xfffd
	v_cndmask_b32_e32 v13, v19, v13, vcc_lo
	v_add_co_u32 v15, vcc_lo, v9, 1
	s_wait_alu 0xfffd
	v_add_co_ci_u32_e64 v19, null, 0, v11, vcc_lo
	v_cmp_eq_u32_e32 vcc_lo, s47, v7
	s_wait_alu 0xfffd
	v_cndmask_b32_e32 v5, v20, v5, vcc_lo
	v_cmp_ne_u32_e32 vcc_lo, 0, v13
	s_delay_alu instid0(VALU_DEP_2) | instskip(SKIP_4) | instid1(VALU_DEP_2)
	v_cmp_ne_u32_e64 s2, 0, v5
	s_wait_alu 0xfffd
	v_cndmask_b32_e32 v5, v15, v17, vcc_lo
	v_cndmask_b32_e32 v7, v19, v18, vcc_lo
	s_wait_alu 0xf1ff
	v_cndmask_b32_e64 v5, v9, v5, s2
	s_delay_alu instid0(VALU_DEP_2) | instskip(NEXT) | instid1(VALU_DEP_2)
	v_cndmask_b32_e64 v7, v11, v7, s2
	v_xor_b32_e32 v5, v5, v3
	s_delay_alu instid0(VALU_DEP_2) | instskip(NEXT) | instid1(VALU_DEP_2)
	v_xor_b32_e32 v7, v7, v3
	v_sub_co_u32 v18, vcc_lo, v5, v3
	s_wait_alu 0xfffd
	s_delay_alu instid0(VALU_DEP_2)
	v_sub_co_ci_u32_e64 v19, null, v7, v3, vcc_lo
.LBB64_44:                              ;   in Loop: Header=BB64_22 Depth=2
	s_wait_alu 0xfffe
	s_and_not1_saveexec_b32 s2, s27
	s_cbranch_execz .LBB64_46
; %bb.45:                               ;   in Loop: Header=BB64_22 Depth=2
	v_cvt_f32_u32_e32 v3, s40
	s_sub_co_i32 s18, 0, s40
	v_mov_b32_e32 v19, v2
	s_delay_alu instid0(VALU_DEP_2) | instskip(NEXT) | instid1(TRANS32_DEP_1)
	v_rcp_iflag_f32_e32 v3, v3
	v_mul_f32_e32 v3, 0x4f7ffffe, v3
	s_delay_alu instid0(VALU_DEP_1) | instskip(SKIP_1) | instid1(VALU_DEP_1)
	v_cvt_u32_f32_e32 v3, v3
	s_wait_alu 0xfffe
	v_mul_lo_u32 v5, s18, v3
	s_delay_alu instid0(VALU_DEP_1) | instskip(NEXT) | instid1(VALU_DEP_1)
	v_mul_hi_u32 v5, v3, v5
	v_add_nc_u32_e32 v3, v3, v5
	s_delay_alu instid0(VALU_DEP_1) | instskip(NEXT) | instid1(VALU_DEP_1)
	v_mul_hi_u32 v3, v16, v3
	v_mul_lo_u32 v5, v3, s40
	v_add_nc_u32_e32 v7, 1, v3
	s_delay_alu instid0(VALU_DEP_2) | instskip(NEXT) | instid1(VALU_DEP_1)
	v_sub_nc_u32_e32 v5, v16, v5
	v_cmp_le_u32_e32 vcc_lo, s40, v5
	v_subrev_nc_u32_e32 v9, s40, v5
	s_wait_alu 0xfffd
	v_cndmask_b32_e32 v3, v3, v7, vcc_lo
	s_delay_alu instid0(VALU_DEP_1) | instskip(NEXT) | instid1(VALU_DEP_3)
	v_add_nc_u32_e32 v7, 1, v3
	v_cndmask_b32_e32 v5, v5, v9, vcc_lo
	s_delay_alu instid0(VALU_DEP_1) | instskip(SKIP_1) | instid1(VALU_DEP_3)
	v_cmp_le_u32_e32 vcc_lo, s40, v5
	s_wait_alu 0xfffd
	v_cndmask_b32_e32 v18, v3, v7, vcc_lo
.LBB64_46:                              ;   in Loop: Header=BB64_22 Depth=2
	s_wait_alu 0xfffe
	s_or_b32 exec_lo, exec_lo, s2
	s_add_co_i32 s18, s26, 1
	s_add_nc_u64 s[44:45], s[0:1], s[44:45]
	s_wait_alu 0xfffe
	s_lshl_b64 s[48:49], s[18:19], 2
                                        ; implicit-def: $vgpr20_vgpr21
	s_mov_b32 s2, exec_lo
	s_wait_alu 0xfffe
	s_add_nc_u64 s[42:43], s[10:11], s[48:49]
	s_clause 0x1
	s_load_b32 s39, s[44:45], 0x6c
	s_load_b32 s42, s[42:43], 0x8
	s_wait_kmcnt 0x0
	s_ashr_i32 s43, s42, 31
	s_wait_alu 0xfffe
	v_or_b32_e32 v3, s43, v19
	s_delay_alu instid0(VALU_DEP_1)
	v_cmpx_ne_u64_e32 0, v[2:3]
	s_xor_b32 s27, exec_lo, s2
	s_cbranch_execz .LBB64_48
; %bb.47:                               ;   in Loop: Header=BB64_22 Depth=2
	s_ashr_i32 s44, s43, 31
	v_ashrrev_i32_e32 v3, 31, v19
	s_wait_alu 0xfffe
	s_mov_b32 s45, s44
	s_wait_alu 0xfffe
	s_add_nc_u64 s[46:47], s[42:43], s[44:45]
	v_add_co_u32 v5, vcc_lo, v18, v3
	s_wait_alu 0xfffe
	s_xor_b64 s[46:47], s[46:47], s[44:45]
	s_wait_alu 0xfffd
	v_add_co_ci_u32_e64 v7, null, v19, v3, vcc_lo
	s_wait_alu 0xfffe
	s_cvt_f32_u32 s2, s46
	s_cvt_f32_u32 s18, s47
	s_sub_nc_u64 s[58:59], 0, s[46:47]
	v_xor_b32_e32 v5, v5, v3
	v_xor_b32_e32 v7, v7, v3
	s_wait_alu 0xfffe
	s_fmamk_f32 s2, s18, 0x4f800000, s2
	v_xor_b32_e32 v3, s44, v3
	s_wait_alu 0xfffe
	s_delay_alu instid0(SALU_CYCLE_1) | instskip(NEXT) | instid1(TRANS32_DEP_1)
	v_s_rcp_f32 s2, s2
	s_mul_f32 s2, s2, 0x5f7ffffc
	s_wait_alu 0xfffe
	s_delay_alu instid0(SALU_CYCLE_2) | instskip(SKIP_1) | instid1(SALU_CYCLE_2)
	s_mul_f32 s18, s2, 0x2f800000
	s_wait_alu 0xfffe
	s_trunc_f32 s18, s18
	s_wait_alu 0xfffe
	s_delay_alu instid0(SALU_CYCLE_2) | instskip(SKIP_2) | instid1(SALU_CYCLE_1)
	s_fmamk_f32 s2, s18, 0xcf800000, s2
	s_cvt_u32_f32 s51, s18
	s_wait_alu 0xfffe
	s_cvt_u32_f32 s50, s2
	s_wait_alu 0xfffe
	s_delay_alu instid0(SALU_CYCLE_2) | instskip(NEXT) | instid1(SALU_CYCLE_1)
	s_mul_u64 s[60:61], s[58:59], s[50:51]
	s_mul_hi_u32 s63, s50, s61
	s_mul_i32 s62, s50, s61
	s_mul_hi_u32 s18, s50, s60
	s_mul_i32 s41, s51, s60
	s_wait_alu 0xfffe
	s_add_nc_u64 s[62:63], s[18:19], s[62:63]
	s_mul_hi_u32 s2, s51, s60
	s_mul_hi_u32 s43, s51, s61
	s_add_co_u32 s18, s62, s41
	s_wait_alu 0xfffe
	s_add_co_ci_u32 s18, s63, s2
	s_mul_i32 s60, s51, s61
	s_add_co_ci_u32 s61, s43, 0
	s_wait_alu 0xfffe
	s_add_nc_u64 s[60:61], s[18:19], s[60:61]
	s_delay_alu instid0(SALU_CYCLE_1)
	s_add_co_u32 s50, s50, s60
	s_cselect_b32 s2, -1, 0
	s_wait_alu 0xfffe
	s_cmp_lg_u32 s2, 0
	s_add_co_ci_u32 s51, s51, s61
	s_wait_alu 0xfffe
	s_mul_u64 s[58:59], s[58:59], s[50:51]
	s_delay_alu instid0(SALU_CYCLE_1)
	s_mul_hi_u32 s61, s50, s59
	s_mul_i32 s60, s50, s59
	s_mul_hi_u32 s18, s50, s58
	s_mul_i32 s41, s51, s58
	s_wait_alu 0xfffe
	s_add_nc_u64 s[60:61], s[18:19], s[60:61]
	s_mul_hi_u32 s2, s51, s58
	s_mul_hi_u32 s43, s51, s59
	s_add_co_u32 s18, s60, s41
	s_wait_alu 0xfffe
	s_add_co_ci_u32 s18, s61, s2
	s_mul_i32 s58, s51, s59
	s_add_co_ci_u32 s59, s43, 0
	s_wait_alu 0xfffe
	s_add_nc_u64 s[58:59], s[18:19], s[58:59]
	s_delay_alu instid0(SALU_CYCLE_1)
	s_add_co_u32 s2, s50, s58
	s_cselect_b32 s18, -1, 0
	s_wait_alu 0xfffe
	v_mul_hi_u32 v9, v5, s2
	s_cmp_lg_u32 s18, 0
	v_mad_co_u64_u32 v[21:22], null, v7, s2, 0
	s_add_co_ci_u32 s18, s51, s59
	s_wait_alu 0xfffe
	v_mad_co_u64_u32 v[19:20], null, v5, s18, 0
	v_mad_co_u64_u32 v[28:29], null, v7, s18, 0
	s_delay_alu instid0(VALU_DEP_2) | instskip(SKIP_1) | instid1(VALU_DEP_3)
	v_add_co_u32 v9, vcc_lo, v9, v19
	s_wait_alu 0xfffd
	v_add_co_ci_u32_e64 v11, null, 0, v20, vcc_lo
	s_delay_alu instid0(VALU_DEP_2) | instskip(SKIP_1) | instid1(VALU_DEP_2)
	v_add_co_u32 v9, vcc_lo, v9, v21
	s_wait_alu 0xfffd
	v_add_co_ci_u32_e32 v9, vcc_lo, v11, v22, vcc_lo
	s_wait_alu 0xfffd
	v_add_co_ci_u32_e32 v11, vcc_lo, 0, v29, vcc_lo
	s_delay_alu instid0(VALU_DEP_2) | instskip(SKIP_1) | instid1(VALU_DEP_2)
	v_add_co_u32 v9, vcc_lo, v9, v28
	s_wait_alu 0xfffd
	v_add_co_ci_u32_e64 v11, null, 0, v11, vcc_lo
	s_delay_alu instid0(VALU_DEP_2) | instskip(SKIP_1) | instid1(VALU_DEP_3)
	v_mul_lo_u32 v13, s47, v9
	v_mad_co_u64_u32 v[19:20], null, s46, v9, 0
	v_mul_lo_u32 v15, s46, v11
	v_add_co_u32 v17, s2, v9, 2
	s_delay_alu instid0(VALU_DEP_3) | instskip(NEXT) | instid1(VALU_DEP_3)
	v_sub_co_u32 v5, vcc_lo, v5, v19
	v_add3_u32 v13, v20, v15, v13
	s_wait_alu 0xf1ff
	v_add_co_ci_u32_e64 v19, null, 0, v11, s2
	s_delay_alu instid0(VALU_DEP_3) | instskip(NEXT) | instid1(VALU_DEP_3)
	v_sub_co_u32 v20, s2, v5, s46
	v_sub_nc_u32_e32 v15, v7, v13
	s_wait_alu 0xfffd
	v_sub_co_ci_u32_e64 v7, null, v7, v13, vcc_lo
	s_delay_alu instid0(VALU_DEP_2) | instskip(SKIP_2) | instid1(VALU_DEP_2)
	v_subrev_co_ci_u32_e64 v15, null, s47, v15, vcc_lo
	v_cmp_le_u32_e32 vcc_lo, s46, v20
	s_wait_alu 0xf1ff
	v_subrev_co_ci_u32_e64 v15, null, 0, v15, s2
	s_wait_alu 0xfffd
	v_cndmask_b32_e64 v13, 0, -1, vcc_lo
	s_delay_alu instid0(VALU_DEP_2)
	v_cmp_le_u32_e32 vcc_lo, s47, v15
	s_wait_alu 0xfffd
	v_cndmask_b32_e64 v20, 0, -1, vcc_lo
	v_cmp_le_u32_e32 vcc_lo, s46, v5
	s_wait_alu 0xfffd
	v_cndmask_b32_e64 v5, 0, -1, vcc_lo
	;; [unrolled: 3-line block ×3, first 2 shown]
	v_cmp_eq_u32_e32 vcc_lo, s47, v15
	s_wait_alu 0xfffd
	v_cndmask_b32_e32 v13, v20, v13, vcc_lo
	v_add_co_u32 v15, vcc_lo, v9, 1
	s_wait_alu 0xfffd
	v_add_co_ci_u32_e64 v20, null, 0, v11, vcc_lo
	v_cmp_eq_u32_e32 vcc_lo, s47, v7
	s_wait_alu 0xfffd
	v_cndmask_b32_e32 v5, v21, v5, vcc_lo
	v_cmp_ne_u32_e32 vcc_lo, 0, v13
	s_delay_alu instid0(VALU_DEP_2) | instskip(SKIP_4) | instid1(VALU_DEP_2)
	v_cmp_ne_u32_e64 s2, 0, v5
	s_wait_alu 0xfffd
	v_cndmask_b32_e32 v5, v15, v17, vcc_lo
	v_cndmask_b32_e32 v7, v20, v19, vcc_lo
	s_wait_alu 0xf1ff
	v_cndmask_b32_e64 v5, v9, v5, s2
	s_delay_alu instid0(VALU_DEP_2) | instskip(NEXT) | instid1(VALU_DEP_2)
	v_cndmask_b32_e64 v7, v11, v7, s2
	v_xor_b32_e32 v5, v5, v3
	s_delay_alu instid0(VALU_DEP_2) | instskip(NEXT) | instid1(VALU_DEP_2)
	v_xor_b32_e32 v7, v7, v3
	v_sub_co_u32 v20, vcc_lo, v5, v3
	s_wait_alu 0xfffd
	s_delay_alu instid0(VALU_DEP_2)
	v_sub_co_ci_u32_e64 v21, null, v7, v3, vcc_lo
.LBB64_48:                              ;   in Loop: Header=BB64_22 Depth=2
	s_wait_alu 0xfffe
	s_and_not1_saveexec_b32 s2, s27
	s_cbranch_execz .LBB64_50
; %bb.49:                               ;   in Loop: Header=BB64_22 Depth=2
	v_cvt_f32_u32_e32 v3, s42
	s_sub_co_i32 s18, 0, s42
	v_mov_b32_e32 v21, v2
	s_delay_alu instid0(VALU_DEP_2) | instskip(NEXT) | instid1(TRANS32_DEP_1)
	v_rcp_iflag_f32_e32 v3, v3
	v_mul_f32_e32 v3, 0x4f7ffffe, v3
	s_delay_alu instid0(VALU_DEP_1) | instskip(SKIP_1) | instid1(VALU_DEP_1)
	v_cvt_u32_f32_e32 v3, v3
	s_wait_alu 0xfffe
	v_mul_lo_u32 v5, s18, v3
	s_delay_alu instid0(VALU_DEP_1) | instskip(NEXT) | instid1(VALU_DEP_1)
	v_mul_hi_u32 v5, v3, v5
	v_add_nc_u32_e32 v3, v3, v5
	s_delay_alu instid0(VALU_DEP_1) | instskip(NEXT) | instid1(VALU_DEP_1)
	v_mul_hi_u32 v3, v18, v3
	v_mul_lo_u32 v5, v3, s42
	v_add_nc_u32_e32 v7, 1, v3
	s_delay_alu instid0(VALU_DEP_2) | instskip(NEXT) | instid1(VALU_DEP_1)
	v_sub_nc_u32_e32 v5, v18, v5
	v_cmp_le_u32_e32 vcc_lo, s42, v5
	v_subrev_nc_u32_e32 v9, s42, v5
	s_wait_alu 0xfffd
	v_cndmask_b32_e32 v3, v3, v7, vcc_lo
	s_delay_alu instid0(VALU_DEP_1) | instskip(NEXT) | instid1(VALU_DEP_3)
	v_add_nc_u32_e32 v7, 1, v3
	v_cndmask_b32_e32 v5, v5, v9, vcc_lo
	s_delay_alu instid0(VALU_DEP_1) | instskip(SKIP_1) | instid1(VALU_DEP_3)
	v_cmp_le_u32_e32 vcc_lo, s42, v5
	s_wait_alu 0xfffd
	v_cndmask_b32_e32 v20, v3, v7, vcc_lo
.LBB64_50:                              ;   in Loop: Header=BB64_22 Depth=2
	s_wait_alu 0xfffe
	s_or_b32 exec_lo, exec_lo, s2
	s_mov_b32 s27, s19
	s_add_nc_u64 s[48:49], s[0:1], s[48:49]
	s_wait_alu 0xfffe
	s_lshl_b64 s[46:47], s[26:27], 2
                                        ; implicit-def: $vgpr22_vgpr23
	s_mov_b32 s2, exec_lo
	s_wait_alu 0xfffe
	s_add_nc_u64 s[44:45], s[10:11], s[46:47]
	s_clause 0x1
	s_load_b32 s27, s[48:49], 0x6c
	s_load_b32 s44, s[44:45], 0x8
	s_wait_kmcnt 0x0
	s_ashr_i32 s45, s44, 31
	s_wait_alu 0xfffe
	v_or_b32_e32 v3, s45, v21
	s_delay_alu instid0(VALU_DEP_1)
	v_cmpx_ne_u64_e32 0, v[2:3]
	s_xor_b32 s41, exec_lo, s2
	s_cbranch_execz .LBB64_52
; %bb.51:                               ;   in Loop: Header=BB64_22 Depth=2
	s_ashr_i32 s48, s45, 31
	v_ashrrev_i32_e32 v3, 31, v21
	s_wait_alu 0xfffe
	s_mov_b32 s49, s48
	s_wait_alu 0xfffe
	s_add_nc_u64 s[50:51], s[44:45], s[48:49]
	v_add_co_u32 v5, vcc_lo, v20, v3
	s_wait_alu 0xfffe
	s_xor_b64 s[50:51], s[50:51], s[48:49]
	s_wait_alu 0xfffd
	v_add_co_ci_u32_e64 v7, null, v21, v3, vcc_lo
	s_wait_alu 0xfffe
	s_cvt_f32_u32 s2, s50
	s_cvt_f32_u32 s18, s51
	s_sub_nc_u64 s[60:61], 0, s[50:51]
	v_xor_b32_e32 v5, v5, v3
	v_xor_b32_e32 v7, v7, v3
	s_wait_alu 0xfffe
	s_fmamk_f32 s2, s18, 0x4f800000, s2
	v_xor_b32_e32 v3, s48, v3
	s_wait_alu 0xfffe
	s_delay_alu instid0(SALU_CYCLE_1) | instskip(NEXT) | instid1(TRANS32_DEP_1)
	v_s_rcp_f32 s2, s2
	s_mul_f32 s2, s2, 0x5f7ffffc
	s_wait_alu 0xfffe
	s_delay_alu instid0(SALU_CYCLE_2) | instskip(SKIP_1) | instid1(SALU_CYCLE_2)
	s_mul_f32 s18, s2, 0x2f800000
	s_wait_alu 0xfffe
	s_trunc_f32 s18, s18
	s_wait_alu 0xfffe
	s_delay_alu instid0(SALU_CYCLE_2) | instskip(SKIP_2) | instid1(SALU_CYCLE_1)
	s_fmamk_f32 s2, s18, 0xcf800000, s2
	s_cvt_u32_f32 s59, s18
	s_wait_alu 0xfffe
	s_cvt_u32_f32 s58, s2
	s_delay_alu instid0(SALU_CYCLE_3) | instskip(NEXT) | instid1(SALU_CYCLE_1)
	s_mul_u64 s[62:63], s[60:61], s[58:59]
	s_mul_hi_u32 s65, s58, s63
	s_mul_i32 s64, s58, s63
	s_mul_hi_u32 s18, s58, s62
	s_mul_i32 s43, s59, s62
	s_wait_alu 0xfffe
	s_add_nc_u64 s[64:65], s[18:19], s[64:65]
	s_mul_hi_u32 s2, s59, s62
	s_mul_hi_u32 s45, s59, s63
	s_add_co_u32 s18, s64, s43
	s_wait_alu 0xfffe
	s_add_co_ci_u32 s18, s65, s2
	s_mul_i32 s62, s59, s63
	s_add_co_ci_u32 s63, s45, 0
	s_wait_alu 0xfffe
	s_add_nc_u64 s[62:63], s[18:19], s[62:63]
	s_delay_alu instid0(SALU_CYCLE_1) | instskip(SKIP_4) | instid1(SALU_CYCLE_1)
	s_add_co_u32 s58, s58, s62
	s_cselect_b32 s2, -1, 0
	s_wait_alu 0xfffe
	s_cmp_lg_u32 s2, 0
	s_add_co_ci_u32 s59, s59, s63
	s_mul_u64 s[60:61], s[60:61], s[58:59]
	s_delay_alu instid0(SALU_CYCLE_1)
	s_mul_hi_u32 s63, s58, s61
	s_mul_i32 s62, s58, s61
	s_mul_hi_u32 s18, s58, s60
	s_mul_i32 s43, s59, s60
	s_wait_alu 0xfffe
	s_add_nc_u64 s[62:63], s[18:19], s[62:63]
	s_mul_hi_u32 s2, s59, s60
	s_mul_hi_u32 s45, s59, s61
	s_add_co_u32 s18, s62, s43
	s_wait_alu 0xfffe
	s_add_co_ci_u32 s18, s63, s2
	s_mul_i32 s60, s59, s61
	s_add_co_ci_u32 s61, s45, 0
	s_wait_alu 0xfffe
	s_add_nc_u64 s[60:61], s[18:19], s[60:61]
	s_delay_alu instid0(SALU_CYCLE_1)
	s_add_co_u32 s2, s58, s60
	s_cselect_b32 s18, -1, 0
	s_wait_alu 0xfffe
	v_mul_hi_u32 v9, v5, s2
	s_cmp_lg_u32 s18, 0
	v_mad_co_u64_u32 v[28:29], null, v7, s2, 0
	s_add_co_ci_u32 s18, s59, s61
	s_wait_alu 0xfffe
	v_mad_co_u64_u32 v[21:22], null, v5, s18, 0
	v_mad_co_u64_u32 v[30:31], null, v7, s18, 0
	s_delay_alu instid0(VALU_DEP_2) | instskip(SKIP_1) | instid1(VALU_DEP_3)
	v_add_co_u32 v9, vcc_lo, v9, v21
	s_wait_alu 0xfffd
	v_add_co_ci_u32_e64 v11, null, 0, v22, vcc_lo
	s_delay_alu instid0(VALU_DEP_2) | instskip(SKIP_1) | instid1(VALU_DEP_2)
	v_add_co_u32 v9, vcc_lo, v9, v28
	s_wait_alu 0xfffd
	v_add_co_ci_u32_e32 v9, vcc_lo, v11, v29, vcc_lo
	s_wait_alu 0xfffd
	v_add_co_ci_u32_e32 v11, vcc_lo, 0, v31, vcc_lo
	s_delay_alu instid0(VALU_DEP_2) | instskip(SKIP_1) | instid1(VALU_DEP_2)
	v_add_co_u32 v9, vcc_lo, v9, v30
	s_wait_alu 0xfffd
	v_add_co_ci_u32_e64 v11, null, 0, v11, vcc_lo
	s_delay_alu instid0(VALU_DEP_2) | instskip(SKIP_1) | instid1(VALU_DEP_3)
	v_mul_lo_u32 v13, s51, v9
	v_mad_co_u64_u32 v[21:22], null, s50, v9, 0
	v_mul_lo_u32 v15, s50, v11
	v_add_co_u32 v17, s2, v9, 2
	s_wait_alu 0xf1ff
	v_add_co_ci_u32_e64 v19, null, 0, v11, s2
	s_delay_alu instid0(VALU_DEP_4) | instskip(NEXT) | instid1(VALU_DEP_4)
	v_sub_co_u32 v5, vcc_lo, v5, v21
	v_add3_u32 v13, v22, v15, v13
	s_delay_alu instid0(VALU_DEP_2) | instskip(NEXT) | instid1(VALU_DEP_2)
	v_sub_co_u32 v21, s2, v5, s50
	v_sub_nc_u32_e32 v15, v7, v13
	s_wait_alu 0xfffd
	v_sub_co_ci_u32_e64 v7, null, v7, v13, vcc_lo
	s_delay_alu instid0(VALU_DEP_2) | instskip(SKIP_2) | instid1(VALU_DEP_2)
	v_subrev_co_ci_u32_e64 v15, null, s51, v15, vcc_lo
	v_cmp_le_u32_e32 vcc_lo, s50, v21
	s_wait_alu 0xf1ff
	v_subrev_co_ci_u32_e64 v15, null, 0, v15, s2
	s_wait_alu 0xfffd
	v_cndmask_b32_e64 v13, 0, -1, vcc_lo
	s_delay_alu instid0(VALU_DEP_2)
	v_cmp_le_u32_e32 vcc_lo, s51, v15
	s_wait_alu 0xfffd
	v_cndmask_b32_e64 v21, 0, -1, vcc_lo
	v_cmp_le_u32_e32 vcc_lo, s50, v5
	s_wait_alu 0xfffd
	v_cndmask_b32_e64 v5, 0, -1, vcc_lo
	;; [unrolled: 3-line block ×3, first 2 shown]
	v_cmp_eq_u32_e32 vcc_lo, s51, v15
	s_wait_alu 0xfffd
	v_cndmask_b32_e32 v13, v21, v13, vcc_lo
	v_add_co_u32 v15, vcc_lo, v9, 1
	s_wait_alu 0xfffd
	v_add_co_ci_u32_e64 v21, null, 0, v11, vcc_lo
	v_cmp_eq_u32_e32 vcc_lo, s51, v7
	s_wait_alu 0xfffd
	v_cndmask_b32_e32 v5, v22, v5, vcc_lo
	v_cmp_ne_u32_e32 vcc_lo, 0, v13
	s_delay_alu instid0(VALU_DEP_2) | instskip(SKIP_4) | instid1(VALU_DEP_2)
	v_cmp_ne_u32_e64 s2, 0, v5
	s_wait_alu 0xfffd
	v_cndmask_b32_e32 v5, v15, v17, vcc_lo
	v_cndmask_b32_e32 v7, v21, v19, vcc_lo
	s_wait_alu 0xf1ff
	v_cndmask_b32_e64 v5, v9, v5, s2
	s_delay_alu instid0(VALU_DEP_2) | instskip(NEXT) | instid1(VALU_DEP_2)
	v_cndmask_b32_e64 v7, v11, v7, s2
	v_xor_b32_e32 v5, v5, v3
	s_delay_alu instid0(VALU_DEP_2) | instskip(NEXT) | instid1(VALU_DEP_2)
	v_xor_b32_e32 v7, v7, v3
	v_sub_co_u32 v22, vcc_lo, v5, v3
	s_wait_alu 0xfffd
	s_delay_alu instid0(VALU_DEP_2)
	v_sub_co_ci_u32_e64 v23, null, v7, v3, vcc_lo
.LBB64_52:                              ;   in Loop: Header=BB64_22 Depth=2
	s_wait_alu 0xfffe
	s_and_not1_saveexec_b32 s2, s41
	s_cbranch_execz .LBB64_54
; %bb.53:                               ;   in Loop: Header=BB64_22 Depth=2
	v_cvt_f32_u32_e32 v3, s44
	s_sub_co_i32 s18, 0, s44
	v_mov_b32_e32 v23, v2
	s_delay_alu instid0(VALU_DEP_2) | instskip(NEXT) | instid1(TRANS32_DEP_1)
	v_rcp_iflag_f32_e32 v3, v3
	v_mul_f32_e32 v3, 0x4f7ffffe, v3
	s_delay_alu instid0(VALU_DEP_1) | instskip(SKIP_1) | instid1(VALU_DEP_1)
	v_cvt_u32_f32_e32 v3, v3
	s_wait_alu 0xfffe
	v_mul_lo_u32 v5, s18, v3
	s_delay_alu instid0(VALU_DEP_1) | instskip(NEXT) | instid1(VALU_DEP_1)
	v_mul_hi_u32 v5, v3, v5
	v_add_nc_u32_e32 v3, v3, v5
	s_delay_alu instid0(VALU_DEP_1) | instskip(NEXT) | instid1(VALU_DEP_1)
	v_mul_hi_u32 v3, v20, v3
	v_mul_lo_u32 v5, v3, s44
	v_add_nc_u32_e32 v7, 1, v3
	s_delay_alu instid0(VALU_DEP_2) | instskip(NEXT) | instid1(VALU_DEP_1)
	v_sub_nc_u32_e32 v5, v20, v5
	v_cmp_le_u32_e32 vcc_lo, s44, v5
	v_subrev_nc_u32_e32 v9, s44, v5
	s_wait_alu 0xfffd
	v_cndmask_b32_e32 v3, v3, v7, vcc_lo
	s_delay_alu instid0(VALU_DEP_1) | instskip(NEXT) | instid1(VALU_DEP_3)
	v_add_nc_u32_e32 v7, 1, v3
	v_cndmask_b32_e32 v5, v5, v9, vcc_lo
	s_delay_alu instid0(VALU_DEP_1) | instskip(SKIP_1) | instid1(VALU_DEP_3)
	v_cmp_le_u32_e32 vcc_lo, s44, v5
	s_wait_alu 0xfffd
	v_cndmask_b32_e32 v22, v3, v7, vcc_lo
.LBB64_54:                              ;   in Loop: Header=BB64_22 Depth=2
	s_wait_alu 0xfffe
	s_or_b32 exec_lo, exec_lo, s2
	v_mul_lo_u32 v3, v8, s28
	v_mul_lo_u32 v5, v10, s30
	;; [unrolled: 1-line block ×5, first 2 shown]
	s_add_nc_u64 s[40:41], s[0:1], s[46:47]
	v_mul_lo_u32 v11, v16, s38
	s_load_b32 s2, s[40:41], 0x6c
	v_sub_nc_u32_e32 v3, v6, v3
	v_sub_nc_u32_e32 v5, v8, v5
	;; [unrolled: 1-line block ×4, first 2 shown]
	v_mul_lo_u32 v8, v20, s42
	v_mul_lo_u32 v3, s25, v3
	;; [unrolled: 1-line block ×4, first 2 shown]
	v_sub_nc_u32_e32 v10, v14, v11
	v_sub_nc_u32_e32 v11, v16, v13
	v_mul_lo_u32 v6, s31, v6
	v_mul_lo_u32 v7, s35, v7
	s_add_co_i32 s26, s26, -8
	v_mul_lo_u32 v10, s37, v10
	v_add3_u32 v3, v3, v4, v5
	v_sub_nc_u32_e32 v4, v18, v8
	v_sub_nc_u32_e32 v5, v20, v9
	v_mul_lo_u32 v8, s39, v11
	s_wait_alu 0xfffe
	s_cmp_eq_u32 s26, -8
	v_add3_u32 v3, v6, v3, v7
	v_mul_lo_u32 v4, s27, v4
	s_wait_kmcnt 0x0
	v_mul_lo_u32 v5, s2, v5
	s_delay_alu instid0(VALU_DEP_3) | instskip(NEXT) | instid1(VALU_DEP_1)
	v_add3_u32 v3, v10, v3, v8
	v_add3_u32 v4, v4, v3, v5
	s_cbranch_scc1 .LBB64_56
; %bb.55:                               ;   in Loop: Header=BB64_22 Depth=2
	v_dual_mov_b32 v6, v22 :: v_dual_mov_b32 v7, v23
	s_branch .LBB64_22
.LBB64_56:                              ;   in Loop: Header=BB64_3 Depth=1
	s_load_b32 s2, s[12:13], 0x4
	s_wait_kmcnt 0x0
	v_cmp_gt_i32_e32 vcc_lo, s2, v27
	s_and_b32 exec_lo, exec_lo, vcc_lo
	s_cbranch_execz .LBB64_2
; %bb.57:                               ;   in Loop: Header=BB64_3 Depth=1
	v_ashrrev_i32_e32 v5, 31, v4
	v_mov_b32_e32 v3, v2
	s_delay_alu instid0(VALU_DEP_2) | instskip(SKIP_1) | instid1(VALU_DEP_2)
	v_lshlrev_b64_e32 v[6:7], 3, v[4:5]
	v_add_nc_u32_e32 v5, 1, v27
	v_add_co_u32 v6, vcc_lo, s16, v6
	s_wait_alu 0xfffd
	s_delay_alu instid0(VALU_DEP_3) | instskip(NEXT) | instid1(VALU_DEP_3)
	v_add_co_ci_u32_e64 v7, null, s17, v7, vcc_lo
	v_cmp_gt_i32_e32 vcc_lo, s2, v5
	global_store_b64 v[6:7], v[2:3], off
	s_and_b32 exec_lo, exec_lo, vcc_lo
	s_cbranch_execz .LBB64_2
; %bb.58:                               ;   in Loop: Header=BB64_3 Depth=1
	v_sub_nc_u32_e32 v5, v5, v26
	s_delay_alu instid0(VALU_DEP_1) | instskip(NEXT) | instid1(VALU_DEP_1)
	v_ashrrev_i32_e32 v6, 31, v5
	v_cmp_gt_i64_e32 vcc_lo, s[4:5], v[5:6]
	s_and_b32 exec_lo, exec_lo, vcc_lo
	s_cbranch_execz .LBB64_2
; %bb.59:                               ;   in Loop: Header=BB64_3 Depth=1
	v_add_nc_u32_e32 v3, s3, v4
	s_delay_alu instid0(VALU_DEP_1) | instskip(NEXT) | instid1(VALU_DEP_1)
	v_ashrrev_i32_e32 v4, 31, v3
	v_lshlrev_b64_e32 v[3:4], 3, v[3:4]
	s_delay_alu instid0(VALU_DEP_1) | instskip(SKIP_1) | instid1(VALU_DEP_2)
	v_add_co_u32 v5, vcc_lo, s16, v3
	s_wait_alu 0xfffd
	v_add_co_ci_u32_e64 v6, null, s17, v4, vcc_lo
	v_mov_b32_e32 v3, v2
	global_store_b64 v[5:6], v[2:3], off
	s_branch .LBB64_2
.LBB64_60:
	s_endpgm
	.section	.rodata,"a",@progbits
	.p2align	6, 0x0
	.amdhsa_kernel _ZN2at6native16triu_tril_kernelIliLb1ELi2ELb1EEEvNS_4cuda6detail10TensorInfoIT_T0_EENS4_IKS5_S6_EEllS6_
		.amdhsa_group_segment_fixed_size 0
		.amdhsa_private_segment_fixed_size 0
		.amdhsa_kernarg_size 712
		.amdhsa_user_sgpr_count 2
		.amdhsa_user_sgpr_dispatch_ptr 0
		.amdhsa_user_sgpr_queue_ptr 0
		.amdhsa_user_sgpr_kernarg_segment_ptr 1
		.amdhsa_user_sgpr_dispatch_id 0
		.amdhsa_user_sgpr_private_segment_size 0
		.amdhsa_wavefront_size32 1
		.amdhsa_uses_dynamic_stack 0
		.amdhsa_enable_private_segment 0
		.amdhsa_system_sgpr_workgroup_id_x 1
		.amdhsa_system_sgpr_workgroup_id_y 0
		.amdhsa_system_sgpr_workgroup_id_z 0
		.amdhsa_system_sgpr_workgroup_info 0
		.amdhsa_system_vgpr_workitem_id 0
		.amdhsa_next_free_vgpr 32
		.amdhsa_next_free_sgpr 66
		.amdhsa_reserve_vcc 1
		.amdhsa_float_round_mode_32 0
		.amdhsa_float_round_mode_16_64 0
		.amdhsa_float_denorm_mode_32 3
		.amdhsa_float_denorm_mode_16_64 3
		.amdhsa_fp16_overflow 0
		.amdhsa_workgroup_processor_mode 1
		.amdhsa_memory_ordered 1
		.amdhsa_forward_progress 1
		.amdhsa_inst_pref_size 95
		.amdhsa_round_robin_scheduling 0
		.amdhsa_exception_fp_ieee_invalid_op 0
		.amdhsa_exception_fp_denorm_src 0
		.amdhsa_exception_fp_ieee_div_zero 0
		.amdhsa_exception_fp_ieee_overflow 0
		.amdhsa_exception_fp_ieee_underflow 0
		.amdhsa_exception_fp_ieee_inexact 0
		.amdhsa_exception_int_div_zero 0
	.end_amdhsa_kernel
	.section	.text._ZN2at6native16triu_tril_kernelIliLb1ELi2ELb1EEEvNS_4cuda6detail10TensorInfoIT_T0_EENS4_IKS5_S6_EEllS6_,"axG",@progbits,_ZN2at6native16triu_tril_kernelIliLb1ELi2ELb1EEEvNS_4cuda6detail10TensorInfoIT_T0_EENS4_IKS5_S6_EEllS6_,comdat
.Lfunc_end64:
	.size	_ZN2at6native16triu_tril_kernelIliLb1ELi2ELb1EEEvNS_4cuda6detail10TensorInfoIT_T0_EENS4_IKS5_S6_EEllS6_, .Lfunc_end64-_ZN2at6native16triu_tril_kernelIliLb1ELi2ELb1EEEvNS_4cuda6detail10TensorInfoIT_T0_EENS4_IKS5_S6_EEllS6_
                                        ; -- End function
	.set _ZN2at6native16triu_tril_kernelIliLb1ELi2ELb1EEEvNS_4cuda6detail10TensorInfoIT_T0_EENS4_IKS5_S6_EEllS6_.num_vgpr, 32
	.set _ZN2at6native16triu_tril_kernelIliLb1ELi2ELb1EEEvNS_4cuda6detail10TensorInfoIT_T0_EENS4_IKS5_S6_EEllS6_.num_agpr, 0
	.set _ZN2at6native16triu_tril_kernelIliLb1ELi2ELb1EEEvNS_4cuda6detail10TensorInfoIT_T0_EENS4_IKS5_S6_EEllS6_.numbered_sgpr, 66
	.set _ZN2at6native16triu_tril_kernelIliLb1ELi2ELb1EEEvNS_4cuda6detail10TensorInfoIT_T0_EENS4_IKS5_S6_EEllS6_.num_named_barrier, 0
	.set _ZN2at6native16triu_tril_kernelIliLb1ELi2ELb1EEEvNS_4cuda6detail10TensorInfoIT_T0_EENS4_IKS5_S6_EEllS6_.private_seg_size, 0
	.set _ZN2at6native16triu_tril_kernelIliLb1ELi2ELb1EEEvNS_4cuda6detail10TensorInfoIT_T0_EENS4_IKS5_S6_EEllS6_.uses_vcc, 1
	.set _ZN2at6native16triu_tril_kernelIliLb1ELi2ELb1EEEvNS_4cuda6detail10TensorInfoIT_T0_EENS4_IKS5_S6_EEllS6_.uses_flat_scratch, 0
	.set _ZN2at6native16triu_tril_kernelIliLb1ELi2ELb1EEEvNS_4cuda6detail10TensorInfoIT_T0_EENS4_IKS5_S6_EEllS6_.has_dyn_sized_stack, 0
	.set _ZN2at6native16triu_tril_kernelIliLb1ELi2ELb1EEEvNS_4cuda6detail10TensorInfoIT_T0_EENS4_IKS5_S6_EEllS6_.has_recursion, 0
	.set _ZN2at6native16triu_tril_kernelIliLb1ELi2ELb1EEEvNS_4cuda6detail10TensorInfoIT_T0_EENS4_IKS5_S6_EEllS6_.has_indirect_call, 0
	.section	.AMDGPU.csdata,"",@progbits
; Kernel info:
; codeLenInByte = 12156
; TotalNumSgprs: 68
; NumVgprs: 32
; ScratchSize: 0
; MemoryBound: 0
; FloatMode: 240
; IeeeMode: 1
; LDSByteSize: 0 bytes/workgroup (compile time only)
; SGPRBlocks: 0
; VGPRBlocks: 3
; NumSGPRsForWavesPerEU: 68
; NumVGPRsForWavesPerEU: 32
; Occupancy: 16
; WaveLimiterHint : 0
; COMPUTE_PGM_RSRC2:SCRATCH_EN: 0
; COMPUTE_PGM_RSRC2:USER_SGPR: 2
; COMPUTE_PGM_RSRC2:TRAP_HANDLER: 0
; COMPUTE_PGM_RSRC2:TGID_X_EN: 1
; COMPUTE_PGM_RSRC2:TGID_Y_EN: 0
; COMPUTE_PGM_RSRC2:TGID_Z_EN: 0
; COMPUTE_PGM_RSRC2:TIDIG_COMP_CNT: 0
	.section	.text._ZN2at6native16triu_tril_kernelIliLb1ELi2ELb0EEEvNS_4cuda6detail10TensorInfoIT_T0_EENS4_IKS5_S6_EEllS6_,"axG",@progbits,_ZN2at6native16triu_tril_kernelIliLb1ELi2ELb0EEEvNS_4cuda6detail10TensorInfoIT_T0_EENS4_IKS5_S6_EEllS6_,comdat
	.protected	_ZN2at6native16triu_tril_kernelIliLb1ELi2ELb0EEEvNS_4cuda6detail10TensorInfoIT_T0_EENS4_IKS5_S6_EEllS6_ ; -- Begin function _ZN2at6native16triu_tril_kernelIliLb1ELi2ELb0EEEvNS_4cuda6detail10TensorInfoIT_T0_EENS4_IKS5_S6_EEllS6_
	.globl	_ZN2at6native16triu_tril_kernelIliLb1ELi2ELb0EEEvNS_4cuda6detail10TensorInfoIT_T0_EENS4_IKS5_S6_EEllS6_
	.p2align	8
	.type	_ZN2at6native16triu_tril_kernelIliLb1ELi2ELb0EEEvNS_4cuda6detail10TensorInfoIT_T0_EENS4_IKS5_S6_EEllS6_,@function
_ZN2at6native16triu_tril_kernelIliLb1ELi2ELb0EEEvNS_4cuda6detail10TensorInfoIT_T0_EENS4_IKS5_S6_EEllS6_: ; @_ZN2at6native16triu_tril_kernelIliLb1ELi2ELb0EEEvNS_4cuda6detail10TensorInfoIT_T0_EENS4_IKS5_S6_EEllS6_
; %bb.0:
	s_clause 0x1
	s_load_b32 s2, s[0:1], 0x1d4
	s_load_b128 s[4:7], s[0:1], 0x1b0
	v_mov_b32_e32 v2, 0
	s_delay_alu instid0(VALU_DEP_1) | instskip(SKIP_3) | instid1(VALU_DEP_1)
	v_mov_b32_e32 v1, v2
	s_wait_kmcnt 0x0
	s_and_b32 s21, s2, 0xffff
	s_mov_b32 s2, exec_lo
	v_mad_co_u64_u32 v[0:1], null, s21, ttmp9, v[0:1]
	s_delay_alu instid0(VALU_DEP_1) | instskip(NEXT) | instid1(VALU_DEP_1)
	v_lshlrev_b64_e32 v[0:1], 1, v[0:1]
	v_cmpx_gt_i64_e64 s[6:7], v[0:1]
	s_cbranch_execz .LBB65_47
; %bb.1:
	s_clause 0x2
	s_load_b32 s24, s[0:1], 0x1a8
	s_load_b32 s8, s[0:1], 0x1c0
	s_load_b64 s[10:11], s[0:1], 0xd8
	s_add_nc_u64 s[12:13], s[0:1], 0xd8
	s_add_nc_u64 s[14:15], s[0:1], 0x1c8
	s_load_b32 s26, s[14:15], 0x0
	s_load_b64 s[14:15], s[0:1], 0x0
	s_wait_kmcnt 0x0
	s_ashr_i32 s25, s24, 31
	v_cvt_f32_u32_e32 v3, s8
	s_lshl_b64 s[16:17], s[24:25], 2
	s_and_b32 s48, s24, 3
	s_add_nc_u64 s[18:19], s[12:13], s[16:17]
	s_add_nc_u64 s[22:23], s[0:1], s[16:17]
	s_load_b64 s[2:3], s[18:19], 0x0
	v_rcp_iflag_f32_e32 v3, v3
	s_clause 0x1
	s_load_b64 s[16:17], s[18:19], 0x64
	s_load_b64 s[18:19], s[22:23], 0x64
	s_mul_i32 s26, s26, s21
	s_ashr_i32 s9, s8, 31
	s_add_co_i32 s33, s24, -3
	s_lshl_b32 s50, s26, 1
	v_cmp_gt_i64_e64 s49, s[24:25], 2
	s_mov_b32 s23, 0
	v_mul_f32_e32 v3, 0x4f7ffffe, v3
	s_delay_alu instid0(VALU_DEP_1)
	v_cvt_u32_f32_e32 v18, v3
	s_wait_kmcnt 0x0
	s_mov_b32 s20, s2
	s_ashr_i32 s21, s2, 31
	s_wait_alu 0xfffe
	v_cvt_f32_u32_e32 v4, s20
	s_cmp_lg_u32 s48, 2
	s_mov_b32 s24, s17
	s_cselect_b32 s51, -1, 0
	s_cmp_gt_u32 s33, 2
	v_rcp_iflag_f32_e32 v4, v4
	s_cselect_b32 s52, -1, 0
	s_ashr_i32 s25, s17, 31
	s_ashr_i32 s27, s19, 31
	s_mov_b32 s26, s19
	s_ashr_i32 s28, s9, 31
	s_mov_b32 s17, 0
	s_delay_alu instid0(TRANS32_DEP_1) | instskip(NEXT) | instid1(VALU_DEP_1)
	v_mul_f32_e32 v3, 0x4f7ffffe, v4
	v_cvt_u32_f32_e32 v19, v3
	s_branch .LBB65_3
.LBB65_2:                               ;   in Loop: Header=BB65_3 Depth=1
	s_wait_alu 0xfffe
	s_or_b32 exec_lo, exec_lo, s2
	v_add_co_u32 v0, vcc_lo, v0, s50
	s_wait_alu 0xfffd
	v_add_co_ci_u32_e64 v1, null, 0, v1, vcc_lo
	s_delay_alu instid0(VALU_DEP_1)
	v_cmp_le_i64_e32 vcc_lo, s[6:7], v[0:1]
	s_or_b32 s17, vcc_lo, s17
	s_wait_alu 0xfffe
	s_and_not1_b32 exec_lo, exec_lo, s17
	s_cbranch_execz .LBB65_47
.LBB65_3:                               ; =>This Loop Header: Depth=1
                                        ;     Child Loop BB65_15 Depth 2
                                        ;     Child Loop BB65_20 Depth 2
	v_or_b32_e32 v3, s9, v1
                                        ; implicit-def: $vgpr4_vgpr5
	s_mov_b32 s2, exec_lo
	s_delay_alu instid0(VALU_DEP_1)
	v_cmpx_ne_u64_e32 0, v[2:3]
	s_wait_alu 0xfffe
	s_xor_b32 s19, exec_lo, s2
	s_cbranch_execz .LBB65_5
; %bb.4:                                ;   in Loop: Header=BB65_3 Depth=1
	s_mov_b32 s29, s28
	v_ashrrev_i32_e32 v9, 31, v1
	s_wait_alu 0xfffe
	s_add_nc_u64 s[30:31], s[8:9], s[28:29]
	s_wait_alu 0xfffe
	s_xor_b64 s[30:31], s[30:31], s[28:29]
	v_add_co_u32 v3, vcc_lo, v0, v9
	s_wait_alu 0xfffe
	s_cvt_f32_u32 s2, s30
	s_cvt_f32_u32 s22, s31
	s_sub_nc_u64 s[36:37], 0, s[30:31]
	s_wait_alu 0xfffd
	v_add_co_ci_u32_e64 v4, null, v1, v9, vcc_lo
	s_wait_alu 0xfffe
	s_fmamk_f32 s2, s22, 0x4f800000, s2
	v_xor_b32_e32 v10, v3, v9
	s_delay_alu instid0(VALU_DEP_2) | instskip(SKIP_2) | instid1(TRANS32_DEP_1)
	v_xor_b32_e32 v11, v4, v9
	s_wait_alu 0xfffe
	v_s_rcp_f32 s2, s2
	s_mul_f32 s2, s2, 0x5f7ffffc
	s_wait_alu 0xfffe
	s_delay_alu instid0(SALU_CYCLE_2) | instskip(SKIP_1) | instid1(SALU_CYCLE_2)
	s_mul_f32 s22, s2, 0x2f800000
	s_wait_alu 0xfffe
	s_trunc_f32 s22, s22
	s_wait_alu 0xfffe
	s_delay_alu instid0(SALU_CYCLE_2) | instskip(SKIP_2) | instid1(SALU_CYCLE_1)
	s_fmamk_f32 s2, s22, 0xcf800000, s2
	s_cvt_u32_f32 s35, s22
	s_wait_alu 0xfffe
	s_cvt_u32_f32 s34, s2
	s_wait_alu 0xfffe
	s_delay_alu instid0(SALU_CYCLE_2)
	s_mul_u64 s[38:39], s[36:37], s[34:35]
	s_wait_alu 0xfffe
	s_mul_hi_u32 s41, s34, s39
	s_mul_i32 s40, s34, s39
	s_mul_hi_u32 s22, s34, s38
	s_mul_i32 s29, s35, s38
	s_wait_alu 0xfffe
	s_add_nc_u64 s[40:41], s[22:23], s[40:41]
	s_mul_hi_u32 s2, s35, s38
	s_mul_hi_u32 s42, s35, s39
	s_wait_alu 0xfffe
	s_add_co_u32 s22, s40, s29
	s_add_co_ci_u32 s22, s41, s2
	s_mul_i32 s38, s35, s39
	s_add_co_ci_u32 s39, s42, 0
	s_wait_alu 0xfffe
	s_add_nc_u64 s[38:39], s[22:23], s[38:39]
	s_wait_alu 0xfffe
	s_add_co_u32 s34, s34, s38
	s_cselect_b32 s2, -1, 0
	s_wait_alu 0xfffe
	s_cmp_lg_u32 s2, 0
	s_add_co_ci_u32 s35, s35, s39
	s_wait_alu 0xfffe
	s_mul_u64 s[36:37], s[36:37], s[34:35]
	s_wait_alu 0xfffe
	s_mul_hi_u32 s39, s34, s37
	s_mul_i32 s38, s34, s37
	s_mul_hi_u32 s22, s34, s36
	s_mul_i32 s29, s35, s36
	s_wait_alu 0xfffe
	s_add_nc_u64 s[38:39], s[22:23], s[38:39]
	s_mul_hi_u32 s2, s35, s36
	s_mul_hi_u32 s40, s35, s37
	s_wait_alu 0xfffe
	s_add_co_u32 s22, s38, s29
	s_add_co_ci_u32 s22, s39, s2
	s_mul_i32 s36, s35, s37
	s_add_co_ci_u32 s37, s40, 0
	s_wait_alu 0xfffe
	s_add_nc_u64 s[36:37], s[22:23], s[36:37]
	s_wait_alu 0xfffe
	s_add_co_u32 s2, s34, s36
	s_cselect_b32 s22, -1, 0
	s_wait_alu 0xfffe
	v_mul_hi_u32 v12, v10, s2
	s_cmp_lg_u32 s22, 0
	v_mad_co_u64_u32 v[5:6], null, v11, s2, 0
	s_add_co_ci_u32 s22, s35, s37
	s_wait_alu 0xfffe
	v_mad_co_u64_u32 v[3:4], null, v10, s22, 0
	v_mad_co_u64_u32 v[7:8], null, v11, s22, 0
	s_delay_alu instid0(VALU_DEP_2) | instskip(SKIP_1) | instid1(VALU_DEP_3)
	v_add_co_u32 v3, vcc_lo, v12, v3
	s_wait_alu 0xfffd
	v_add_co_ci_u32_e64 v4, null, 0, v4, vcc_lo
	s_delay_alu instid0(VALU_DEP_2) | instskip(SKIP_1) | instid1(VALU_DEP_2)
	v_add_co_u32 v3, vcc_lo, v3, v5
	s_wait_alu 0xfffd
	v_add_co_ci_u32_e32 v3, vcc_lo, v4, v6, vcc_lo
	s_wait_alu 0xfffd
	v_add_co_ci_u32_e32 v4, vcc_lo, 0, v8, vcc_lo
	s_delay_alu instid0(VALU_DEP_2) | instskip(SKIP_1) | instid1(VALU_DEP_2)
	v_add_co_u32 v5, vcc_lo, v3, v7
	s_wait_alu 0xfffd
	v_add_co_ci_u32_e64 v6, null, 0, v4, vcc_lo
	s_delay_alu instid0(VALU_DEP_2) | instskip(SKIP_1) | instid1(VALU_DEP_3)
	v_mul_lo_u32 v7, s31, v5
	v_mad_co_u64_u32 v[3:4], null, s30, v5, 0
	v_mul_lo_u32 v8, s30, v6
	s_delay_alu instid0(VALU_DEP_2) | instskip(NEXT) | instid1(VALU_DEP_2)
	v_sub_co_u32 v3, vcc_lo, v10, v3
	v_add3_u32 v4, v4, v8, v7
	v_add_co_u32 v8, s2, v5, 2
	s_wait_alu 0xf1ff
	v_add_co_ci_u32_e64 v10, null, 0, v6, s2
	s_delay_alu instid0(VALU_DEP_3) | instskip(SKIP_3) | instid1(VALU_DEP_3)
	v_sub_nc_u32_e32 v7, v11, v4
	v_sub_co_u32 v12, s2, v3, s30
	s_wait_alu 0xfffd
	v_sub_co_ci_u32_e64 v4, null, v11, v4, vcc_lo
	v_subrev_co_ci_u32_e64 v7, null, s31, v7, vcc_lo
	s_delay_alu instid0(VALU_DEP_3) | instskip(SKIP_1) | instid1(VALU_DEP_2)
	v_cmp_le_u32_e32 vcc_lo, s30, v12
	s_wait_alu 0xf1ff
	v_subrev_co_ci_u32_e64 v7, null, 0, v7, s2
	s_wait_alu 0xfffd
	v_cndmask_b32_e64 v11, 0, -1, vcc_lo
	s_delay_alu instid0(VALU_DEP_2)
	v_cmp_le_u32_e32 vcc_lo, s31, v7
	s_wait_alu 0xfffd
	v_cndmask_b32_e64 v12, 0, -1, vcc_lo
	v_cmp_le_u32_e32 vcc_lo, s30, v3
	s_wait_alu 0xfffd
	v_cndmask_b32_e64 v3, 0, -1, vcc_lo
	;; [unrolled: 3-line block ×3, first 2 shown]
	v_cmp_eq_u32_e32 vcc_lo, s31, v7
	s_wait_alu 0xfffd
	v_cndmask_b32_e32 v7, v12, v11, vcc_lo
	v_add_co_u32 v11, vcc_lo, v5, 1
	s_wait_alu 0xfffd
	v_add_co_ci_u32_e64 v12, null, 0, v6, vcc_lo
	v_cmp_eq_u32_e32 vcc_lo, s31, v4
	s_wait_alu 0xfffd
	v_cndmask_b32_e32 v3, v13, v3, vcc_lo
	v_cmp_ne_u32_e32 vcc_lo, 0, v7
	v_xor_b32_e32 v7, s28, v9
	s_wait_alu 0xfffd
	v_cndmask_b32_e32 v4, v12, v10, vcc_lo
	v_cmp_ne_u32_e64 s2, 0, v3
	v_cndmask_b32_e32 v3, v11, v8, vcc_lo
	s_wait_alu 0xf1ff
	s_delay_alu instid0(VALU_DEP_2) | instskip(NEXT) | instid1(VALU_DEP_2)
	v_cndmask_b32_e64 v4, v6, v4, s2
	v_cndmask_b32_e64 v3, v5, v3, s2
	s_delay_alu instid0(VALU_DEP_2) | instskip(NEXT) | instid1(VALU_DEP_2)
	v_xor_b32_e32 v5, v4, v7
	v_xor_b32_e32 v3, v3, v7
	s_delay_alu instid0(VALU_DEP_1) | instskip(SKIP_1) | instid1(VALU_DEP_3)
	v_sub_co_u32 v4, vcc_lo, v3, v7
	s_wait_alu 0xfffd
	v_sub_co_ci_u32_e64 v5, null, v5, v7, vcc_lo
.LBB65_5:                               ;   in Loop: Header=BB65_3 Depth=1
	s_wait_alu 0xfffe
	s_and_not1_saveexec_b32 s2, s19
	s_cbranch_execz .LBB65_7
; %bb.6:                                ;   in Loop: Header=BB65_3 Depth=1
	s_sub_co_i32 s19, 0, s8
	s_wait_alu 0xfffe
	v_mul_lo_u32 v3, s19, v18
	s_delay_alu instid0(VALU_DEP_1) | instskip(NEXT) | instid1(VALU_DEP_1)
	v_mul_hi_u32 v3, v18, v3
	v_add_nc_u32_e32 v3, v18, v3
	s_delay_alu instid0(VALU_DEP_1) | instskip(NEXT) | instid1(VALU_DEP_1)
	v_mul_hi_u32 v3, v0, v3
	v_mul_lo_u32 v4, v3, s8
	v_add_nc_u32_e32 v5, 1, v3
	s_delay_alu instid0(VALU_DEP_2) | instskip(NEXT) | instid1(VALU_DEP_1)
	v_sub_nc_u32_e32 v4, v0, v4
	v_subrev_nc_u32_e32 v6, s8, v4
	v_cmp_le_u32_e32 vcc_lo, s8, v4
	s_wait_alu 0xfffd
	s_delay_alu instid0(VALU_DEP_2) | instskip(NEXT) | instid1(VALU_DEP_1)
	v_dual_cndmask_b32 v4, v4, v6 :: v_dual_cndmask_b32 v3, v3, v5
	v_cmp_le_u32_e32 vcc_lo, s8, v4
	s_delay_alu instid0(VALU_DEP_2) | instskip(SKIP_1) | instid1(VALU_DEP_1)
	v_add_nc_u32_e32 v5, 1, v3
	s_wait_alu 0xfffd
	v_dual_cndmask_b32 v4, v3, v5 :: v_dual_mov_b32 v5, v2
.LBB65_7:                               ;   in Loop: Header=BB65_3 Depth=1
	s_wait_alu 0xfffe
	s_or_b32 exec_lo, exec_lo, s2
	s_delay_alu instid0(VALU_DEP_1) | instskip(SKIP_1) | instid1(VALU_DEP_1)
	v_or_b32_e32 v3, s21, v5
                                        ; implicit-def: $vgpr8_vgpr9
	s_mov_b32 s2, exec_lo
	v_cmpx_ne_u64_e32 0, v[2:3]
	s_wait_alu 0xfffe
	s_xor_b32 s19, exec_lo, s2
	s_cbranch_execz .LBB65_9
; %bb.8:                                ;   in Loop: Header=BB65_3 Depth=1
	s_ashr_i32 s30, s21, 31
	v_ashrrev_i32_e32 v3, 31, v5
	s_wait_alu 0xfffe
	s_mov_b32 s31, s30
	s_wait_alu 0xfffe
	s_add_nc_u64 s[34:35], s[20:21], s[30:31]
	v_add_co_u32 v6, vcc_lo, v4, v3
	s_wait_alu 0xfffe
	s_xor_b64 s[34:35], s[34:35], s[30:31]
	s_wait_alu 0xfffd
	v_add_co_ci_u32_e64 v5, null, v5, v3, vcc_lo
	s_wait_alu 0xfffe
	s_cvt_f32_u32 s2, s34
	s_cvt_f32_u32 s22, s35
	s_sub_nc_u64 s[38:39], 0, s[34:35]
	v_xor_b32_e32 v11, v6, v3
	v_xor_b32_e32 v12, v5, v3
	s_wait_alu 0xfffe
	s_fmamk_f32 s2, s22, 0x4f800000, s2
	v_xor_b32_e32 v3, s30, v3
	s_wait_alu 0xfffe
	s_delay_alu instid0(SALU_CYCLE_1) | instskip(NEXT) | instid1(TRANS32_DEP_1)
	v_s_rcp_f32 s2, s2
	s_mul_f32 s2, s2, 0x5f7ffffc
	s_wait_alu 0xfffe
	s_delay_alu instid0(SALU_CYCLE_2) | instskip(SKIP_1) | instid1(SALU_CYCLE_2)
	s_mul_f32 s22, s2, 0x2f800000
	s_wait_alu 0xfffe
	s_trunc_f32 s22, s22
	s_wait_alu 0xfffe
	s_delay_alu instid0(SALU_CYCLE_2) | instskip(SKIP_2) | instid1(SALU_CYCLE_1)
	s_fmamk_f32 s2, s22, 0xcf800000, s2
	s_cvt_u32_f32 s37, s22
	s_wait_alu 0xfffe
	s_cvt_u32_f32 s36, s2
	s_wait_alu 0xfffe
	s_delay_alu instid0(SALU_CYCLE_2)
	s_mul_u64 s[40:41], s[38:39], s[36:37]
	s_wait_alu 0xfffe
	s_mul_hi_u32 s43, s36, s41
	s_mul_i32 s42, s36, s41
	s_mul_hi_u32 s22, s36, s40
	s_mul_i32 s29, s37, s40
	s_wait_alu 0xfffe
	s_add_nc_u64 s[42:43], s[22:23], s[42:43]
	s_mul_hi_u32 s2, s37, s40
	s_mul_hi_u32 s31, s37, s41
	s_wait_alu 0xfffe
	s_add_co_u32 s22, s42, s29
	s_add_co_ci_u32 s22, s43, s2
	s_mul_i32 s40, s37, s41
	s_add_co_ci_u32 s41, s31, 0
	s_wait_alu 0xfffe
	s_add_nc_u64 s[40:41], s[22:23], s[40:41]
	s_wait_alu 0xfffe
	s_add_co_u32 s36, s36, s40
	s_cselect_b32 s2, -1, 0
	s_wait_alu 0xfffe
	s_cmp_lg_u32 s2, 0
	s_add_co_ci_u32 s37, s37, s41
	s_wait_alu 0xfffe
	s_mul_u64 s[38:39], s[38:39], s[36:37]
	s_wait_alu 0xfffe
	s_mul_hi_u32 s41, s36, s39
	s_mul_i32 s40, s36, s39
	s_mul_hi_u32 s22, s36, s38
	s_mul_i32 s29, s37, s38
	s_wait_alu 0xfffe
	s_add_nc_u64 s[40:41], s[22:23], s[40:41]
	s_mul_hi_u32 s2, s37, s38
	s_mul_hi_u32 s31, s37, s39
	s_wait_alu 0xfffe
	s_add_co_u32 s22, s40, s29
	s_add_co_ci_u32 s22, s41, s2
	s_mul_i32 s38, s37, s39
	s_add_co_ci_u32 s39, s31, 0
	s_wait_alu 0xfffe
	s_add_nc_u64 s[38:39], s[22:23], s[38:39]
	s_wait_alu 0xfffe
	s_add_co_u32 s2, s36, s38
	s_cselect_b32 s22, -1, 0
	s_wait_alu 0xfffe
	v_mul_hi_u32 v13, v11, s2
	s_cmp_lg_u32 s22, 0
	v_mad_co_u64_u32 v[7:8], null, v12, s2, 0
	s_add_co_ci_u32 s22, s37, s39
	s_wait_alu 0xfffe
	v_mad_co_u64_u32 v[5:6], null, v11, s22, 0
	v_mad_co_u64_u32 v[9:10], null, v12, s22, 0
	s_delay_alu instid0(VALU_DEP_2) | instskip(SKIP_1) | instid1(VALU_DEP_3)
	v_add_co_u32 v5, vcc_lo, v13, v5
	s_wait_alu 0xfffd
	v_add_co_ci_u32_e64 v6, null, 0, v6, vcc_lo
	s_delay_alu instid0(VALU_DEP_2) | instskip(SKIP_1) | instid1(VALU_DEP_2)
	v_add_co_u32 v5, vcc_lo, v5, v7
	s_wait_alu 0xfffd
	v_add_co_ci_u32_e32 v5, vcc_lo, v6, v8, vcc_lo
	s_wait_alu 0xfffd
	v_add_co_ci_u32_e32 v6, vcc_lo, 0, v10, vcc_lo
	s_delay_alu instid0(VALU_DEP_2) | instskip(SKIP_1) | instid1(VALU_DEP_2)
	v_add_co_u32 v7, vcc_lo, v5, v9
	s_wait_alu 0xfffd
	v_add_co_ci_u32_e64 v8, null, 0, v6, vcc_lo
	s_delay_alu instid0(VALU_DEP_2) | instskip(SKIP_1) | instid1(VALU_DEP_3)
	v_mul_lo_u32 v9, s35, v7
	v_mad_co_u64_u32 v[5:6], null, s34, v7, 0
	v_mul_lo_u32 v10, s34, v8
	s_delay_alu instid0(VALU_DEP_2) | instskip(NEXT) | instid1(VALU_DEP_2)
	v_sub_co_u32 v5, vcc_lo, v11, v5
	v_add3_u32 v6, v6, v10, v9
	v_add_co_u32 v10, s2, v7, 2
	s_wait_alu 0xf1ff
	v_add_co_ci_u32_e64 v11, null, 0, v8, s2
	s_delay_alu instid0(VALU_DEP_3) | instskip(SKIP_3) | instid1(VALU_DEP_3)
	v_sub_nc_u32_e32 v9, v12, v6
	v_sub_co_u32 v13, s2, v5, s34
	s_wait_alu 0xfffd
	v_sub_co_ci_u32_e64 v6, null, v12, v6, vcc_lo
	v_subrev_co_ci_u32_e64 v9, null, s35, v9, vcc_lo
	s_delay_alu instid0(VALU_DEP_3) | instskip(SKIP_1) | instid1(VALU_DEP_2)
	v_cmp_le_u32_e32 vcc_lo, s34, v13
	s_wait_alu 0xf1ff
	v_subrev_co_ci_u32_e64 v9, null, 0, v9, s2
	s_wait_alu 0xfffd
	v_cndmask_b32_e64 v12, 0, -1, vcc_lo
	s_delay_alu instid0(VALU_DEP_2)
	v_cmp_le_u32_e32 vcc_lo, s35, v9
	s_wait_alu 0xfffd
	v_cndmask_b32_e64 v13, 0, -1, vcc_lo
	v_cmp_le_u32_e32 vcc_lo, s34, v5
	s_wait_alu 0xfffd
	v_cndmask_b32_e64 v5, 0, -1, vcc_lo
	;; [unrolled: 3-line block ×3, first 2 shown]
	v_cmp_eq_u32_e32 vcc_lo, s35, v9
	s_wait_alu 0xfffd
	v_cndmask_b32_e32 v9, v13, v12, vcc_lo
	v_add_co_u32 v12, vcc_lo, v7, 1
	s_wait_alu 0xfffd
	v_add_co_ci_u32_e64 v13, null, 0, v8, vcc_lo
	v_cmp_eq_u32_e32 vcc_lo, s35, v6
	s_wait_alu 0xfffd
	v_cndmask_b32_e32 v5, v14, v5, vcc_lo
	v_cmp_ne_u32_e32 vcc_lo, 0, v9
	s_wait_alu 0xfffd
	v_cndmask_b32_e32 v6, v13, v11, vcc_lo
	s_delay_alu instid0(VALU_DEP_3) | instskip(SKIP_2) | instid1(VALU_DEP_2)
	v_cmp_ne_u32_e64 s2, 0, v5
	v_cndmask_b32_e32 v5, v12, v10, vcc_lo
	s_wait_alu 0xf1ff
	v_cndmask_b32_e64 v6, v8, v6, s2
	s_delay_alu instid0(VALU_DEP_2) | instskip(NEXT) | instid1(VALU_DEP_2)
	v_cndmask_b32_e64 v5, v7, v5, s2
	v_xor_b32_e32 v6, v6, v3
	s_delay_alu instid0(VALU_DEP_2) | instskip(NEXT) | instid1(VALU_DEP_1)
	v_xor_b32_e32 v5, v5, v3
	v_sub_co_u32 v8, vcc_lo, v5, v3
	s_wait_alu 0xfffd
	s_delay_alu instid0(VALU_DEP_3)
	v_sub_co_ci_u32_e64 v9, null, v6, v3, vcc_lo
.LBB65_9:                               ;   in Loop: Header=BB65_3 Depth=1
	s_wait_alu 0xfffe
	s_and_not1_saveexec_b32 s2, s19
	s_cbranch_execz .LBB65_11
; %bb.10:                               ;   in Loop: Header=BB65_3 Depth=1
	s_sub_co_i32 s19, 0, s20
	v_mov_b32_e32 v9, v2
	s_wait_alu 0xfffe
	v_mul_lo_u32 v3, s19, v19
	s_delay_alu instid0(VALU_DEP_1) | instskip(NEXT) | instid1(VALU_DEP_1)
	v_mul_hi_u32 v3, v19, v3
	v_add_nc_u32_e32 v3, v19, v3
	s_delay_alu instid0(VALU_DEP_1) | instskip(NEXT) | instid1(VALU_DEP_1)
	v_mul_hi_u32 v3, v4, v3
	v_mul_lo_u32 v5, v3, s20
	v_add_nc_u32_e32 v6, 1, v3
	s_delay_alu instid0(VALU_DEP_2) | instskip(NEXT) | instid1(VALU_DEP_1)
	v_sub_nc_u32_e32 v5, v4, v5
	v_cmp_le_u32_e32 vcc_lo, s20, v5
	v_subrev_nc_u32_e32 v7, s20, v5
	s_wait_alu 0xfffd
	v_cndmask_b32_e32 v3, v3, v6, vcc_lo
	s_delay_alu instid0(VALU_DEP_1) | instskip(NEXT) | instid1(VALU_DEP_3)
	v_add_nc_u32_e32 v6, 1, v3
	v_cndmask_b32_e32 v5, v5, v7, vcc_lo
	s_delay_alu instid0(VALU_DEP_1) | instskip(SKIP_1) | instid1(VALU_DEP_3)
	v_cmp_le_u32_e32 vcc_lo, s20, v5
	s_wait_alu 0xfffd
	v_cndmask_b32_e32 v8, v3, v6, vcc_lo
.LBB65_11:                              ;   in Loop: Header=BB65_3 Depth=1
	s_wait_alu 0xfffe
	s_or_b32 exec_lo, exec_lo, s2
	v_mad_co_u64_u32 v[5:6], null, v4, s8, 0
	s_delay_alu instid0(VALU_DEP_2) | instskip(SKIP_3) | instid1(VALU_DEP_2)
	v_mad_co_u64_u32 v[6:7], null, v8, s20, 0
	s_and_not1_b32 vcc_lo, exec_lo, s49
	v_sub_co_u32 v20, null, v0, v5
	v_sub_co_u32 v21, null, v4, v6
	v_mul_lo_u32 v3, s24, v20
	v_mul_lo_u32 v5, s26, v20
	s_delay_alu instid0(VALU_DEP_2) | instskip(NEXT) | instid1(VALU_DEP_1)
	v_mad_co_u64_u32 v[6:7], null, s16, v21, v[3:4]
	v_mad_co_u64_u32 v[4:5], null, s18, v21, v[5:6]
	s_wait_alu 0xfffe
	s_cbranch_vccnz .LBB65_38
; %bb.12:                               ;   in Loop: Header=BB65_3 Depth=1
	s_mov_b32 s19, 1
	s_and_not1_b32 vcc_lo, exec_lo, s51
	s_mov_b32 s22, s33
	s_mov_b32 s2, s33
	s_wait_alu 0xfffe
	s_cbranch_vccz .LBB65_15
; %bb.13:                               ;   in Loop: Header=BB65_3 Depth=1
	s_and_b32 vcc_lo, exec_lo, s52
	s_mov_b32 s22, s2
	s_wait_alu 0xfffe
	s_cbranch_vccnz .LBB65_20
	s_branch .LBB65_38
.LBB65_14:                              ;   in Loop: Header=BB65_15 Depth=2
	s_wait_alu 0xfffe
	s_or_b32 exec_lo, exec_lo, s2
	s_add_nc_u64 s[36:37], s[0:1], s[36:37]
	s_clause 0x1
	s_load_b32 s2, s[34:35], 0x6c
	s_load_b32 s29, s[36:37], 0x6c
	v_mul_lo_u32 v3, v10, s30
	s_add_co_i32 s22, s22, -1
	s_delay_alu instid0(VALU_DEP_1) | instskip(SKIP_2) | instid1(VALU_DEP_2)
	v_sub_nc_u32_e32 v3, v8, v3
	v_dual_mov_b32 v8, v10 :: v_dual_mov_b32 v9, v11
	s_wait_kmcnt 0x0
	v_mad_co_u64_u32 v[6:7], null, s2, v3, v[6:7]
	v_mad_co_u64_u32 v[4:5], null, s29, v3, v[4:5]
	s_xor_b32 s2, s48, s19
	s_add_co_i32 s19, s19, 1
	s_wait_alu 0xfffe
	s_cmp_lg_u32 s2, 2
	s_cbranch_scc0 .LBB65_19
.LBB65_15:                              ;   Parent Loop BB65_3 Depth=1
                                        ; =>  This Inner Loop Header: Depth=2
	s_lshl_b64 s[36:37], s[22:23], 2
                                        ; implicit-def: $vgpr10_vgpr11
	s_mov_b32 s2, exec_lo
	s_wait_alu 0xfffe
	s_add_nc_u64 s[34:35], s[12:13], s[36:37]
	s_load_b32 s30, s[34:35], 0x8
	s_wait_kmcnt 0x0
	s_ashr_i32 s31, s30, 31
	s_wait_alu 0xfffe
	v_or_b32_e32 v3, s31, v9
	s_delay_alu instid0(VALU_DEP_1)
	v_cmpx_ne_u64_e32 0, v[2:3]
	s_xor_b32 s29, exec_lo, s2
	s_cbranch_execz .LBB65_17
; %bb.16:                               ;   in Loop: Header=BB65_15 Depth=2
	s_ashr_i32 s38, s31, 31
	s_mov_b32 s47, s23
	s_wait_alu 0xfffe
	s_mov_b32 s39, s38
	s_mov_b32 s57, s23
	s_wait_alu 0xfffe
	s_add_nc_u64 s[40:41], s[30:31], s[38:39]
	v_ashrrev_i32_e32 v3, 31, v9
	s_wait_alu 0xfffe
	s_xor_b64 s[40:41], s[40:41], s[38:39]
	s_wait_alu 0xfffe
	s_cvt_f32_u32 s2, s40
	s_cvt_f32_u32 s31, s41
	s_sub_nc_u64 s[44:45], 0, s[40:41]
	v_add_co_u32 v5, vcc_lo, v8, v3
	s_wait_alu 0xfffe
	s_fmamk_f32 s2, s31, 0x4f800000, s2
	s_wait_alu 0xfffd
	v_add_co_ci_u32_e64 v7, null, v9, v3, vcc_lo
	v_xor_b32_e32 v5, v5, v3
	s_wait_alu 0xfffe
	v_s_rcp_f32 s2, s2
	s_delay_alu instid0(VALU_DEP_2) | instskip(SKIP_1) | instid1(TRANS32_DEP_1)
	v_xor_b32_e32 v7, v7, v3
	v_xor_b32_e32 v3, s38, v3
	s_mul_f32 s2, s2, 0x5f7ffffc
	s_wait_alu 0xfffe
	s_delay_alu instid0(SALU_CYCLE_2) | instskip(SKIP_1) | instid1(SALU_CYCLE_2)
	s_mul_f32 s31, s2, 0x2f800000
	s_wait_alu 0xfffe
	s_trunc_f32 s31, s31
	s_wait_alu 0xfffe
	s_delay_alu instid0(SALU_CYCLE_2) | instskip(SKIP_2) | instid1(SALU_CYCLE_1)
	s_fmamk_f32 s2, s31, 0xcf800000, s2
	s_cvt_u32_f32 s43, s31
	s_wait_alu 0xfffe
	s_cvt_u32_f32 s42, s2
	s_wait_alu 0xfffe
	s_delay_alu instid0(SALU_CYCLE_2) | instskip(NEXT) | instid1(SALU_CYCLE_1)
	s_mul_u64 s[54:55], s[44:45], s[42:43]
	s_mul_hi_u32 s59, s42, s55
	s_mul_i32 s58, s42, s55
	s_mul_hi_u32 s46, s42, s54
	s_mul_i32 s31, s43, s54
	s_wait_alu 0xfffe
	s_add_nc_u64 s[46:47], s[46:47], s[58:59]
	s_mul_hi_u32 s2, s43, s54
	s_mul_hi_u32 s39, s43, s55
	s_wait_alu 0xfffe
	s_add_co_u32 s31, s46, s31
	s_add_co_ci_u32 s56, s47, s2
	s_mul_i32 s54, s43, s55
	s_add_co_ci_u32 s55, s39, 0
	s_delay_alu instid0(SALU_CYCLE_1)
	s_add_nc_u64 s[46:47], s[56:57], s[54:55]
	s_mov_b32 s55, s23
	s_wait_alu 0xfffe
	s_add_co_u32 s42, s42, s46
	s_cselect_b32 s2, -1, 0
	s_wait_alu 0xfffe
	s_cmp_lg_u32 s2, 0
	s_add_co_ci_u32 s43, s43, s47
	s_mov_b32 s47, s23
	s_wait_alu 0xfffe
	s_mul_u64 s[44:45], s[44:45], s[42:43]
	s_wait_alu 0xfffe
	s_mul_hi_u32 s57, s42, s45
	s_mul_i32 s56, s42, s45
	s_mul_hi_u32 s54, s42, s44
	s_mul_i32 s31, s43, s44
	s_add_nc_u64 s[54:55], s[54:55], s[56:57]
	s_mul_hi_u32 s2, s43, s44
	s_mul_hi_u32 s39, s43, s45
	s_wait_alu 0xfffe
	s_add_co_u32 s31, s54, s31
	s_add_co_ci_u32 s46, s55, s2
	s_mul_i32 s44, s43, s45
	s_add_co_ci_u32 s45, s39, 0
	s_wait_alu 0xfffe
	s_add_nc_u64 s[44:45], s[46:47], s[44:45]
	s_wait_alu 0xfffe
	s_add_co_u32 s2, s42, s44
	s_cselect_b32 s31, -1, 0
	s_wait_alu 0xfffe
	v_mul_hi_u32 v15, v5, s2
	s_cmp_lg_u32 s31, 0
	v_mad_co_u64_u32 v[11:12], null, v7, s2, 0
	s_add_co_ci_u32 s31, s43, s45
	s_wait_alu 0xfffe
	v_mad_co_u64_u32 v[9:10], null, v5, s31, 0
	v_mad_co_u64_u32 v[13:14], null, v7, s31, 0
	s_delay_alu instid0(VALU_DEP_2) | instskip(SKIP_1) | instid1(VALU_DEP_3)
	v_add_co_u32 v9, vcc_lo, v15, v9
	s_wait_alu 0xfffd
	v_add_co_ci_u32_e64 v10, null, 0, v10, vcc_lo
	s_delay_alu instid0(VALU_DEP_2) | instskip(SKIP_1) | instid1(VALU_DEP_2)
	v_add_co_u32 v9, vcc_lo, v9, v11
	s_wait_alu 0xfffd
	v_add_co_ci_u32_e32 v9, vcc_lo, v10, v12, vcc_lo
	s_wait_alu 0xfffd
	v_add_co_ci_u32_e32 v10, vcc_lo, 0, v14, vcc_lo
	s_delay_alu instid0(VALU_DEP_2) | instskip(SKIP_1) | instid1(VALU_DEP_2)
	v_add_co_u32 v11, vcc_lo, v9, v13
	s_wait_alu 0xfffd
	v_add_co_ci_u32_e64 v12, null, 0, v10, vcc_lo
	s_delay_alu instid0(VALU_DEP_2) | instskip(SKIP_1) | instid1(VALU_DEP_3)
	v_mul_lo_u32 v13, s41, v11
	v_mad_co_u64_u32 v[9:10], null, s40, v11, 0
	v_mul_lo_u32 v14, s40, v12
	s_delay_alu instid0(VALU_DEP_2) | instskip(NEXT) | instid1(VALU_DEP_2)
	v_sub_co_u32 v5, vcc_lo, v5, v9
	v_add3_u32 v10, v10, v14, v13
	s_delay_alu instid0(VALU_DEP_1) | instskip(SKIP_2) | instid1(VALU_DEP_2)
	v_sub_nc_u32_e32 v13, v7, v10
	s_wait_alu 0xfffd
	v_sub_co_ci_u32_e64 v7, null, v7, v10, vcc_lo
	v_subrev_co_ci_u32_e64 v9, null, s41, v13, vcc_lo
	v_add_co_u32 v13, s2, v11, 2
	s_wait_alu 0xf1ff
	v_add_co_ci_u32_e64 v14, null, 0, v12, s2
	v_sub_co_u32 v15, s2, v5, s40
	s_wait_alu 0xf1ff
	v_subrev_co_ci_u32_e64 v9, null, 0, v9, s2
	s_delay_alu instid0(VALU_DEP_2) | instskip(SKIP_2) | instid1(VALU_DEP_3)
	v_cmp_le_u32_e32 vcc_lo, s40, v15
	s_wait_alu 0xfffd
	v_cndmask_b32_e64 v10, 0, -1, vcc_lo
	v_cmp_le_u32_e32 vcc_lo, s41, v9
	s_wait_alu 0xfffd
	v_cndmask_b32_e64 v15, 0, -1, vcc_lo
	;; [unrolled: 3-line block ×4, first 2 shown]
	v_cmp_eq_u32_e32 vcc_lo, s41, v9
	s_wait_alu 0xfffd
	v_cndmask_b32_e32 v9, v15, v10, vcc_lo
	v_add_co_u32 v10, vcc_lo, v11, 1
	s_wait_alu 0xfffd
	v_add_co_ci_u32_e64 v15, null, 0, v12, vcc_lo
	v_cmp_eq_u32_e32 vcc_lo, s41, v7
	s_wait_alu 0xfffd
	v_cndmask_b32_e32 v5, v16, v5, vcc_lo
	v_cmp_ne_u32_e32 vcc_lo, 0, v9
	s_delay_alu instid0(VALU_DEP_2) | instskip(SKIP_4) | instid1(VALU_DEP_2)
	v_cmp_ne_u32_e64 s2, 0, v5
	s_wait_alu 0xfffd
	v_cndmask_b32_e32 v5, v10, v13, vcc_lo
	v_cndmask_b32_e32 v7, v15, v14, vcc_lo
	s_wait_alu 0xf1ff
	v_cndmask_b32_e64 v5, v11, v5, s2
	s_delay_alu instid0(VALU_DEP_2) | instskip(NEXT) | instid1(VALU_DEP_2)
	v_cndmask_b32_e64 v7, v12, v7, s2
	v_xor_b32_e32 v5, v5, v3
	s_delay_alu instid0(VALU_DEP_2) | instskip(NEXT) | instid1(VALU_DEP_2)
	v_xor_b32_e32 v7, v7, v3
	v_sub_co_u32 v10, vcc_lo, v5, v3
	s_wait_alu 0xfffd
	s_delay_alu instid0(VALU_DEP_2)
	v_sub_co_ci_u32_e64 v11, null, v7, v3, vcc_lo
.LBB65_17:                              ;   in Loop: Header=BB65_15 Depth=2
	s_wait_alu 0xfffe
	s_and_not1_saveexec_b32 s2, s29
	s_cbranch_execz .LBB65_14
; %bb.18:                               ;   in Loop: Header=BB65_15 Depth=2
	v_cvt_f32_u32_e32 v3, s30
	s_sub_co_i32 s29, 0, s30
	v_mov_b32_e32 v11, v2
	s_delay_alu instid0(VALU_DEP_2) | instskip(NEXT) | instid1(TRANS32_DEP_1)
	v_rcp_iflag_f32_e32 v3, v3
	v_mul_f32_e32 v3, 0x4f7ffffe, v3
	s_delay_alu instid0(VALU_DEP_1) | instskip(SKIP_1) | instid1(VALU_DEP_1)
	v_cvt_u32_f32_e32 v3, v3
	s_wait_alu 0xfffe
	v_mul_lo_u32 v5, s29, v3
	s_delay_alu instid0(VALU_DEP_1) | instskip(NEXT) | instid1(VALU_DEP_1)
	v_mul_hi_u32 v5, v3, v5
	v_add_nc_u32_e32 v3, v3, v5
	s_delay_alu instid0(VALU_DEP_1) | instskip(NEXT) | instid1(VALU_DEP_1)
	v_mul_hi_u32 v3, v8, v3
	v_mul_lo_u32 v5, v3, s30
	v_add_nc_u32_e32 v7, 1, v3
	s_delay_alu instid0(VALU_DEP_2) | instskip(NEXT) | instid1(VALU_DEP_1)
	v_sub_nc_u32_e32 v5, v8, v5
	v_cmp_le_u32_e32 vcc_lo, s30, v5
	v_subrev_nc_u32_e32 v9, s30, v5
	s_wait_alu 0xfffd
	v_cndmask_b32_e32 v3, v3, v7, vcc_lo
	s_delay_alu instid0(VALU_DEP_1) | instskip(NEXT) | instid1(VALU_DEP_3)
	v_add_nc_u32_e32 v7, 1, v3
	v_cndmask_b32_e32 v5, v5, v9, vcc_lo
	s_delay_alu instid0(VALU_DEP_1) | instskip(SKIP_1) | instid1(VALU_DEP_3)
	v_cmp_le_u32_e32 vcc_lo, s30, v5
	s_wait_alu 0xfffd
	v_cndmask_b32_e32 v10, v3, v7, vcc_lo
	s_branch .LBB65_14
.LBB65_19:                              ;   in Loop: Header=BB65_3 Depth=1
	s_mov_b32 s2, s22
	s_and_b32 vcc_lo, exec_lo, s52
	s_wait_alu 0xfffe
	s_mov_b32 s22, s2
	s_cbranch_vccz .LBB65_38
.LBB65_20:                              ;   Parent Loop BB65_3 Depth=1
                                        ; =>  This Inner Loop Header: Depth=2
	s_wait_alu 0xfffe
	s_lshl_b64 s[42:43], s[22:23], 2
                                        ; implicit-def: $vgpr10_vgpr11
	s_mov_b32 s2, exec_lo
	s_wait_alu 0xfffe
	s_add_nc_u64 s[36:37], s[12:13], s[42:43]
	s_load_b32 s30, s[36:37], 0x8
	s_wait_kmcnt 0x0
	s_ashr_i32 s31, s30, 31
	s_wait_alu 0xfffe
	v_or_b32_e32 v3, s31, v9
	s_delay_alu instid0(VALU_DEP_1)
	v_cmpx_ne_u64_e32 0, v[2:3]
	s_xor_b32 s19, exec_lo, s2
	s_cbranch_execz .LBB65_22
; %bb.21:                               ;   in Loop: Header=BB65_20 Depth=2
	s_ashr_i32 s34, s31, 31
	s_mov_b32 s47, s23
	s_wait_alu 0xfffe
	s_mov_b32 s35, s34
	s_mov_b32 s57, s23
	s_wait_alu 0xfffe
	s_add_nc_u64 s[38:39], s[30:31], s[34:35]
	v_ashrrev_i32_e32 v3, 31, v9
	s_wait_alu 0xfffe
	s_xor_b64 s[38:39], s[38:39], s[34:35]
	s_wait_alu 0xfffe
	s_cvt_f32_u32 s2, s38
	s_cvt_f32_u32 s29, s39
	s_sub_nc_u64 s[44:45], 0, s[38:39]
	v_add_co_u32 v5, vcc_lo, v8, v3
	s_wait_alu 0xfffe
	s_fmamk_f32 s2, s29, 0x4f800000, s2
	s_wait_alu 0xfffd
	v_add_co_ci_u32_e64 v7, null, v9, v3, vcc_lo
	v_xor_b32_e32 v5, v5, v3
	s_wait_alu 0xfffe
	v_s_rcp_f32 s2, s2
	s_delay_alu instid0(VALU_DEP_2) | instskip(SKIP_1) | instid1(TRANS32_DEP_1)
	v_xor_b32_e32 v7, v7, v3
	v_xor_b32_e32 v3, s34, v3
	s_mul_f32 s2, s2, 0x5f7ffffc
	s_wait_alu 0xfffe
	s_delay_alu instid0(SALU_CYCLE_2) | instskip(SKIP_1) | instid1(SALU_CYCLE_2)
	s_mul_f32 s29, s2, 0x2f800000
	s_wait_alu 0xfffe
	s_trunc_f32 s29, s29
	s_wait_alu 0xfffe
	s_delay_alu instid0(SALU_CYCLE_2) | instskip(SKIP_2) | instid1(SALU_CYCLE_1)
	s_fmamk_f32 s2, s29, 0xcf800000, s2
	s_cvt_u32_f32 s41, s29
	s_wait_alu 0xfffe
	s_cvt_u32_f32 s40, s2
	s_wait_alu 0xfffe
	s_delay_alu instid0(SALU_CYCLE_2) | instskip(NEXT) | instid1(SALU_CYCLE_1)
	s_mul_u64 s[54:55], s[44:45], s[40:41]
	s_mul_hi_u32 s59, s40, s55
	s_mul_i32 s58, s40, s55
	s_mul_hi_u32 s46, s40, s54
	s_mul_i32 s29, s41, s54
	s_wait_alu 0xfffe
	s_add_nc_u64 s[46:47], s[46:47], s[58:59]
	s_mul_hi_u32 s2, s41, s54
	s_mul_hi_u32 s31, s41, s55
	s_wait_alu 0xfffe
	s_add_co_u32 s29, s46, s29
	s_add_co_ci_u32 s56, s47, s2
	s_mul_i32 s54, s41, s55
	s_add_co_ci_u32 s55, s31, 0
	s_delay_alu instid0(SALU_CYCLE_1)
	s_add_nc_u64 s[46:47], s[56:57], s[54:55]
	s_mov_b32 s55, s23
	s_wait_alu 0xfffe
	s_add_co_u32 s40, s40, s46
	s_cselect_b32 s2, -1, 0
	s_wait_alu 0xfffe
	s_cmp_lg_u32 s2, 0
	s_add_co_ci_u32 s41, s41, s47
	s_mov_b32 s47, s23
	s_wait_alu 0xfffe
	s_mul_u64 s[44:45], s[44:45], s[40:41]
	s_wait_alu 0xfffe
	s_mul_hi_u32 s57, s40, s45
	s_mul_i32 s56, s40, s45
	s_mul_hi_u32 s54, s40, s44
	s_mul_i32 s29, s41, s44
	s_add_nc_u64 s[54:55], s[54:55], s[56:57]
	s_mul_hi_u32 s2, s41, s44
	s_mul_hi_u32 s31, s41, s45
	s_wait_alu 0xfffe
	s_add_co_u32 s29, s54, s29
	s_add_co_ci_u32 s46, s55, s2
	s_mul_i32 s44, s41, s45
	s_add_co_ci_u32 s45, s31, 0
	s_wait_alu 0xfffe
	s_add_nc_u64 s[44:45], s[46:47], s[44:45]
	s_wait_alu 0xfffe
	s_add_co_u32 s2, s40, s44
	s_cselect_b32 s29, -1, 0
	s_wait_alu 0xfffe
	v_mul_hi_u32 v15, v5, s2
	s_cmp_lg_u32 s29, 0
	v_mad_co_u64_u32 v[11:12], null, v7, s2, 0
	s_add_co_ci_u32 s29, s41, s45
	s_wait_alu 0xfffe
	v_mad_co_u64_u32 v[9:10], null, v5, s29, 0
	v_mad_co_u64_u32 v[13:14], null, v7, s29, 0
	s_delay_alu instid0(VALU_DEP_2) | instskip(SKIP_1) | instid1(VALU_DEP_3)
	v_add_co_u32 v9, vcc_lo, v15, v9
	s_wait_alu 0xfffd
	v_add_co_ci_u32_e64 v10, null, 0, v10, vcc_lo
	s_delay_alu instid0(VALU_DEP_2) | instskip(SKIP_1) | instid1(VALU_DEP_2)
	v_add_co_u32 v9, vcc_lo, v9, v11
	s_wait_alu 0xfffd
	v_add_co_ci_u32_e32 v9, vcc_lo, v10, v12, vcc_lo
	s_wait_alu 0xfffd
	v_add_co_ci_u32_e32 v10, vcc_lo, 0, v14, vcc_lo
	s_delay_alu instid0(VALU_DEP_2) | instskip(SKIP_1) | instid1(VALU_DEP_2)
	v_add_co_u32 v11, vcc_lo, v9, v13
	s_wait_alu 0xfffd
	v_add_co_ci_u32_e64 v12, null, 0, v10, vcc_lo
	s_delay_alu instid0(VALU_DEP_2) | instskip(SKIP_1) | instid1(VALU_DEP_3)
	v_mul_lo_u32 v13, s39, v11
	v_mad_co_u64_u32 v[9:10], null, s38, v11, 0
	v_mul_lo_u32 v14, s38, v12
	s_delay_alu instid0(VALU_DEP_2) | instskip(NEXT) | instid1(VALU_DEP_2)
	v_sub_co_u32 v5, vcc_lo, v5, v9
	v_add3_u32 v10, v10, v14, v13
	s_delay_alu instid0(VALU_DEP_1) | instskip(SKIP_2) | instid1(VALU_DEP_2)
	v_sub_nc_u32_e32 v13, v7, v10
	s_wait_alu 0xfffd
	v_sub_co_ci_u32_e64 v7, null, v7, v10, vcc_lo
	v_subrev_co_ci_u32_e64 v9, null, s39, v13, vcc_lo
	v_add_co_u32 v13, s2, v11, 2
	s_wait_alu 0xf1ff
	v_add_co_ci_u32_e64 v14, null, 0, v12, s2
	v_sub_co_u32 v15, s2, v5, s38
	s_wait_alu 0xf1ff
	v_subrev_co_ci_u32_e64 v9, null, 0, v9, s2
	s_delay_alu instid0(VALU_DEP_2) | instskip(SKIP_2) | instid1(VALU_DEP_3)
	v_cmp_le_u32_e32 vcc_lo, s38, v15
	s_wait_alu 0xfffd
	v_cndmask_b32_e64 v10, 0, -1, vcc_lo
	v_cmp_le_u32_e32 vcc_lo, s39, v9
	s_wait_alu 0xfffd
	v_cndmask_b32_e64 v15, 0, -1, vcc_lo
	;; [unrolled: 3-line block ×4, first 2 shown]
	v_cmp_eq_u32_e32 vcc_lo, s39, v9
	s_wait_alu 0xfffd
	v_cndmask_b32_e32 v9, v15, v10, vcc_lo
	v_add_co_u32 v10, vcc_lo, v11, 1
	s_wait_alu 0xfffd
	v_add_co_ci_u32_e64 v15, null, 0, v12, vcc_lo
	v_cmp_eq_u32_e32 vcc_lo, s39, v7
	s_wait_alu 0xfffd
	v_cndmask_b32_e32 v5, v16, v5, vcc_lo
	v_cmp_ne_u32_e32 vcc_lo, 0, v9
	s_delay_alu instid0(VALU_DEP_2) | instskip(SKIP_4) | instid1(VALU_DEP_2)
	v_cmp_ne_u32_e64 s2, 0, v5
	s_wait_alu 0xfffd
	v_cndmask_b32_e32 v5, v10, v13, vcc_lo
	v_cndmask_b32_e32 v7, v15, v14, vcc_lo
	s_wait_alu 0xf1ff
	v_cndmask_b32_e64 v5, v11, v5, s2
	s_delay_alu instid0(VALU_DEP_2) | instskip(NEXT) | instid1(VALU_DEP_2)
	v_cndmask_b32_e64 v7, v12, v7, s2
	v_xor_b32_e32 v5, v5, v3
	s_delay_alu instid0(VALU_DEP_2) | instskip(NEXT) | instid1(VALU_DEP_2)
	v_xor_b32_e32 v7, v7, v3
	v_sub_co_u32 v10, vcc_lo, v5, v3
	s_wait_alu 0xfffd
	s_delay_alu instid0(VALU_DEP_2)
	v_sub_co_ci_u32_e64 v11, null, v7, v3, vcc_lo
.LBB65_22:                              ;   in Loop: Header=BB65_20 Depth=2
	s_wait_alu 0xfffe
	s_and_not1_saveexec_b32 s2, s19
	s_cbranch_execz .LBB65_24
; %bb.23:                               ;   in Loop: Header=BB65_20 Depth=2
	v_cvt_f32_u32_e32 v3, s30
	s_sub_co_i32 s19, 0, s30
	v_mov_b32_e32 v11, v2
	s_delay_alu instid0(VALU_DEP_2) | instskip(NEXT) | instid1(TRANS32_DEP_1)
	v_rcp_iflag_f32_e32 v3, v3
	v_mul_f32_e32 v3, 0x4f7ffffe, v3
	s_delay_alu instid0(VALU_DEP_1) | instskip(SKIP_1) | instid1(VALU_DEP_1)
	v_cvt_u32_f32_e32 v3, v3
	s_wait_alu 0xfffe
	v_mul_lo_u32 v5, s19, v3
	s_delay_alu instid0(VALU_DEP_1) | instskip(NEXT) | instid1(VALU_DEP_1)
	v_mul_hi_u32 v5, v3, v5
	v_add_nc_u32_e32 v3, v3, v5
	s_delay_alu instid0(VALU_DEP_1) | instskip(NEXT) | instid1(VALU_DEP_1)
	v_mul_hi_u32 v3, v8, v3
	v_mul_lo_u32 v5, v3, s30
	v_add_nc_u32_e32 v7, 1, v3
	s_delay_alu instid0(VALU_DEP_2) | instskip(NEXT) | instid1(VALU_DEP_1)
	v_sub_nc_u32_e32 v5, v8, v5
	v_cmp_le_u32_e32 vcc_lo, s30, v5
	v_subrev_nc_u32_e32 v9, s30, v5
	s_wait_alu 0xfffd
	v_cndmask_b32_e32 v3, v3, v7, vcc_lo
	s_delay_alu instid0(VALU_DEP_1) | instskip(NEXT) | instid1(VALU_DEP_3)
	v_add_nc_u32_e32 v7, 1, v3
	v_cndmask_b32_e32 v5, v5, v9, vcc_lo
	s_delay_alu instid0(VALU_DEP_1) | instskip(SKIP_1) | instid1(VALU_DEP_3)
	v_cmp_le_u32_e32 vcc_lo, s30, v5
	s_wait_alu 0xfffd
	v_cndmask_b32_e32 v10, v3, v7, vcc_lo
.LBB65_24:                              ;   in Loop: Header=BB65_20 Depth=2
	s_wait_alu 0xfffe
	s_or_b32 exec_lo, exec_lo, s2
	s_add_co_i32 s34, s22, -1
	s_mov_b32 s35, s23
	s_add_nc_u64 s[42:43], s[0:1], s[42:43]
	s_wait_alu 0xfffe
	s_lshl_b64 s[40:41], s[34:35], 2
                                        ; implicit-def: $vgpr12_vgpr13
	s_mov_b32 s2, exec_lo
	s_wait_alu 0xfffe
	s_add_nc_u64 s[38:39], s[12:13], s[40:41]
	s_clause 0x2
	s_load_b32 s34, s[38:39], 0x8
	s_load_b32 s19, s[36:37], 0x6c
	;; [unrolled: 1-line block ×3, first 2 shown]
	s_wait_kmcnt 0x0
	s_ashr_i32 s35, s34, 31
	s_wait_alu 0xfffe
	v_or_b32_e32 v3, s35, v11
	s_delay_alu instid0(VALU_DEP_1)
	v_cmpx_ne_u64_e32 0, v[2:3]
	s_xor_b32 s31, exec_lo, s2
	s_cbranch_execz .LBB65_26
; %bb.25:                               ;   in Loop: Header=BB65_20 Depth=2
	s_ashr_i32 s36, s35, 31
	s_mov_b32 s55, s23
	s_wait_alu 0xfffe
	s_mov_b32 s37, s36
	s_mov_b32 s59, s23
	s_wait_alu 0xfffe
	s_add_nc_u64 s[42:43], s[34:35], s[36:37]
	v_ashrrev_i32_e32 v3, 31, v11
	s_wait_alu 0xfffe
	s_xor_b64 s[42:43], s[42:43], s[36:37]
	s_wait_alu 0xfffe
	s_cvt_f32_u32 s2, s42
	s_cvt_f32_u32 s35, s43
	s_sub_nc_u64 s[46:47], 0, s[42:43]
	v_add_co_u32 v5, vcc_lo, v10, v3
	s_wait_alu 0xfffe
	s_fmamk_f32 s2, s35, 0x4f800000, s2
	s_wait_alu 0xfffd
	v_add_co_ci_u32_e64 v7, null, v11, v3, vcc_lo
	v_xor_b32_e32 v5, v5, v3
	s_wait_alu 0xfffe
	v_s_rcp_f32 s2, s2
	s_delay_alu instid0(VALU_DEP_2) | instskip(SKIP_1) | instid1(TRANS32_DEP_1)
	v_xor_b32_e32 v7, v7, v3
	v_xor_b32_e32 v3, s36, v3
	s_mul_f32 s2, s2, 0x5f7ffffc
	s_wait_alu 0xfffe
	s_delay_alu instid0(SALU_CYCLE_2) | instskip(SKIP_1) | instid1(SALU_CYCLE_2)
	s_mul_f32 s35, s2, 0x2f800000
	s_wait_alu 0xfffe
	s_trunc_f32 s35, s35
	s_wait_alu 0xfffe
	s_delay_alu instid0(SALU_CYCLE_2) | instskip(SKIP_2) | instid1(SALU_CYCLE_1)
	s_fmamk_f32 s2, s35, 0xcf800000, s2
	s_cvt_u32_f32 s45, s35
	s_wait_alu 0xfffe
	s_cvt_u32_f32 s44, s2
	s_wait_alu 0xfffe
	s_delay_alu instid0(SALU_CYCLE_2) | instskip(NEXT) | instid1(SALU_CYCLE_1)
	s_mul_u64 s[56:57], s[46:47], s[44:45]
	s_mul_hi_u32 s61, s44, s57
	s_mul_i32 s60, s44, s57
	s_mul_hi_u32 s54, s44, s56
	s_mul_i32 s35, s45, s56
	s_add_nc_u64 s[54:55], s[54:55], s[60:61]
	s_mul_hi_u32 s2, s45, s56
	s_mul_hi_u32 s37, s45, s57
	s_wait_alu 0xfffe
	s_add_co_u32 s35, s54, s35
	s_add_co_ci_u32 s58, s55, s2
	s_mul_i32 s56, s45, s57
	s_add_co_ci_u32 s57, s37, 0
	s_delay_alu instid0(SALU_CYCLE_1)
	s_add_nc_u64 s[54:55], s[58:59], s[56:57]
	s_mov_b32 s57, s23
	s_add_co_u32 s44, s44, s54
	s_cselect_b32 s2, -1, 0
	s_wait_alu 0xfffe
	s_cmp_lg_u32 s2, 0
	s_add_co_ci_u32 s45, s45, s55
	s_mov_b32 s55, s23
	s_wait_alu 0xfffe
	s_mul_u64 s[46:47], s[46:47], s[44:45]
	s_wait_alu 0xfffe
	s_mul_hi_u32 s59, s44, s47
	s_mul_i32 s58, s44, s47
	s_mul_hi_u32 s56, s44, s46
	s_mul_i32 s35, s45, s46
	s_add_nc_u64 s[56:57], s[56:57], s[58:59]
	s_mul_hi_u32 s2, s45, s46
	s_mul_hi_u32 s37, s45, s47
	s_wait_alu 0xfffe
	s_add_co_u32 s35, s56, s35
	s_add_co_ci_u32 s54, s57, s2
	s_mul_i32 s46, s45, s47
	s_add_co_ci_u32 s47, s37, 0
	s_wait_alu 0xfffe
	s_add_nc_u64 s[46:47], s[54:55], s[46:47]
	s_wait_alu 0xfffe
	s_add_co_u32 s2, s44, s46
	s_cselect_b32 s35, -1, 0
	s_wait_alu 0xfffe
	v_mul_hi_u32 v9, v5, s2
	s_cmp_lg_u32 s35, 0
	v_mad_co_u64_u32 v[13:14], null, v7, s2, 0
	s_add_co_ci_u32 s35, s45, s47
	s_wait_alu 0xfffe
	v_mad_co_u64_u32 v[11:12], null, v5, s35, 0
	v_mad_co_u64_u32 v[15:16], null, v7, s35, 0
	s_delay_alu instid0(VALU_DEP_2) | instskip(SKIP_1) | instid1(VALU_DEP_3)
	v_add_co_u32 v9, vcc_lo, v9, v11
	s_wait_alu 0xfffd
	v_add_co_ci_u32_e64 v11, null, 0, v12, vcc_lo
	s_delay_alu instid0(VALU_DEP_2) | instskip(SKIP_1) | instid1(VALU_DEP_2)
	v_add_co_u32 v9, vcc_lo, v9, v13
	s_wait_alu 0xfffd
	v_add_co_ci_u32_e32 v9, vcc_lo, v11, v14, vcc_lo
	s_wait_alu 0xfffd
	v_add_co_ci_u32_e32 v11, vcc_lo, 0, v16, vcc_lo
	s_delay_alu instid0(VALU_DEP_2) | instskip(SKIP_1) | instid1(VALU_DEP_2)
	v_add_co_u32 v9, vcc_lo, v9, v15
	s_wait_alu 0xfffd
	v_add_co_ci_u32_e64 v13, null, 0, v11, vcc_lo
	s_delay_alu instid0(VALU_DEP_2) | instskip(SKIP_1) | instid1(VALU_DEP_3)
	v_mul_lo_u32 v14, s43, v9
	v_mad_co_u64_u32 v[11:12], null, s42, v9, 0
	v_mul_lo_u32 v15, s42, v13
	s_delay_alu instid0(VALU_DEP_2) | instskip(NEXT) | instid1(VALU_DEP_2)
	v_sub_co_u32 v5, vcc_lo, v5, v11
	v_add3_u32 v12, v12, v15, v14
	s_delay_alu instid0(VALU_DEP_1) | instskip(SKIP_2) | instid1(VALU_DEP_2)
	v_sub_nc_u32_e32 v14, v7, v12
	s_wait_alu 0xfffd
	v_sub_co_ci_u32_e64 v7, null, v7, v12, vcc_lo
	v_subrev_co_ci_u32_e64 v11, null, s43, v14, vcc_lo
	v_add_co_u32 v14, s2, v9, 2
	s_wait_alu 0xf1ff
	v_add_co_ci_u32_e64 v15, null, 0, v13, s2
	v_sub_co_u32 v16, s2, v5, s42
	s_wait_alu 0xf1ff
	v_subrev_co_ci_u32_e64 v11, null, 0, v11, s2
	s_delay_alu instid0(VALU_DEP_2) | instskip(SKIP_2) | instid1(VALU_DEP_3)
	v_cmp_le_u32_e32 vcc_lo, s42, v16
	s_wait_alu 0xfffd
	v_cndmask_b32_e64 v12, 0, -1, vcc_lo
	v_cmp_le_u32_e32 vcc_lo, s43, v11
	s_wait_alu 0xfffd
	v_cndmask_b32_e64 v16, 0, -1, vcc_lo
	;; [unrolled: 3-line block ×4, first 2 shown]
	v_cmp_eq_u32_e32 vcc_lo, s43, v11
	s_wait_alu 0xfffd
	v_cndmask_b32_e32 v11, v16, v12, vcc_lo
	v_add_co_u32 v12, vcc_lo, v9, 1
	s_wait_alu 0xfffd
	v_add_co_ci_u32_e64 v16, null, 0, v13, vcc_lo
	v_cmp_eq_u32_e32 vcc_lo, s43, v7
	s_wait_alu 0xfffd
	v_cndmask_b32_e32 v5, v17, v5, vcc_lo
	v_cmp_ne_u32_e32 vcc_lo, 0, v11
	s_delay_alu instid0(VALU_DEP_2) | instskip(SKIP_4) | instid1(VALU_DEP_2)
	v_cmp_ne_u32_e64 s2, 0, v5
	s_wait_alu 0xfffd
	v_cndmask_b32_e32 v5, v12, v14, vcc_lo
	v_cndmask_b32_e32 v7, v16, v15, vcc_lo
	s_wait_alu 0xf1ff
	v_cndmask_b32_e64 v5, v9, v5, s2
	s_delay_alu instid0(VALU_DEP_2) | instskip(NEXT) | instid1(VALU_DEP_2)
	v_cndmask_b32_e64 v7, v13, v7, s2
	v_xor_b32_e32 v5, v5, v3
	s_delay_alu instid0(VALU_DEP_2) | instskip(NEXT) | instid1(VALU_DEP_2)
	v_xor_b32_e32 v7, v7, v3
	v_sub_co_u32 v12, vcc_lo, v5, v3
	s_wait_alu 0xfffd
	s_delay_alu instid0(VALU_DEP_2)
	v_sub_co_ci_u32_e64 v13, null, v7, v3, vcc_lo
.LBB65_26:                              ;   in Loop: Header=BB65_20 Depth=2
	s_wait_alu 0xfffe
	s_and_not1_saveexec_b32 s2, s31
	s_cbranch_execz .LBB65_28
; %bb.27:                               ;   in Loop: Header=BB65_20 Depth=2
	v_cvt_f32_u32_e32 v3, s34
	s_sub_co_i32 s31, 0, s34
	v_mov_b32_e32 v13, v2
	s_delay_alu instid0(VALU_DEP_2) | instskip(NEXT) | instid1(TRANS32_DEP_1)
	v_rcp_iflag_f32_e32 v3, v3
	v_mul_f32_e32 v3, 0x4f7ffffe, v3
	s_delay_alu instid0(VALU_DEP_1) | instskip(SKIP_1) | instid1(VALU_DEP_1)
	v_cvt_u32_f32_e32 v3, v3
	s_wait_alu 0xfffe
	v_mul_lo_u32 v5, s31, v3
	s_delay_alu instid0(VALU_DEP_1) | instskip(NEXT) | instid1(VALU_DEP_1)
	v_mul_hi_u32 v5, v3, v5
	v_add_nc_u32_e32 v3, v3, v5
	s_delay_alu instid0(VALU_DEP_1) | instskip(NEXT) | instid1(VALU_DEP_1)
	v_mul_hi_u32 v3, v10, v3
	v_mul_lo_u32 v5, v3, s34
	v_add_nc_u32_e32 v7, 1, v3
	s_delay_alu instid0(VALU_DEP_2) | instskip(NEXT) | instid1(VALU_DEP_1)
	v_sub_nc_u32_e32 v5, v10, v5
	v_cmp_le_u32_e32 vcc_lo, s34, v5
	v_subrev_nc_u32_e32 v9, s34, v5
	s_wait_alu 0xfffd
	v_cndmask_b32_e32 v3, v3, v7, vcc_lo
	s_delay_alu instid0(VALU_DEP_1) | instskip(NEXT) | instid1(VALU_DEP_3)
	v_add_nc_u32_e32 v7, 1, v3
	v_cndmask_b32_e32 v5, v5, v9, vcc_lo
	s_delay_alu instid0(VALU_DEP_1) | instskip(SKIP_1) | instid1(VALU_DEP_3)
	v_cmp_le_u32_e32 vcc_lo, s34, v5
	s_wait_alu 0xfffd
	v_cndmask_b32_e32 v12, v3, v7, vcc_lo
.LBB65_28:                              ;   in Loop: Header=BB65_20 Depth=2
	s_wait_alu 0xfffe
	s_or_b32 exec_lo, exec_lo, s2
	s_add_co_i32 s36, s22, -2
	s_mov_b32 s37, s23
	s_add_nc_u64 s[40:41], s[0:1], s[40:41]
	s_wait_alu 0xfffe
	s_lshl_b64 s[46:47], s[36:37], 2
                                        ; implicit-def: $vgpr14_vgpr15
	s_mov_b32 s2, exec_lo
	s_wait_alu 0xfffe
	s_add_nc_u64 s[44:45], s[12:13], s[46:47]
	s_clause 0x2
	s_load_b32 s36, s[44:45], 0x8
	s_load_b32 s31, s[38:39], 0x6c
	;; [unrolled: 1-line block ×3, first 2 shown]
	s_wait_kmcnt 0x0
	s_ashr_i32 s37, s36, 31
	s_wait_alu 0xfffe
	v_or_b32_e32 v3, s37, v13
	s_delay_alu instid0(VALU_DEP_1)
	v_cmpx_ne_u64_e32 0, v[2:3]
	s_xor_b32 s42, exec_lo, s2
	s_cbranch_execz .LBB65_30
; %bb.29:                               ;   in Loop: Header=BB65_20 Depth=2
	s_ashr_i32 s38, s37, 31
	s_mov_b32 s59, s23
	s_wait_alu 0xfffe
	s_mov_b32 s39, s38
	s_mov_b32 s63, s23
	s_wait_alu 0xfffe
	s_add_nc_u64 s[40:41], s[36:37], s[38:39]
	v_ashrrev_i32_e32 v3, 31, v13
	s_wait_alu 0xfffe
	s_xor_b64 s[40:41], s[40:41], s[38:39]
	s_wait_alu 0xfffe
	s_cvt_f32_u32 s2, s40
	s_cvt_f32_u32 s37, s41
	s_sub_nc_u64 s[56:57], 0, s[40:41]
	v_add_co_u32 v5, vcc_lo, v12, v3
	s_wait_alu 0xfffe
	s_fmamk_f32 s2, s37, 0x4f800000, s2
	s_wait_alu 0xfffd
	v_add_co_ci_u32_e64 v7, null, v13, v3, vcc_lo
	v_xor_b32_e32 v5, v5, v3
	s_wait_alu 0xfffe
	v_s_rcp_f32 s2, s2
	s_delay_alu instid0(VALU_DEP_2) | instskip(SKIP_1) | instid1(TRANS32_DEP_1)
	v_xor_b32_e32 v7, v7, v3
	v_xor_b32_e32 v3, s38, v3
	s_mul_f32 s2, s2, 0x5f7ffffc
	s_wait_alu 0xfffe
	s_delay_alu instid0(SALU_CYCLE_2) | instskip(SKIP_1) | instid1(SALU_CYCLE_2)
	s_mul_f32 s37, s2, 0x2f800000
	s_wait_alu 0xfffe
	s_trunc_f32 s37, s37
	s_wait_alu 0xfffe
	s_delay_alu instid0(SALU_CYCLE_2) | instskip(SKIP_2) | instid1(SALU_CYCLE_1)
	s_fmamk_f32 s2, s37, 0xcf800000, s2
	s_cvt_u32_f32 s55, s37
	s_wait_alu 0xfffe
	s_cvt_u32_f32 s54, s2
	s_delay_alu instid0(SALU_CYCLE_3) | instskip(NEXT) | instid1(SALU_CYCLE_1)
	s_mul_u64 s[60:61], s[56:57], s[54:55]
	s_mul_hi_u32 s65, s54, s61
	s_mul_i32 s64, s54, s61
	s_mul_hi_u32 s58, s54, s60
	s_mul_i32 s37, s55, s60
	s_add_nc_u64 s[58:59], s[58:59], s[64:65]
	s_mul_hi_u32 s2, s55, s60
	s_mul_hi_u32 s39, s55, s61
	s_wait_alu 0xfffe
	s_add_co_u32 s37, s58, s37
	s_add_co_ci_u32 s62, s59, s2
	s_mul_i32 s60, s55, s61
	s_add_co_ci_u32 s61, s39, 0
	s_delay_alu instid0(SALU_CYCLE_1)
	s_add_nc_u64 s[58:59], s[62:63], s[60:61]
	s_mov_b32 s61, s23
	s_add_co_u32 s54, s54, s58
	s_cselect_b32 s2, -1, 0
	s_wait_alu 0xfffe
	s_cmp_lg_u32 s2, 0
	s_add_co_ci_u32 s55, s55, s59
	s_mov_b32 s59, s23
	s_mul_u64 s[56:57], s[56:57], s[54:55]
	s_delay_alu instid0(SALU_CYCLE_1)
	s_mul_hi_u32 s63, s54, s57
	s_mul_i32 s62, s54, s57
	s_mul_hi_u32 s60, s54, s56
	s_mul_i32 s37, s55, s56
	s_add_nc_u64 s[60:61], s[60:61], s[62:63]
	s_mul_hi_u32 s2, s55, s56
	s_mul_hi_u32 s39, s55, s57
	s_wait_alu 0xfffe
	s_add_co_u32 s37, s60, s37
	s_add_co_ci_u32 s58, s61, s2
	s_mul_i32 s56, s55, s57
	s_add_co_ci_u32 s57, s39, 0
	s_delay_alu instid0(SALU_CYCLE_1) | instskip(NEXT) | instid1(SALU_CYCLE_1)
	s_add_nc_u64 s[56:57], s[58:59], s[56:57]
	s_add_co_u32 s2, s54, s56
	s_cselect_b32 s37, -1, 0
	s_wait_alu 0xfffe
	v_mul_hi_u32 v9, v5, s2
	s_cmp_lg_u32 s37, 0
	v_mad_co_u64_u32 v[15:16], null, v7, s2, 0
	s_add_co_ci_u32 s37, s55, s57
	s_wait_alu 0xfffe
	v_mad_co_u64_u32 v[13:14], null, v5, s37, 0
	v_mad_co_u64_u32 v[22:23], null, v7, s37, 0
	s_delay_alu instid0(VALU_DEP_2) | instskip(SKIP_1) | instid1(VALU_DEP_3)
	v_add_co_u32 v9, vcc_lo, v9, v13
	s_wait_alu 0xfffd
	v_add_co_ci_u32_e64 v11, null, 0, v14, vcc_lo
	s_delay_alu instid0(VALU_DEP_2) | instskip(SKIP_1) | instid1(VALU_DEP_2)
	v_add_co_u32 v9, vcc_lo, v9, v15
	s_wait_alu 0xfffd
	v_add_co_ci_u32_e32 v9, vcc_lo, v11, v16, vcc_lo
	s_wait_alu 0xfffd
	v_add_co_ci_u32_e32 v11, vcc_lo, 0, v23, vcc_lo
	s_delay_alu instid0(VALU_DEP_2) | instskip(SKIP_1) | instid1(VALU_DEP_2)
	v_add_co_u32 v9, vcc_lo, v9, v22
	s_wait_alu 0xfffd
	v_add_co_ci_u32_e64 v11, null, 0, v11, vcc_lo
	s_delay_alu instid0(VALU_DEP_2) | instskip(SKIP_1) | instid1(VALU_DEP_3)
	v_mul_lo_u32 v15, s41, v9
	v_mad_co_u64_u32 v[13:14], null, s40, v9, 0
	v_mul_lo_u32 v16, s40, v11
	s_delay_alu instid0(VALU_DEP_2) | instskip(NEXT) | instid1(VALU_DEP_2)
	v_sub_co_u32 v5, vcc_lo, v5, v13
	v_add3_u32 v14, v14, v16, v15
	s_delay_alu instid0(VALU_DEP_1) | instskip(SKIP_2) | instid1(VALU_DEP_2)
	v_sub_nc_u32_e32 v15, v7, v14
	s_wait_alu 0xfffd
	v_sub_co_ci_u32_e64 v7, null, v7, v14, vcc_lo
	v_subrev_co_ci_u32_e64 v13, null, s41, v15, vcc_lo
	v_add_co_u32 v15, s2, v9, 2
	s_wait_alu 0xf1ff
	v_add_co_ci_u32_e64 v16, null, 0, v11, s2
	v_sub_co_u32 v17, s2, v5, s40
	s_wait_alu 0xf1ff
	v_subrev_co_ci_u32_e64 v13, null, 0, v13, s2
	s_delay_alu instid0(VALU_DEP_2) | instskip(SKIP_2) | instid1(VALU_DEP_3)
	v_cmp_le_u32_e32 vcc_lo, s40, v17
	s_wait_alu 0xfffd
	v_cndmask_b32_e64 v14, 0, -1, vcc_lo
	v_cmp_le_u32_e32 vcc_lo, s41, v13
	s_wait_alu 0xfffd
	v_cndmask_b32_e64 v17, 0, -1, vcc_lo
	;; [unrolled: 3-line block ×4, first 2 shown]
	v_cmp_eq_u32_e32 vcc_lo, s41, v13
	s_wait_alu 0xfffd
	v_cndmask_b32_e32 v13, v17, v14, vcc_lo
	v_add_co_u32 v14, vcc_lo, v9, 1
	s_wait_alu 0xfffd
	v_add_co_ci_u32_e64 v17, null, 0, v11, vcc_lo
	v_cmp_eq_u32_e32 vcc_lo, s41, v7
	s_wait_alu 0xfffd
	v_cndmask_b32_e32 v5, v22, v5, vcc_lo
	v_cmp_ne_u32_e32 vcc_lo, 0, v13
	s_delay_alu instid0(VALU_DEP_2) | instskip(SKIP_4) | instid1(VALU_DEP_2)
	v_cmp_ne_u32_e64 s2, 0, v5
	s_wait_alu 0xfffd
	v_cndmask_b32_e32 v5, v14, v15, vcc_lo
	v_cndmask_b32_e32 v7, v17, v16, vcc_lo
	s_wait_alu 0xf1ff
	v_cndmask_b32_e64 v5, v9, v5, s2
	s_delay_alu instid0(VALU_DEP_2) | instskip(NEXT) | instid1(VALU_DEP_2)
	v_cndmask_b32_e64 v7, v11, v7, s2
	v_xor_b32_e32 v5, v5, v3
	s_delay_alu instid0(VALU_DEP_2) | instskip(NEXT) | instid1(VALU_DEP_2)
	v_xor_b32_e32 v7, v7, v3
	v_sub_co_u32 v14, vcc_lo, v5, v3
	s_wait_alu 0xfffd
	s_delay_alu instid0(VALU_DEP_2)
	v_sub_co_ci_u32_e64 v15, null, v7, v3, vcc_lo
.LBB65_30:                              ;   in Loop: Header=BB65_20 Depth=2
	s_wait_alu 0xfffe
	s_and_not1_saveexec_b32 s2, s42
	s_cbranch_execz .LBB65_32
; %bb.31:                               ;   in Loop: Header=BB65_20 Depth=2
	v_cvt_f32_u32_e32 v3, s36
	s_sub_co_i32 s37, 0, s36
	v_mov_b32_e32 v15, v2
	s_delay_alu instid0(VALU_DEP_2) | instskip(NEXT) | instid1(TRANS32_DEP_1)
	v_rcp_iflag_f32_e32 v3, v3
	v_mul_f32_e32 v3, 0x4f7ffffe, v3
	s_delay_alu instid0(VALU_DEP_1) | instskip(SKIP_1) | instid1(VALU_DEP_1)
	v_cvt_u32_f32_e32 v3, v3
	s_wait_alu 0xfffe
	v_mul_lo_u32 v5, s37, v3
	s_delay_alu instid0(VALU_DEP_1) | instskip(NEXT) | instid1(VALU_DEP_1)
	v_mul_hi_u32 v5, v3, v5
	v_add_nc_u32_e32 v3, v3, v5
	s_delay_alu instid0(VALU_DEP_1) | instskip(NEXT) | instid1(VALU_DEP_1)
	v_mul_hi_u32 v3, v12, v3
	v_mul_lo_u32 v5, v3, s36
	v_add_nc_u32_e32 v7, 1, v3
	s_delay_alu instid0(VALU_DEP_2) | instskip(NEXT) | instid1(VALU_DEP_1)
	v_sub_nc_u32_e32 v5, v12, v5
	v_cmp_le_u32_e32 vcc_lo, s36, v5
	v_subrev_nc_u32_e32 v9, s36, v5
	s_wait_alu 0xfffd
	v_cndmask_b32_e32 v3, v3, v7, vcc_lo
	s_delay_alu instid0(VALU_DEP_1) | instskip(NEXT) | instid1(VALU_DEP_3)
	v_add_nc_u32_e32 v7, 1, v3
	v_cndmask_b32_e32 v5, v5, v9, vcc_lo
	s_delay_alu instid0(VALU_DEP_1) | instskip(SKIP_1) | instid1(VALU_DEP_3)
	v_cmp_le_u32_e32 vcc_lo, s36, v5
	s_wait_alu 0xfffd
	v_cndmask_b32_e32 v14, v3, v7, vcc_lo
.LBB65_32:                              ;   in Loop: Header=BB65_20 Depth=2
	s_wait_alu 0xfffe
	s_or_b32 exec_lo, exec_lo, s2
	s_add_co_i32 s38, s22, -3
	s_mov_b32 s39, s23
	s_add_nc_u64 s[46:47], s[0:1], s[46:47]
	s_wait_alu 0xfffe
	s_lshl_b64 s[42:43], s[38:39], 2
                                        ; implicit-def: $vgpr16_vgpr17
	s_mov_b32 s2, exec_lo
	s_wait_alu 0xfffe
	s_add_nc_u64 s[40:41], s[12:13], s[42:43]
	s_clause 0x2
	s_load_b32 s38, s[40:41], 0x8
	s_load_b32 s37, s[44:45], 0x6c
	;; [unrolled: 1-line block ×3, first 2 shown]
	s_wait_kmcnt 0x0
	s_ashr_i32 s39, s38, 31
	s_wait_alu 0xfffe
	v_or_b32_e32 v3, s39, v15
	s_delay_alu instid0(VALU_DEP_1)
	v_cmpx_ne_u64_e32 0, v[2:3]
	s_xor_b32 s54, exec_lo, s2
	s_cbranch_execz .LBB65_34
; %bb.33:                               ;   in Loop: Header=BB65_20 Depth=2
	s_ashr_i32 s44, s39, 31
	s_mov_b32 s61, s23
	s_wait_alu 0xfffe
	s_mov_b32 s45, s44
	s_mov_b32 s65, s23
	s_wait_alu 0xfffe
	s_add_nc_u64 s[46:47], s[38:39], s[44:45]
	v_ashrrev_i32_e32 v3, 31, v15
	s_wait_alu 0xfffe
	s_xor_b64 s[46:47], s[46:47], s[44:45]
	s_wait_alu 0xfffe
	s_cvt_f32_u32 s2, s46
	s_cvt_f32_u32 s39, s47
	s_sub_nc_u64 s[58:59], 0, s[46:47]
	v_add_co_u32 v5, vcc_lo, v14, v3
	s_wait_alu 0xfffe
	s_fmamk_f32 s2, s39, 0x4f800000, s2
	s_wait_alu 0xfffd
	v_add_co_ci_u32_e64 v7, null, v15, v3, vcc_lo
	v_xor_b32_e32 v5, v5, v3
	s_wait_alu 0xfffe
	v_s_rcp_f32 s2, s2
	s_delay_alu instid0(VALU_DEP_2) | instskip(SKIP_1) | instid1(TRANS32_DEP_1)
	v_xor_b32_e32 v7, v7, v3
	v_xor_b32_e32 v3, s44, v3
	s_mul_f32 s2, s2, 0x5f7ffffc
	s_wait_alu 0xfffe
	s_delay_alu instid0(SALU_CYCLE_2) | instskip(SKIP_1) | instid1(SALU_CYCLE_2)
	s_mul_f32 s39, s2, 0x2f800000
	s_wait_alu 0xfffe
	s_trunc_f32 s39, s39
	s_wait_alu 0xfffe
	s_delay_alu instid0(SALU_CYCLE_2) | instskip(SKIP_2) | instid1(SALU_CYCLE_1)
	s_fmamk_f32 s2, s39, 0xcf800000, s2
	s_cvt_u32_f32 s57, s39
	s_wait_alu 0xfffe
	s_cvt_u32_f32 s56, s2
	s_delay_alu instid0(SALU_CYCLE_3) | instskip(NEXT) | instid1(SALU_CYCLE_1)
	s_mul_u64 s[62:63], s[58:59], s[56:57]
	s_mul_hi_u32 s67, s56, s63
	s_mul_i32 s66, s56, s63
	s_mul_hi_u32 s60, s56, s62
	s_mul_i32 s39, s57, s62
	s_add_nc_u64 s[60:61], s[60:61], s[66:67]
	s_mul_hi_u32 s2, s57, s62
	s_mul_hi_u32 s45, s57, s63
	s_wait_alu 0xfffe
	s_add_co_u32 s39, s60, s39
	s_add_co_ci_u32 s64, s61, s2
	s_mul_i32 s62, s57, s63
	s_add_co_ci_u32 s63, s45, 0
	s_delay_alu instid0(SALU_CYCLE_1)
	s_add_nc_u64 s[60:61], s[64:65], s[62:63]
	s_mov_b32 s63, s23
	s_add_co_u32 s56, s56, s60
	s_cselect_b32 s2, -1, 0
	s_wait_alu 0xfffe
	s_cmp_lg_u32 s2, 0
	s_add_co_ci_u32 s57, s57, s61
	s_mov_b32 s61, s23
	s_mul_u64 s[58:59], s[58:59], s[56:57]
	s_delay_alu instid0(SALU_CYCLE_1)
	s_mul_hi_u32 s65, s56, s59
	s_mul_i32 s64, s56, s59
	s_mul_hi_u32 s62, s56, s58
	s_mul_i32 s39, s57, s58
	s_add_nc_u64 s[62:63], s[62:63], s[64:65]
	s_mul_hi_u32 s2, s57, s58
	s_mul_hi_u32 s45, s57, s59
	s_wait_alu 0xfffe
	s_add_co_u32 s39, s62, s39
	s_add_co_ci_u32 s60, s63, s2
	s_mul_i32 s58, s57, s59
	s_add_co_ci_u32 s59, s45, 0
	s_delay_alu instid0(SALU_CYCLE_1) | instskip(NEXT) | instid1(SALU_CYCLE_1)
	s_add_nc_u64 s[58:59], s[60:61], s[58:59]
	s_add_co_u32 s2, s56, s58
	s_cselect_b32 s39, -1, 0
	s_wait_alu 0xfffe
	v_mul_hi_u32 v9, v5, s2
	s_cmp_lg_u32 s39, 0
	v_mad_co_u64_u32 v[22:23], null, v7, s2, 0
	s_add_co_ci_u32 s39, s57, s59
	s_wait_alu 0xfffe
	v_mad_co_u64_u32 v[15:16], null, v5, s39, 0
	v_mad_co_u64_u32 v[24:25], null, v7, s39, 0
	s_delay_alu instid0(VALU_DEP_2) | instskip(SKIP_1) | instid1(VALU_DEP_3)
	v_add_co_u32 v9, vcc_lo, v9, v15
	s_wait_alu 0xfffd
	v_add_co_ci_u32_e64 v11, null, 0, v16, vcc_lo
	s_delay_alu instid0(VALU_DEP_2) | instskip(SKIP_1) | instid1(VALU_DEP_2)
	v_add_co_u32 v9, vcc_lo, v9, v22
	s_wait_alu 0xfffd
	v_add_co_ci_u32_e32 v9, vcc_lo, v11, v23, vcc_lo
	s_wait_alu 0xfffd
	v_add_co_ci_u32_e32 v11, vcc_lo, 0, v25, vcc_lo
	s_delay_alu instid0(VALU_DEP_2) | instskip(SKIP_1) | instid1(VALU_DEP_2)
	v_add_co_u32 v9, vcc_lo, v9, v24
	s_wait_alu 0xfffd
	v_add_co_ci_u32_e64 v11, null, 0, v11, vcc_lo
	s_delay_alu instid0(VALU_DEP_2) | instskip(SKIP_1) | instid1(VALU_DEP_3)
	v_mul_lo_u32 v13, s47, v9
	v_mad_co_u64_u32 v[15:16], null, s46, v9, 0
	v_mul_lo_u32 v17, s46, v11
	s_delay_alu instid0(VALU_DEP_2) | instskip(NEXT) | instid1(VALU_DEP_2)
	v_sub_co_u32 v5, vcc_lo, v5, v15
	v_add3_u32 v13, v16, v17, v13
	s_delay_alu instid0(VALU_DEP_1) | instskip(SKIP_2) | instid1(VALU_DEP_2)
	v_sub_nc_u32_e32 v16, v7, v13
	s_wait_alu 0xfffd
	v_sub_co_ci_u32_e64 v7, null, v7, v13, vcc_lo
	v_subrev_co_ci_u32_e64 v15, null, s47, v16, vcc_lo
	v_add_co_u32 v16, s2, v9, 2
	s_wait_alu 0xf1ff
	v_add_co_ci_u32_e64 v17, null, 0, v11, s2
	v_sub_co_u32 v22, s2, v5, s46
	s_wait_alu 0xf1ff
	v_subrev_co_ci_u32_e64 v15, null, 0, v15, s2
	s_delay_alu instid0(VALU_DEP_2) | instskip(SKIP_2) | instid1(VALU_DEP_3)
	v_cmp_le_u32_e32 vcc_lo, s46, v22
	s_wait_alu 0xfffd
	v_cndmask_b32_e64 v13, 0, -1, vcc_lo
	v_cmp_le_u32_e32 vcc_lo, s47, v15
	s_wait_alu 0xfffd
	v_cndmask_b32_e64 v22, 0, -1, vcc_lo
	;; [unrolled: 3-line block ×4, first 2 shown]
	v_cmp_eq_u32_e32 vcc_lo, s47, v15
	s_wait_alu 0xfffd
	v_cndmask_b32_e32 v13, v22, v13, vcc_lo
	v_add_co_u32 v15, vcc_lo, v9, 1
	s_wait_alu 0xfffd
	v_add_co_ci_u32_e64 v22, null, 0, v11, vcc_lo
	v_cmp_eq_u32_e32 vcc_lo, s47, v7
	s_wait_alu 0xfffd
	v_cndmask_b32_e32 v5, v23, v5, vcc_lo
	v_cmp_ne_u32_e32 vcc_lo, 0, v13
	s_delay_alu instid0(VALU_DEP_2) | instskip(SKIP_4) | instid1(VALU_DEP_2)
	v_cmp_ne_u32_e64 s2, 0, v5
	s_wait_alu 0xfffd
	v_cndmask_b32_e32 v5, v15, v16, vcc_lo
	v_cndmask_b32_e32 v7, v22, v17, vcc_lo
	s_wait_alu 0xf1ff
	v_cndmask_b32_e64 v5, v9, v5, s2
	s_delay_alu instid0(VALU_DEP_2) | instskip(NEXT) | instid1(VALU_DEP_2)
	v_cndmask_b32_e64 v7, v11, v7, s2
	v_xor_b32_e32 v5, v5, v3
	s_delay_alu instid0(VALU_DEP_2) | instskip(NEXT) | instid1(VALU_DEP_2)
	v_xor_b32_e32 v7, v7, v3
	v_sub_co_u32 v16, vcc_lo, v5, v3
	s_wait_alu 0xfffd
	s_delay_alu instid0(VALU_DEP_2)
	v_sub_co_ci_u32_e64 v17, null, v7, v3, vcc_lo
.LBB65_34:                              ;   in Loop: Header=BB65_20 Depth=2
	s_and_not1_saveexec_b32 s2, s54
	s_cbranch_execz .LBB65_36
; %bb.35:                               ;   in Loop: Header=BB65_20 Depth=2
	v_cvt_f32_u32_e32 v3, s38
	s_sub_co_i32 s39, 0, s38
	v_mov_b32_e32 v17, v2
	s_delay_alu instid0(VALU_DEP_2) | instskip(NEXT) | instid1(TRANS32_DEP_1)
	v_rcp_iflag_f32_e32 v3, v3
	v_mul_f32_e32 v3, 0x4f7ffffe, v3
	s_delay_alu instid0(VALU_DEP_1) | instskip(SKIP_1) | instid1(VALU_DEP_1)
	v_cvt_u32_f32_e32 v3, v3
	s_wait_alu 0xfffe
	v_mul_lo_u32 v5, s39, v3
	s_delay_alu instid0(VALU_DEP_1) | instskip(NEXT) | instid1(VALU_DEP_1)
	v_mul_hi_u32 v5, v3, v5
	v_add_nc_u32_e32 v3, v3, v5
	s_delay_alu instid0(VALU_DEP_1) | instskip(NEXT) | instid1(VALU_DEP_1)
	v_mul_hi_u32 v3, v14, v3
	v_mul_lo_u32 v5, v3, s38
	v_add_nc_u32_e32 v7, 1, v3
	s_delay_alu instid0(VALU_DEP_2) | instskip(NEXT) | instid1(VALU_DEP_1)
	v_sub_nc_u32_e32 v5, v14, v5
	v_cmp_le_u32_e32 vcc_lo, s38, v5
	v_subrev_nc_u32_e32 v9, s38, v5
	s_wait_alu 0xfffd
	v_cndmask_b32_e32 v3, v3, v7, vcc_lo
	s_delay_alu instid0(VALU_DEP_1) | instskip(NEXT) | instid1(VALU_DEP_3)
	v_add_nc_u32_e32 v7, 1, v3
	v_cndmask_b32_e32 v5, v5, v9, vcc_lo
	s_delay_alu instid0(VALU_DEP_1) | instskip(SKIP_1) | instid1(VALU_DEP_3)
	v_cmp_le_u32_e32 vcc_lo, s38, v5
	s_wait_alu 0xfffd
	v_cndmask_b32_e32 v16, v3, v7, vcc_lo
.LBB65_36:                              ;   in Loop: Header=BB65_20 Depth=2
	s_wait_alu 0xfffe
	s_or_b32 exec_lo, exec_lo, s2
	s_add_nc_u64 s[42:43], s[0:1], s[42:43]
	v_mul_lo_u32 v3, v10, s30
	s_clause 0x1
	s_load_b32 s2, s[40:41], 0x6c
	s_load_b32 s30, s[42:43], 0x6c
	v_mul_lo_u32 v5, v12, s34
	v_mul_lo_u32 v7, v14, s36
	;; [unrolled: 1-line block ×3, first 2 shown]
	s_add_co_i32 s22, s22, -4
	s_wait_alu 0xfffe
	s_cmp_eq_u32 s22, -1
	v_sub_nc_u32_e32 v3, v8, v3
	s_delay_alu instid0(VALU_DEP_4) | instskip(NEXT) | instid1(VALU_DEP_4)
	v_sub_nc_u32_e32 v5, v10, v5
	v_sub_nc_u32_e32 v7, v12, v7
	s_delay_alu instid0(VALU_DEP_4) | instskip(NEXT) | instid1(VALU_DEP_4)
	v_sub_nc_u32_e32 v8, v14, v9
	v_mul_lo_u32 v9, s19, v3
	v_mul_lo_u32 v3, s29, v3
	v_mul_lo_u32 v10, s31, v5
	v_mul_lo_u32 v5, s35, v5
	v_mul_lo_u32 v11, s37, v7
	v_mul_lo_u32 v7, s53, v7
	s_wait_kmcnt 0x0
	v_mul_lo_u32 v12, s2, v8
	v_mul_lo_u32 v8, s30, v8
	v_add3_u32 v6, v9, v6, v10
	v_add3_u32 v3, v3, v4, v5
	s_delay_alu instid0(VALU_DEP_2) | instskip(NEXT) | instid1(VALU_DEP_2)
	v_add3_u32 v6, v11, v6, v12
	v_add3_u32 v4, v7, v3, v8
	s_cbranch_scc1 .LBB65_38
; %bb.37:                               ;   in Loop: Header=BB65_20 Depth=2
	v_dual_mov_b32 v8, v16 :: v_dual_mov_b32 v9, v17
	s_branch .LBB65_20
.LBB65_38:                              ;   in Loop: Header=BB65_3 Depth=1
	v_sub_nc_u32_e32 v5, v20, v21
	v_mov_b32_e32 v7, 0
	v_mov_b32_e32 v11, 0
	;; [unrolled: 1-line block ×3, first 2 shown]
	s_mov_b32 s19, exec_lo
	v_dual_mov_b32 v8, 0 :: v_dual_add_nc_u32 v9, 2, v5
	s_delay_alu instid0(VALU_DEP_1) | instskip(NEXT) | instid1(VALU_DEP_1)
	v_ashrrev_i32_e32 v10, 31, v9
	v_cmpx_le_i64_e64 s[4:5], v[9:10]
	s_cbranch_execz .LBB65_44
; %bb.39:                               ;   in Loop: Header=BB65_3 Depth=1
	v_mov_b32_e32 v7, 0
	v_dual_mov_b32 v8, 0 :: v_dual_mov_b32 v9, 0
	v_mov_b32_e32 v10, 0
	s_mov_b32 s2, exec_lo
	v_cmpx_gt_i32_e64 s3, v20
	s_cbranch_execz .LBB65_43
; %bb.40:                               ;   in Loop: Header=BB65_3 Depth=1
	v_ashrrev_i32_e32 v7, 31, v6
	v_mov_b32_e32 v9, 0
	v_dual_mov_b32 v10, 0 :: v_dual_add_nc_u32 v3, 1, v20
	s_mov_b32 s22, exec_lo
	s_delay_alu instid0(VALU_DEP_3) | instskip(NEXT) | instid1(VALU_DEP_1)
	v_lshlrev_b64_e32 v[6:7], 3, v[6:7]
	v_add_co_u32 v11, vcc_lo, s10, v6
	s_wait_alu 0xfffd
	s_delay_alu instid0(VALU_DEP_2)
	v_add_co_ci_u32_e64 v12, null, s11, v7, vcc_lo
	global_load_b64 v[7:8], v[11:12], off
	v_cmpx_gt_i32_e64 s3, v3
	s_wait_alu 0xfffe
	s_xor_b32 s22, exec_lo, s22
	s_cbranch_execz .LBB65_42
; %bb.41:                               ;   in Loop: Header=BB65_3 Depth=1
	s_lshl_b64 s[30:31], s[24:25], 3
	s_wait_alu 0xfffe
	v_add_co_u32 v9, vcc_lo, v11, s30
	s_wait_alu 0xfffd
	v_add_co_ci_u32_e64 v10, null, s31, v12, vcc_lo
	global_load_b64 v[9:10], v[9:10], off
.LBB65_42:                              ;   in Loop: Header=BB65_3 Depth=1
	s_wait_alu 0xfffe
	s_or_b32 exec_lo, exec_lo, s22
.LBB65_43:                              ;   in Loop: Header=BB65_3 Depth=1
	s_wait_alu 0xfffe
	s_or_b32 exec_lo, exec_lo, s2
	v_ashrrev_i32_e32 v6, 31, v5
	s_delay_alu instid0(VALU_DEP_1) | instskip(SKIP_1) | instid1(VALU_DEP_1)
	v_cmp_le_i64_e32 vcc_lo, s[4:5], v[5:6]
	v_add_nc_u32_e32 v11, 1, v5
	v_ashrrev_i32_e32 v12, 31, v11
	s_delay_alu instid0(VALU_DEP_1) | instskip(SKIP_4) | instid1(VALU_DEP_2)
	v_cmp_le_i64_e64 s2, s[4:5], v[11:12]
	s_wait_loadcnt 0x0
	s_wait_alu 0xfffd
	v_dual_cndmask_b32 v12, 0, v8 :: v_dual_cndmask_b32 v11, 0, v7
	s_wait_alu 0xf1ff
	v_cndmask_b32_e64 v8, 0, v10, s2
	v_cndmask_b32_e64 v7, 0, v9, s2
.LBB65_44:                              ;   in Loop: Header=BB65_3 Depth=1
	s_wait_alu 0xfffe
	s_or_b32 exec_lo, exec_lo, s19
	s_delay_alu instid0(SALU_CYCLE_1)
	s_mov_b32 s2, exec_lo
	v_cmpx_gt_i32_e64 s3, v20
	s_cbranch_execz .LBB65_2
; %bb.45:                               ;   in Loop: Header=BB65_3 Depth=1
	v_ashrrev_i32_e32 v5, 31, v4
	s_mov_b32 s19, exec_lo
	s_delay_alu instid0(VALU_DEP_1) | instskip(SKIP_1) | instid1(VALU_DEP_2)
	v_lshlrev_b64_e32 v[3:4], 3, v[4:5]
	v_add_nc_u32_e32 v5, 1, v20
	v_add_co_u32 v3, vcc_lo, s14, v3
	s_wait_alu 0xfffd
	s_delay_alu instid0(VALU_DEP_3)
	v_add_co_ci_u32_e64 v4, null, s15, v4, vcc_lo
	global_store_b64 v[3:4], v[11:12], off
	v_cmpx_gt_i32_e64 s3, v5
	s_wait_alu 0xfffe
	s_xor_b32 s19, exec_lo, s19
	s_cbranch_execz .LBB65_2
; %bb.46:                               ;   in Loop: Header=BB65_3 Depth=1
	s_lshl_b64 s[30:31], s[26:27], 3
	s_wait_alu 0xfffe
	v_add_co_u32 v3, vcc_lo, v3, s30
	s_wait_alu 0xfffd
	v_add_co_ci_u32_e64 v4, null, s31, v4, vcc_lo
	global_store_b64 v[3:4], v[7:8], off
	s_branch .LBB65_2
.LBB65_47:
	s_endpgm
	.section	.rodata,"a",@progbits
	.p2align	6, 0x0
	.amdhsa_kernel _ZN2at6native16triu_tril_kernelIliLb1ELi2ELb0EEEvNS_4cuda6detail10TensorInfoIT_T0_EENS4_IKS5_S6_EEllS6_
		.amdhsa_group_segment_fixed_size 0
		.amdhsa_private_segment_fixed_size 0
		.amdhsa_kernarg_size 712
		.amdhsa_user_sgpr_count 2
		.amdhsa_user_sgpr_dispatch_ptr 0
		.amdhsa_user_sgpr_queue_ptr 0
		.amdhsa_user_sgpr_kernarg_segment_ptr 1
		.amdhsa_user_sgpr_dispatch_id 0
		.amdhsa_user_sgpr_private_segment_size 0
		.amdhsa_wavefront_size32 1
		.amdhsa_uses_dynamic_stack 0
		.amdhsa_enable_private_segment 0
		.amdhsa_system_sgpr_workgroup_id_x 1
		.amdhsa_system_sgpr_workgroup_id_y 0
		.amdhsa_system_sgpr_workgroup_id_z 0
		.amdhsa_system_sgpr_workgroup_info 0
		.amdhsa_system_vgpr_workitem_id 0
		.amdhsa_next_free_vgpr 26
		.amdhsa_next_free_sgpr 68
		.amdhsa_reserve_vcc 1
		.amdhsa_float_round_mode_32 0
		.amdhsa_float_round_mode_16_64 0
		.amdhsa_float_denorm_mode_32 3
		.amdhsa_float_denorm_mode_16_64 3
		.amdhsa_fp16_overflow 0
		.amdhsa_workgroup_processor_mode 1
		.amdhsa_memory_ordered 1
		.amdhsa_forward_progress 1
		.amdhsa_inst_pref_size 65
		.amdhsa_round_robin_scheduling 0
		.amdhsa_exception_fp_ieee_invalid_op 0
		.amdhsa_exception_fp_denorm_src 0
		.amdhsa_exception_fp_ieee_div_zero 0
		.amdhsa_exception_fp_ieee_overflow 0
		.amdhsa_exception_fp_ieee_underflow 0
		.amdhsa_exception_fp_ieee_inexact 0
		.amdhsa_exception_int_div_zero 0
	.end_amdhsa_kernel
	.section	.text._ZN2at6native16triu_tril_kernelIliLb1ELi2ELb0EEEvNS_4cuda6detail10TensorInfoIT_T0_EENS4_IKS5_S6_EEllS6_,"axG",@progbits,_ZN2at6native16triu_tril_kernelIliLb1ELi2ELb0EEEvNS_4cuda6detail10TensorInfoIT_T0_EENS4_IKS5_S6_EEllS6_,comdat
.Lfunc_end65:
	.size	_ZN2at6native16triu_tril_kernelIliLb1ELi2ELb0EEEvNS_4cuda6detail10TensorInfoIT_T0_EENS4_IKS5_S6_EEllS6_, .Lfunc_end65-_ZN2at6native16triu_tril_kernelIliLb1ELi2ELb0EEEvNS_4cuda6detail10TensorInfoIT_T0_EENS4_IKS5_S6_EEllS6_
                                        ; -- End function
	.set _ZN2at6native16triu_tril_kernelIliLb1ELi2ELb0EEEvNS_4cuda6detail10TensorInfoIT_T0_EENS4_IKS5_S6_EEllS6_.num_vgpr, 26
	.set _ZN2at6native16triu_tril_kernelIliLb1ELi2ELb0EEEvNS_4cuda6detail10TensorInfoIT_T0_EENS4_IKS5_S6_EEllS6_.num_agpr, 0
	.set _ZN2at6native16triu_tril_kernelIliLb1ELi2ELb0EEEvNS_4cuda6detail10TensorInfoIT_T0_EENS4_IKS5_S6_EEllS6_.numbered_sgpr, 68
	.set _ZN2at6native16triu_tril_kernelIliLb1ELi2ELb0EEEvNS_4cuda6detail10TensorInfoIT_T0_EENS4_IKS5_S6_EEllS6_.num_named_barrier, 0
	.set _ZN2at6native16triu_tril_kernelIliLb1ELi2ELb0EEEvNS_4cuda6detail10TensorInfoIT_T0_EENS4_IKS5_S6_EEllS6_.private_seg_size, 0
	.set _ZN2at6native16triu_tril_kernelIliLb1ELi2ELb0EEEvNS_4cuda6detail10TensorInfoIT_T0_EENS4_IKS5_S6_EEllS6_.uses_vcc, 1
	.set _ZN2at6native16triu_tril_kernelIliLb1ELi2ELb0EEEvNS_4cuda6detail10TensorInfoIT_T0_EENS4_IKS5_S6_EEllS6_.uses_flat_scratch, 0
	.set _ZN2at6native16triu_tril_kernelIliLb1ELi2ELb0EEEvNS_4cuda6detail10TensorInfoIT_T0_EENS4_IKS5_S6_EEllS6_.has_dyn_sized_stack, 0
	.set _ZN2at6native16triu_tril_kernelIliLb1ELi2ELb0EEEvNS_4cuda6detail10TensorInfoIT_T0_EENS4_IKS5_S6_EEllS6_.has_recursion, 0
	.set _ZN2at6native16triu_tril_kernelIliLb1ELi2ELb0EEEvNS_4cuda6detail10TensorInfoIT_T0_EENS4_IKS5_S6_EEllS6_.has_indirect_call, 0
	.section	.AMDGPU.csdata,"",@progbits
; Kernel info:
; codeLenInByte = 8312
; TotalNumSgprs: 70
; NumVgprs: 26
; ScratchSize: 0
; MemoryBound: 0
; FloatMode: 240
; IeeeMode: 1
; LDSByteSize: 0 bytes/workgroup (compile time only)
; SGPRBlocks: 0
; VGPRBlocks: 3
; NumSGPRsForWavesPerEU: 70
; NumVGPRsForWavesPerEU: 26
; Occupancy: 16
; WaveLimiterHint : 1
; COMPUTE_PGM_RSRC2:SCRATCH_EN: 0
; COMPUTE_PGM_RSRC2:USER_SGPR: 2
; COMPUTE_PGM_RSRC2:TRAP_HANDLER: 0
; COMPUTE_PGM_RSRC2:TGID_X_EN: 1
; COMPUTE_PGM_RSRC2:TGID_Y_EN: 0
; COMPUTE_PGM_RSRC2:TGID_Z_EN: 0
; COMPUTE_PGM_RSRC2:TIDIG_COMP_CNT: 0
	.section	.text._ZN2at6native16triu_tril_kernelIllLb1ELi2ELb1EEEvNS_4cuda6detail10TensorInfoIT_T0_EENS4_IKS5_S6_EEllS6_,"axG",@progbits,_ZN2at6native16triu_tril_kernelIllLb1ELi2ELb1EEEvNS_4cuda6detail10TensorInfoIT_T0_EENS4_IKS5_S6_EEllS6_,comdat
	.protected	_ZN2at6native16triu_tril_kernelIllLb1ELi2ELb1EEEvNS_4cuda6detail10TensorInfoIT_T0_EENS4_IKS5_S6_EEllS6_ ; -- Begin function _ZN2at6native16triu_tril_kernelIllLb1ELi2ELb1EEEvNS_4cuda6detail10TensorInfoIT_T0_EENS4_IKS5_S6_EEllS6_
	.globl	_ZN2at6native16triu_tril_kernelIllLb1ELi2ELb1EEEvNS_4cuda6detail10TensorInfoIT_T0_EENS4_IKS5_S6_EEllS6_
	.p2align	8
	.type	_ZN2at6native16triu_tril_kernelIllLb1ELi2ELb1EEEvNS_4cuda6detail10TensorInfoIT_T0_EENS4_IKS5_S6_EEllS6_,@function
_ZN2at6native16triu_tril_kernelIllLb1ELi2ELb1EEEvNS_4cuda6detail10TensorInfoIT_T0_EENS4_IKS5_S6_EEllS6_: ; @_ZN2at6native16triu_tril_kernelIllLb1ELi2ELb1EEEvNS_4cuda6detail10TensorInfoIT_T0_EENS4_IKS5_S6_EEllS6_
; %bb.0:
	s_clause 0x1
	s_load_b32 s2, s[0:1], 0x364
	s_load_b128 s[4:7], s[0:1], 0x340
	v_mov_b32_e32 v2, 0
	s_mov_b32 s3, exec_lo
	s_delay_alu instid0(VALU_DEP_1)
	v_mov_b32_e32 v1, v2
	s_wait_kmcnt 0x0
	s_and_b32 s2, s2, 0xffff
	s_delay_alu instid0(VALU_DEP_1) | instid1(SALU_CYCLE_1)
	v_mad_co_u64_u32 v[0:1], null, s2, ttmp9, v[0:1]
	s_delay_alu instid0(VALU_DEP_1) | instskip(NEXT) | instid1(VALU_DEP_1)
	v_lshlrev_b64_e32 v[0:1], 1, v[0:1]
	v_cmpx_gt_i64_e64 s[6:7], v[0:1]
	s_cbranch_execz .LBB66_41
; %bb.1:
	s_load_b32 s22, s[0:1], 0x338
	s_add_nc_u64 s[12:13], s[0:1], 0x358
	s_clause 0x1
	s_load_b64 s[8:9], s[0:1], 0x350
	s_load_b64 s[10:11], s[0:1], 0x0
	s_add_nc_u64 s[28:29], s[0:1], 0x1a0
	s_load_b32 s3, s[12:13], 0x0
	s_movk_i32 s18, 0xffe0
	s_add_nc_u64 s[16:17], s[0:1], 0xb8
	s_mov_b32 s19, -1
	s_add_nc_u64 s[34:35], s[0:1], 0x190
	s_mov_b32 s65, 0
	s_wait_kmcnt 0x0
	s_add_co_i32 s14, s22, -2
	v_cvt_f32_u32_e32 v3, s8
	s_ashr_i32 s15, s14, 31
	s_add_co_i32 s20, s22, -3
	s_lshl_b64 s[12:13], s[14:15], 3
	s_ashr_i32 s23, s22, 31
	s_add_nc_u64 s[12:13], s[28:29], s[12:13]
	v_rcp_iflag_f32_e32 v3, v3
	s_load_b64 s[12:13], s[12:13], 0x8
	s_mul_i32 s24, s3, s2
	s_and_b32 s25, s20, 3
	s_lshl_b64 s[2:3], s[22:23], 3
	s_ashr_i32 s21, s20, 31
	s_and_b32 s14, s14, 3
	s_lshl_b32 s62, s24, 1
	s_cmp_lg_u32 s25, 3
	v_cmp_gt_i64_e64 s33, s[22:23], 2
	s_cselect_b32 s63, -1, 0
	s_cmp_gt_u32 s20, 2
	s_wait_alu 0xfffe
	s_add_nc_u64 s[22:23], s[0:1], s[2:3]
	s_add_nc_u64 s[24:25], s[28:29], s[2:3]
	s_cselect_b32 s64, -1, 0
	s_lshl_b64 s[2:3], s[20:21], 3
	s_mov_b32 s15, 0
	s_wait_alu 0xfffe
	s_add_nc_u64 s[30:31], s[0:1], s[2:3]
	s_add_nc_u64 s[2:3], s[28:29], s[2:3]
	s_mov_b64 s[26:27], s[14:15]
	s_add_nc_u64 s[28:29], s[30:31], 0xd0
	s_wait_kmcnt 0x0
	v_cvt_f32_u32_e32 v4, s12
	s_wait_alu 0xfffe
	s_add_nc_u64 s[30:31], s[2:3], 8
	s_ashr_i32 s36, s9, 31
	s_delay_alu instid0(VALU_DEP_1) | instskip(NEXT) | instid1(TRANS32_DEP_1)
	v_rcp_iflag_f32_e32 v4, v4
	v_dual_mul_f32 v3, 0x4f7ffffe, v3 :: v_dual_mul_f32 v4, 0x4f7ffffe, v4
	s_delay_alu instid0(VALU_DEP_1) | instskip(NEXT) | instid1(VALU_DEP_2)
	v_cvt_u32_f32_e32 v18, v3
	v_cvt_u32_f32_e32 v19, v4
	s_branch .LBB66_3
.LBB66_2:                               ;   in Loop: Header=BB66_3 Depth=1
	s_wait_alu 0xfffe
	s_or_b32 exec_lo, exec_lo, s37
	v_add_co_u32 v0, vcc_lo, v0, s62
	s_wait_alu 0xfffd
	v_add_co_ci_u32_e64 v1, null, 0, v1, vcc_lo
	s_delay_alu instid0(VALU_DEP_1) | instskip(SKIP_1) | instid1(SALU_CYCLE_1)
	v_cmp_le_i64_e32 vcc_lo, s[6:7], v[0:1]
	s_or_b32 s65, vcc_lo, s65
	s_and_not1_b32 exec_lo, exec_lo, s65
	s_cbranch_execz .LBB66_41
.LBB66_3:                               ; =>This Loop Header: Depth=1
                                        ;     Child Loop BB66_17 Depth 2
                                        ;     Child Loop BB66_22 Depth 2
	v_or_b32_e32 v3, s9, v1
                                        ; implicit-def: $vgpr6_vgpr7
	s_mov_b32 s0, exec_lo
	s_delay_alu instid0(VALU_DEP_1)
	v_cmpx_ne_u64_e32 0, v[2:3]
	s_wait_alu 0xfffe
	s_xor_b32 s1, exec_lo, s0
	s_cbranch_execz .LBB66_5
; %bb.4:                                ;   in Loop: Header=BB66_3 Depth=1
	s_mov_b32 s37, s36
	v_ashrrev_i32_e32 v9, 31, v1
	s_wait_alu 0xfffe
	s_add_nc_u64 s[2:3], s[8:9], s[36:37]
	s_wait_alu 0xfffe
	s_xor_b64 s[2:3], s[2:3], s[36:37]
	v_add_co_u32 v3, vcc_lo, v0, v9
	s_wait_alu 0xfffe
	s_cvt_f32_u32 s0, s2
	s_cvt_f32_u32 s14, s3
	s_sub_nc_u64 s[40:41], 0, s[2:3]
	s_wait_alu 0xfffd
	v_add_co_ci_u32_e64 v4, null, v1, v9, vcc_lo
	s_wait_alu 0xfffe
	s_fmamk_f32 s0, s14, 0x4f800000, s0
	v_xor_b32_e32 v10, v3, v9
	s_delay_alu instid0(VALU_DEP_2) | instskip(SKIP_2) | instid1(TRANS32_DEP_1)
	v_xor_b32_e32 v11, v4, v9
	s_wait_alu 0xfffe
	v_s_rcp_f32 s0, s0
	s_mul_f32 s0, s0, 0x5f7ffffc
	s_wait_alu 0xfffe
	s_delay_alu instid0(SALU_CYCLE_2) | instskip(SKIP_1) | instid1(SALU_CYCLE_2)
	s_mul_f32 s14, s0, 0x2f800000
	s_wait_alu 0xfffe
	s_trunc_f32 s14, s14
	s_wait_alu 0xfffe
	s_delay_alu instid0(SALU_CYCLE_2) | instskip(SKIP_2) | instid1(SALU_CYCLE_1)
	s_fmamk_f32 s0, s14, 0xcf800000, s0
	s_cvt_u32_f32 s39, s14
	s_wait_alu 0xfffe
	s_cvt_u32_f32 s38, s0
	s_wait_alu 0xfffe
	s_delay_alu instid0(SALU_CYCLE_2) | instskip(NEXT) | instid1(SALU_CYCLE_1)
	s_mul_u64 s[42:43], s[40:41], s[38:39]
	s_mul_hi_u32 s45, s38, s43
	s_mul_i32 s44, s38, s43
	s_mul_hi_u32 s14, s38, s42
	s_mul_i32 s37, s39, s42
	s_wait_alu 0xfffe
	s_add_nc_u64 s[44:45], s[14:15], s[44:45]
	s_mul_hi_u32 s0, s39, s42
	s_mul_hi_u32 s46, s39, s43
	s_wait_alu 0xfffe
	s_add_co_u32 s14, s44, s37
	s_add_co_ci_u32 s14, s45, s0
	s_mul_i32 s42, s39, s43
	s_add_co_ci_u32 s43, s46, 0
	s_wait_alu 0xfffe
	s_add_nc_u64 s[42:43], s[14:15], s[42:43]
	s_delay_alu instid0(SALU_CYCLE_1)
	s_add_co_u32 s38, s38, s42
	s_cselect_b32 s0, -1, 0
	s_wait_alu 0xfffe
	s_cmp_lg_u32 s0, 0
	s_add_co_ci_u32 s39, s39, s43
	s_wait_alu 0xfffe
	s_mul_u64 s[40:41], s[40:41], s[38:39]
	s_delay_alu instid0(SALU_CYCLE_1)
	s_mul_hi_u32 s43, s38, s41
	s_mul_i32 s42, s38, s41
	s_mul_hi_u32 s14, s38, s40
	s_mul_i32 s37, s39, s40
	s_wait_alu 0xfffe
	s_add_nc_u64 s[42:43], s[14:15], s[42:43]
	s_mul_hi_u32 s0, s39, s40
	s_mul_hi_u32 s44, s39, s41
	s_add_co_u32 s14, s42, s37
	s_wait_alu 0xfffe
	s_add_co_ci_u32 s14, s43, s0
	s_mul_i32 s40, s39, s41
	s_add_co_ci_u32 s41, s44, 0
	s_wait_alu 0xfffe
	s_add_nc_u64 s[40:41], s[14:15], s[40:41]
	s_delay_alu instid0(SALU_CYCLE_1)
	s_add_co_u32 s0, s38, s40
	s_cselect_b32 s14, -1, 0
	s_wait_alu 0xfffe
	v_mul_hi_u32 v12, v10, s0
	s_cmp_lg_u32 s14, 0
	v_mad_co_u64_u32 v[5:6], null, v11, s0, 0
	s_add_co_ci_u32 s14, s39, s41
	s_wait_alu 0xfffe
	v_mad_co_u64_u32 v[3:4], null, v10, s14, 0
	v_mad_co_u64_u32 v[7:8], null, v11, s14, 0
	s_delay_alu instid0(VALU_DEP_2) | instskip(SKIP_1) | instid1(VALU_DEP_3)
	v_add_co_u32 v3, vcc_lo, v12, v3
	s_wait_alu 0xfffd
	v_add_co_ci_u32_e64 v4, null, 0, v4, vcc_lo
	s_delay_alu instid0(VALU_DEP_2) | instskip(SKIP_1) | instid1(VALU_DEP_2)
	v_add_co_u32 v3, vcc_lo, v3, v5
	s_wait_alu 0xfffd
	v_add_co_ci_u32_e32 v3, vcc_lo, v4, v6, vcc_lo
	s_wait_alu 0xfffd
	v_add_co_ci_u32_e32 v4, vcc_lo, 0, v8, vcc_lo
	s_delay_alu instid0(VALU_DEP_2) | instskip(SKIP_1) | instid1(VALU_DEP_2)
	v_add_co_u32 v5, vcc_lo, v3, v7
	s_wait_alu 0xfffd
	v_add_co_ci_u32_e64 v6, null, 0, v4, vcc_lo
	s_delay_alu instid0(VALU_DEP_2) | instskip(SKIP_1) | instid1(VALU_DEP_3)
	v_mul_lo_u32 v7, s3, v5
	v_mad_co_u64_u32 v[3:4], null, s2, v5, 0
	v_mul_lo_u32 v8, s2, v6
	s_delay_alu instid0(VALU_DEP_2) | instskip(NEXT) | instid1(VALU_DEP_2)
	v_sub_co_u32 v3, vcc_lo, v10, v3
	v_add3_u32 v4, v4, v8, v7
	v_add_co_u32 v8, s0, v5, 2
	s_wait_alu 0xf1ff
	v_add_co_ci_u32_e64 v10, null, 0, v6, s0
	s_delay_alu instid0(VALU_DEP_3) | instskip(SKIP_3) | instid1(VALU_DEP_3)
	v_sub_nc_u32_e32 v7, v11, v4
	v_sub_co_u32 v12, s0, v3, s2
	s_wait_alu 0xfffd
	v_sub_co_ci_u32_e64 v4, null, v11, v4, vcc_lo
	v_subrev_co_ci_u32_e64 v7, null, s3, v7, vcc_lo
	s_delay_alu instid0(VALU_DEP_3) | instskip(SKIP_1) | instid1(VALU_DEP_2)
	v_cmp_le_u32_e32 vcc_lo, s2, v12
	s_wait_alu 0xf1ff
	v_subrev_co_ci_u32_e64 v7, null, 0, v7, s0
	s_wait_alu 0xfffd
	v_cndmask_b32_e64 v11, 0, -1, vcc_lo
	s_delay_alu instid0(VALU_DEP_2)
	v_cmp_le_u32_e32 vcc_lo, s3, v7
	s_wait_alu 0xfffd
	v_cndmask_b32_e64 v12, 0, -1, vcc_lo
	v_cmp_le_u32_e32 vcc_lo, s2, v3
	s_wait_alu 0xfffd
	v_cndmask_b32_e64 v3, 0, -1, vcc_lo
	v_cmp_le_u32_e32 vcc_lo, s3, v4
	s_wait_alu 0xfffd
	v_cndmask_b32_e64 v13, 0, -1, vcc_lo
	v_cmp_eq_u32_e32 vcc_lo, s3, v7
	s_wait_alu 0xfffd
	v_cndmask_b32_e32 v7, v12, v11, vcc_lo
	v_add_co_u32 v11, vcc_lo, v5, 1
	s_wait_alu 0xfffd
	v_add_co_ci_u32_e64 v12, null, 0, v6, vcc_lo
	v_cmp_eq_u32_e32 vcc_lo, s3, v4
	s_wait_alu 0xfffd
	v_cndmask_b32_e32 v3, v13, v3, vcc_lo
	v_cmp_ne_u32_e32 vcc_lo, 0, v7
	v_xor_b32_e32 v7, s36, v9
	s_wait_alu 0xfffd
	v_cndmask_b32_e32 v4, v12, v10, vcc_lo
	v_cmp_ne_u32_e64 s0, 0, v3
	v_cndmask_b32_e32 v3, v11, v8, vcc_lo
	s_wait_alu 0xf1ff
	s_delay_alu instid0(VALU_DEP_2) | instskip(NEXT) | instid1(VALU_DEP_2)
	v_cndmask_b32_e64 v4, v6, v4, s0
	v_cndmask_b32_e64 v3, v5, v3, s0
	s_delay_alu instid0(VALU_DEP_2) | instskip(NEXT) | instid1(VALU_DEP_2)
	v_xor_b32_e32 v4, v4, v7
	v_xor_b32_e32 v3, v3, v7
	s_delay_alu instid0(VALU_DEP_1) | instskip(SKIP_1) | instid1(VALU_DEP_3)
	v_sub_co_u32 v6, vcc_lo, v3, v7
	s_wait_alu 0xfffd
	v_sub_co_ci_u32_e64 v7, null, v4, v7, vcc_lo
.LBB66_5:                               ;   in Loop: Header=BB66_3 Depth=1
	s_wait_alu 0xfffe
	s_and_not1_saveexec_b32 s0, s1
	s_cbranch_execz .LBB66_7
; %bb.6:                                ;   in Loop: Header=BB66_3 Depth=1
	s_sub_co_i32 s1, 0, s8
	v_mov_b32_e32 v7, v2
	s_wait_alu 0xfffe
	v_mul_lo_u32 v3, s1, v18
	s_delay_alu instid0(VALU_DEP_1) | instskip(NEXT) | instid1(VALU_DEP_1)
	v_mul_hi_u32 v3, v18, v3
	v_add_nc_u32_e32 v3, v18, v3
	s_delay_alu instid0(VALU_DEP_1) | instskip(NEXT) | instid1(VALU_DEP_1)
	v_mul_hi_u32 v3, v0, v3
	v_mul_lo_u32 v4, v3, s8
	v_add_nc_u32_e32 v5, 1, v3
	s_delay_alu instid0(VALU_DEP_2) | instskip(NEXT) | instid1(VALU_DEP_1)
	v_sub_nc_u32_e32 v4, v0, v4
	v_subrev_nc_u32_e32 v6, s8, v4
	v_cmp_le_u32_e32 vcc_lo, s8, v4
	s_wait_alu 0xfffd
	s_delay_alu instid0(VALU_DEP_2) | instskip(NEXT) | instid1(VALU_DEP_1)
	v_dual_cndmask_b32 v4, v4, v6 :: v_dual_cndmask_b32 v3, v3, v5
	v_cmp_le_u32_e32 vcc_lo, s8, v4
	s_delay_alu instid0(VALU_DEP_2) | instskip(SKIP_1) | instid1(VALU_DEP_1)
	v_add_nc_u32_e32 v5, 1, v3
	s_wait_alu 0xfffd
	v_cndmask_b32_e32 v6, v3, v5, vcc_lo
.LBB66_7:                               ;   in Loop: Header=BB66_3 Depth=1
	s_wait_alu 0xfffe
	s_or_b32 exec_lo, exec_lo, s0
	v_or_b32_e32 v3, s13, v7
                                        ; implicit-def: $vgpr8_vgpr9
	s_mov_b32 s0, exec_lo
	s_delay_alu instid0(VALU_DEP_1)
	v_cmpx_ne_u64_e32 0, v[2:3]
	s_wait_alu 0xfffe
	s_xor_b32 s1, exec_lo, s0
	s_cbranch_execz .LBB66_9
; %bb.8:                                ;   in Loop: Header=BB66_3 Depth=1
	s_ashr_i32 s2, s13, 31
	v_ashrrev_i32_e32 v5, 31, v7
	s_wait_alu 0xfffe
	s_mov_b32 s3, s2
	s_wait_alu 0xfffe
	s_add_nc_u64 s[38:39], s[12:13], s[2:3]
	v_add_co_u32 v3, vcc_lo, v6, v5
	s_wait_alu 0xfffe
	s_xor_b64 s[38:39], s[38:39], s[2:3]
	s_wait_alu 0xfffd
	v_add_co_ci_u32_e64 v4, null, v7, v5, vcc_lo
	s_wait_alu 0xfffe
	s_cvt_f32_u32 s0, s38
	s_cvt_f32_u32 s3, s39
	s_sub_nc_u64 s[42:43], 0, s[38:39]
	v_xor_b32_e32 v12, v3, v5
	v_xor_b32_e32 v13, v4, v5
	s_wait_alu 0xfffe
	s_fmamk_f32 s0, s3, 0x4f800000, s0
	v_xor_b32_e32 v5, s2, v5
	s_wait_alu 0xfffe
	s_delay_alu instid0(SALU_CYCLE_1) | instskip(NEXT) | instid1(TRANS32_DEP_1)
	v_s_rcp_f32 s0, s0
	s_mul_f32 s0, s0, 0x5f7ffffc
	s_wait_alu 0xfffe
	s_delay_alu instid0(SALU_CYCLE_2) | instskip(SKIP_1) | instid1(SALU_CYCLE_2)
	s_mul_f32 s3, s0, 0x2f800000
	s_wait_alu 0xfffe
	s_trunc_f32 s3, s3
	s_wait_alu 0xfffe
	s_delay_alu instid0(SALU_CYCLE_2) | instskip(SKIP_2) | instid1(SALU_CYCLE_1)
	s_fmamk_f32 s0, s3, 0xcf800000, s0
	s_cvt_u32_f32 s41, s3
	s_wait_alu 0xfffe
	s_cvt_u32_f32 s40, s0
	s_delay_alu instid0(SALU_CYCLE_3)
	s_mul_u64 s[44:45], s[42:43], s[40:41]
	s_wait_alu 0xfffe
	s_mul_hi_u32 s47, s40, s45
	s_mul_i32 s46, s40, s45
	s_mul_hi_u32 s14, s40, s44
	s_mul_i32 s3, s41, s44
	s_wait_alu 0xfffe
	s_add_nc_u64 s[46:47], s[14:15], s[46:47]
	s_mul_hi_u32 s0, s41, s44
	s_mul_hi_u32 s37, s41, s45
	s_wait_alu 0xfffe
	s_add_co_u32 s3, s46, s3
	s_add_co_ci_u32 s14, s47, s0
	s_mul_i32 s44, s41, s45
	s_add_co_ci_u32 s45, s37, 0
	s_wait_alu 0xfffe
	s_add_nc_u64 s[44:45], s[14:15], s[44:45]
	s_wait_alu 0xfffe
	s_add_co_u32 s40, s40, s44
	s_cselect_b32 s0, -1, 0
	s_wait_alu 0xfffe
	s_cmp_lg_u32 s0, 0
	s_add_co_ci_u32 s41, s41, s45
	s_delay_alu instid0(SALU_CYCLE_1) | instskip(NEXT) | instid1(SALU_CYCLE_1)
	s_mul_u64 s[42:43], s[42:43], s[40:41]
	s_mul_hi_u32 s45, s40, s43
	s_mul_i32 s44, s40, s43
	s_mul_hi_u32 s14, s40, s42
	s_mul_i32 s3, s41, s42
	s_wait_alu 0xfffe
	s_add_nc_u64 s[44:45], s[14:15], s[44:45]
	s_mul_hi_u32 s0, s41, s42
	s_mul_hi_u32 s37, s41, s43
	s_wait_alu 0xfffe
	s_add_co_u32 s3, s44, s3
	s_add_co_ci_u32 s14, s45, s0
	s_mul_i32 s42, s41, s43
	s_add_co_ci_u32 s43, s37, 0
	s_wait_alu 0xfffe
	s_add_nc_u64 s[42:43], s[14:15], s[42:43]
	s_delay_alu instid0(SALU_CYCLE_1)
	s_add_co_u32 s0, s40, s42
	s_cselect_b32 s3, -1, 0
	s_wait_alu 0xfffe
	v_mul_hi_u32 v14, v12, s0
	s_cmp_lg_u32 s3, 0
	v_mad_co_u64_u32 v[8:9], null, v13, s0, 0
	s_add_co_ci_u32 s3, s41, s43
	s_wait_alu 0xfffe
	v_mad_co_u64_u32 v[3:4], null, v12, s3, 0
	v_mad_co_u64_u32 v[10:11], null, v13, s3, 0
	s_delay_alu instid0(VALU_DEP_2) | instskip(SKIP_1) | instid1(VALU_DEP_3)
	v_add_co_u32 v3, vcc_lo, v14, v3
	s_wait_alu 0xfffd
	v_add_co_ci_u32_e64 v4, null, 0, v4, vcc_lo
	s_delay_alu instid0(VALU_DEP_2) | instskip(SKIP_1) | instid1(VALU_DEP_2)
	v_add_co_u32 v3, vcc_lo, v3, v8
	s_wait_alu 0xfffd
	v_add_co_ci_u32_e32 v3, vcc_lo, v4, v9, vcc_lo
	s_wait_alu 0xfffd
	v_add_co_ci_u32_e32 v4, vcc_lo, 0, v11, vcc_lo
	s_delay_alu instid0(VALU_DEP_2) | instskip(SKIP_1) | instid1(VALU_DEP_2)
	v_add_co_u32 v8, vcc_lo, v3, v10
	s_wait_alu 0xfffd
	v_add_co_ci_u32_e64 v9, null, 0, v4, vcc_lo
	s_delay_alu instid0(VALU_DEP_2) | instskip(SKIP_1) | instid1(VALU_DEP_3)
	v_mul_lo_u32 v10, s39, v8
	v_mad_co_u64_u32 v[3:4], null, s38, v8, 0
	v_mul_lo_u32 v11, s38, v9
	s_delay_alu instid0(VALU_DEP_2) | instskip(NEXT) | instid1(VALU_DEP_2)
	v_sub_co_u32 v3, vcc_lo, v12, v3
	v_add3_u32 v4, v4, v11, v10
	v_add_co_u32 v11, s0, v8, 2
	s_wait_alu 0xf1ff
	v_add_co_ci_u32_e64 v12, null, 0, v9, s0
	s_delay_alu instid0(VALU_DEP_3) | instskip(SKIP_3) | instid1(VALU_DEP_3)
	v_sub_nc_u32_e32 v10, v13, v4
	v_sub_co_u32 v14, s0, v3, s38
	s_wait_alu 0xfffd
	v_sub_co_ci_u32_e64 v4, null, v13, v4, vcc_lo
	v_subrev_co_ci_u32_e64 v10, null, s39, v10, vcc_lo
	s_delay_alu instid0(VALU_DEP_3) | instskip(SKIP_1) | instid1(VALU_DEP_2)
	v_cmp_le_u32_e32 vcc_lo, s38, v14
	s_wait_alu 0xf1ff
	v_subrev_co_ci_u32_e64 v10, null, 0, v10, s0
	s_wait_alu 0xfffd
	v_cndmask_b32_e64 v13, 0, -1, vcc_lo
	s_delay_alu instid0(VALU_DEP_2)
	v_cmp_le_u32_e32 vcc_lo, s39, v10
	s_wait_alu 0xfffd
	v_cndmask_b32_e64 v14, 0, -1, vcc_lo
	v_cmp_le_u32_e32 vcc_lo, s38, v3
	s_wait_alu 0xfffd
	v_cndmask_b32_e64 v3, 0, -1, vcc_lo
	;; [unrolled: 3-line block ×3, first 2 shown]
	v_cmp_eq_u32_e32 vcc_lo, s39, v10
	s_wait_alu 0xfffd
	v_cndmask_b32_e32 v10, v14, v13, vcc_lo
	v_add_co_u32 v13, vcc_lo, v8, 1
	s_wait_alu 0xfffd
	v_add_co_ci_u32_e64 v14, null, 0, v9, vcc_lo
	v_cmp_eq_u32_e32 vcc_lo, s39, v4
	s_wait_alu 0xfffd
	v_cndmask_b32_e32 v3, v15, v3, vcc_lo
	v_cmp_ne_u32_e32 vcc_lo, 0, v10
	s_delay_alu instid0(VALU_DEP_2) | instskip(SKIP_3) | instid1(VALU_DEP_1)
	v_cmp_ne_u32_e64 s0, 0, v3
	s_wait_alu 0xfffd
	v_dual_cndmask_b32 v4, v14, v12 :: v_dual_cndmask_b32 v3, v13, v11
	s_wait_alu 0xf1ff
	v_cndmask_b32_e64 v4, v9, v4, s0
	s_delay_alu instid0(VALU_DEP_2) | instskip(NEXT) | instid1(VALU_DEP_2)
	v_cndmask_b32_e64 v3, v8, v3, s0
	v_xor_b32_e32 v4, v4, v5
	s_delay_alu instid0(VALU_DEP_2) | instskip(NEXT) | instid1(VALU_DEP_1)
	v_xor_b32_e32 v3, v3, v5
	v_sub_co_u32 v8, vcc_lo, v3, v5
	s_wait_alu 0xfffd
	s_delay_alu instid0(VALU_DEP_3)
	v_sub_co_ci_u32_e64 v9, null, v4, v5, vcc_lo
.LBB66_9:                               ;   in Loop: Header=BB66_3 Depth=1
	s_wait_alu 0xfffe
	s_and_not1_saveexec_b32 s0, s1
	s_cbranch_execz .LBB66_11
; %bb.10:                               ;   in Loop: Header=BB66_3 Depth=1
	s_sub_co_i32 s1, 0, s12
	v_mov_b32_e32 v9, v2
	s_wait_alu 0xfffe
	v_mul_lo_u32 v3, s1, v19
	s_delay_alu instid0(VALU_DEP_1) | instskip(NEXT) | instid1(VALU_DEP_1)
	v_mul_hi_u32 v3, v19, v3
	v_add_nc_u32_e32 v3, v19, v3
	s_delay_alu instid0(VALU_DEP_1) | instskip(NEXT) | instid1(VALU_DEP_1)
	v_mul_hi_u32 v3, v6, v3
	v_mul_lo_u32 v4, v3, s12
	v_add_nc_u32_e32 v5, 1, v3
	s_delay_alu instid0(VALU_DEP_2) | instskip(NEXT) | instid1(VALU_DEP_1)
	v_sub_nc_u32_e32 v4, v6, v4
	v_subrev_nc_u32_e32 v8, s12, v4
	v_cmp_le_u32_e32 vcc_lo, s12, v4
	s_wait_alu 0xfffd
	s_delay_alu instid0(VALU_DEP_2) | instskip(NEXT) | instid1(VALU_DEP_1)
	v_dual_cndmask_b32 v4, v4, v8 :: v_dual_cndmask_b32 v3, v3, v5
	v_cmp_le_u32_e32 vcc_lo, s12, v4
	s_delay_alu instid0(VALU_DEP_2) | instskip(SKIP_1) | instid1(VALU_DEP_1)
	v_add_nc_u32_e32 v5, 1, v3
	s_wait_alu 0xfffd
	v_cndmask_b32_e32 v8, v3, v5, vcc_lo
.LBB66_11:                              ;   in Loop: Header=BB66_3 Depth=1
	s_wait_alu 0xfffe
	s_or_b32 exec_lo, exec_lo, s0
	v_mul_lo_u32 v5, v7, s8
	v_mul_lo_u32 v12, v6, s9
	v_mad_co_u64_u32 v[3:4], null, v6, s8, 0
	v_mul_lo_u32 v13, v9, s12
	v_mul_lo_u32 v14, v8, s13
	v_mad_co_u64_u32 v[10:11], null, v8, s12, 0
	s_mov_b32 s37, exec_lo
	v_add3_u32 v5, v4, v12, v5
	v_sub_co_u32 v4, vcc_lo, v0, v3
	v_add3_u32 v11, v11, v14, v13
	s_wait_alu 0xfffd
	s_delay_alu instid0(VALU_DEP_3) | instskip(SKIP_3) | instid1(VALU_DEP_2)
	v_sub_co_ci_u32_e64 v5, null, v1, v5, vcc_lo
	v_sub_co_u32 v20, vcc_lo, v6, v10
	s_wait_alu 0xfffd
	v_sub_co_ci_u32_e64 v21, null, v7, v11, vcc_lo
	v_sub_co_u32 v6, vcc_lo, v4, v20
	s_wait_alu 0xfffd
	s_delay_alu instid0(VALU_DEP_2) | instskip(NEXT) | instid1(VALU_DEP_1)
	v_sub_co_ci_u32_e64 v7, null, v5, v21, vcc_lo
	v_cmpx_gt_i64_e64 s[4:5], v[6:7]
	s_cbranch_execz .LBB66_2
; %bb.12:                               ;   in Loop: Header=BB66_3 Depth=1
	s_load_b128 s[0:3], s[22:23], 0xc0
	s_and_not1_b32 vcc_lo, exec_lo, s33
	s_wait_kmcnt 0x0
	v_mul_lo_u32 v3, s3, v4
	v_mul_lo_u32 v10, s2, v5
	v_mad_co_u64_u32 v[6:7], null, s2, v4, 0
	s_delay_alu instid0(VALU_DEP_1) | instskip(SKIP_2) | instid1(VALU_DEP_3)
	v_add3_u32 v7, v7, v10, v3
	v_mul_lo_u32 v3, s0, v21
	v_mul_lo_u32 v10, s1, v20
	v_mad_co_u64_u32 v[6:7], null, s0, v20, v[6:7]
	s_delay_alu instid0(VALU_DEP_1)
	v_add3_u32 v7, v10, v7, v3
	s_wait_alu 0xfffe
	s_cbranch_vccnz .LBB66_38
; %bb.13:                               ;   in Loop: Header=BB66_3 Depth=1
	s_mov_b64 s[38:39], s[26:27]
	s_mov_b64 s[40:41], s[30:31]
	s_and_not1_b32 vcc_lo, exec_lo, s63
	s_mov_b64 s[44:45], s[28:29]
	s_mov_b64 s[42:43], s[20:21]
	s_wait_alu 0xfffe
	s_cbranch_vccz .LBB66_17
.LBB66_14:                              ;   in Loop: Header=BB66_3 Depth=1
	s_and_not1_b32 vcc_lo, exec_lo, s64
	s_wait_alu 0xfffe
	s_cbranch_vccnz .LBB66_38
; %bb.15:                               ;   in Loop: Header=BB66_3 Depth=1
	s_lshl_b64 s[0:1], s[42:43], 3
	s_add_nc_u64 s[42:43], s[42:43], 1
	s_wait_alu 0xfffe
	s_add_nc_u64 s[38:39], s[16:17], s[0:1]
	s_add_nc_u64 s[40:41], s[34:35], s[0:1]
	s_branch .LBB66_22
.LBB66_16:                              ;   in Loop: Header=BB66_17 Depth=2
	s_wait_alu 0xfffe
	s_or_b32 exec_lo, exec_lo, s0
	s_load_b64 s[0:1], s[44:45], 0x0
	v_mul_lo_u32 v3, v11, s46
	v_mul_lo_u32 v14, v10, s47
	v_mad_co_u64_u32 v[12:13], null, v10, s46, 0
	s_add_nc_u64 s[38:39], s[38:39], -1
	s_add_nc_u64 s[42:43], s[42:43], -1
	;; [unrolled: 1-line block ×3, first 2 shown]
	s_wait_alu 0xfffe
	s_cmp_lg_u64 s[38:39], 0
	s_add_nc_u64 s[40:41], s[40:41], -8
	v_add3_u32 v3, v13, v14, v3
	v_sub_co_u32 v8, vcc_lo, v8, v12
	s_wait_alu 0xfffd
	s_delay_alu instid0(VALU_DEP_2) | instskip(SKIP_1) | instid1(VALU_DEP_2)
	v_sub_co_ci_u32_e64 v3, null, v9, v3, vcc_lo
	s_wait_kmcnt 0x0
	v_mul_lo_u32 v9, s1, v8
	s_delay_alu instid0(VALU_DEP_2) | instskip(SKIP_1) | instid1(VALU_DEP_1)
	v_mul_lo_u32 v3, s0, v3
	v_mad_co_u64_u32 v[6:7], null, s0, v8, v[6:7]
	v_add3_u32 v7, v9, v7, v3
	v_dual_mov_b32 v8, v10 :: v_dual_mov_b32 v9, v11
	s_cbranch_scc0 .LBB66_14
.LBB66_17:                              ;   Parent Loop BB66_3 Depth=1
                                        ; =>  This Inner Loop Header: Depth=2
	s_load_b64 s[46:47], s[40:41], 0x0
                                        ; implicit-def: $vgpr10_vgpr11
	s_mov_b32 s0, exec_lo
	s_wait_kmcnt 0x0
	v_or_b32_e32 v3, s47, v9
	s_delay_alu instid0(VALU_DEP_1)
	v_cmpx_ne_u64_e32 0, v[2:3]
	s_wait_alu 0xfffe
	s_xor_b32 s1, exec_lo, s0
	s_cbranch_execz .LBB66_19
; %bb.18:                               ;   in Loop: Header=BB66_17 Depth=2
	s_ashr_i32 s48, s47, 31
	v_ashrrev_i32_e32 v3, 31, v9
	s_wait_alu 0xfffe
	s_mov_b32 s49, s48
	s_wait_alu 0xfffe
	s_add_nc_u64 s[50:51], s[46:47], s[48:49]
	v_add_co_u32 v10, vcc_lo, v8, v3
	s_wait_alu 0xfffe
	s_xor_b64 s[50:51], s[50:51], s[48:49]
	s_wait_alu 0xfffd
	v_add_co_ci_u32_e64 v11, null, v9, v3, vcc_lo
	s_wait_alu 0xfffe
	s_cvt_f32_u32 s0, s50
	s_cvt_f32_u32 s14, s51
	s_sub_nc_u64 s[54:55], 0, s[50:51]
	v_xor_b32_e32 v16, v10, v3
	v_xor_b32_e32 v17, v11, v3
	s_wait_alu 0xfffe
	s_fmamk_f32 s0, s14, 0x4f800000, s0
	v_xor_b32_e32 v3, s48, v3
	s_wait_alu 0xfffe
	s_delay_alu instid0(SALU_CYCLE_1) | instskip(NEXT) | instid1(TRANS32_DEP_1)
	v_s_rcp_f32 s0, s0
	s_mul_f32 s0, s0, 0x5f7ffffc
	s_wait_alu 0xfffe
	s_delay_alu instid0(SALU_CYCLE_2) | instskip(SKIP_1) | instid1(SALU_CYCLE_2)
	s_mul_f32 s14, s0, 0x2f800000
	s_wait_alu 0xfffe
	s_trunc_f32 s14, s14
	s_wait_alu 0xfffe
	s_delay_alu instid0(SALU_CYCLE_2) | instskip(SKIP_2) | instid1(SALU_CYCLE_1)
	s_fmamk_f32 s0, s14, 0xcf800000, s0
	s_cvt_u32_f32 s53, s14
	s_wait_alu 0xfffe
	s_cvt_u32_f32 s52, s0
	s_wait_alu 0xfffe
	s_delay_alu instid0(SALU_CYCLE_2)
	s_mul_u64 s[56:57], s[54:55], s[52:53]
	s_wait_alu 0xfffe
	s_mul_hi_u32 s59, s52, s57
	s_mul_i32 s58, s52, s57
	s_mul_hi_u32 s14, s52, s56
	s_mul_i32 s49, s53, s56
	s_wait_alu 0xfffe
	s_add_nc_u64 s[58:59], s[14:15], s[58:59]
	s_mul_hi_u32 s0, s53, s56
	s_mul_hi_u32 s60, s53, s57
	s_wait_alu 0xfffe
	s_add_co_u32 s14, s58, s49
	s_add_co_ci_u32 s14, s59, s0
	s_mul_i32 s56, s53, s57
	s_add_co_ci_u32 s57, s60, 0
	s_wait_alu 0xfffe
	s_add_nc_u64 s[56:57], s[14:15], s[56:57]
	s_wait_alu 0xfffe
	s_add_co_u32 s52, s52, s56
	s_cselect_b32 s0, -1, 0
	s_wait_alu 0xfffe
	s_cmp_lg_u32 s0, 0
	s_add_co_ci_u32 s53, s53, s57
	s_wait_alu 0xfffe
	s_mul_u64 s[54:55], s[54:55], s[52:53]
	s_wait_alu 0xfffe
	s_mul_hi_u32 s57, s52, s55
	s_mul_i32 s56, s52, s55
	s_mul_hi_u32 s14, s52, s54
	s_mul_i32 s49, s53, s54
	s_wait_alu 0xfffe
	s_add_nc_u64 s[56:57], s[14:15], s[56:57]
	s_mul_hi_u32 s0, s53, s54
	s_mul_hi_u32 s58, s53, s55
	s_wait_alu 0xfffe
	s_add_co_u32 s14, s56, s49
	s_add_co_ci_u32 s14, s57, s0
	s_mul_i32 s54, s53, s55
	s_add_co_ci_u32 s55, s58, 0
	s_wait_alu 0xfffe
	s_add_nc_u64 s[54:55], s[14:15], s[54:55]
	s_wait_alu 0xfffe
	s_add_co_u32 s0, s52, s54
	s_cselect_b32 s14, -1, 0
	s_wait_alu 0xfffe
	v_mul_hi_u32 v22, v16, s0
	s_cmp_lg_u32 s14, 0
	v_mad_co_u64_u32 v[12:13], null, v17, s0, 0
	s_add_co_ci_u32 s14, s53, s55
	s_wait_alu 0xfffe
	v_mad_co_u64_u32 v[10:11], null, v16, s14, 0
	v_mad_co_u64_u32 v[14:15], null, v17, s14, 0
	s_delay_alu instid0(VALU_DEP_2) | instskip(SKIP_1) | instid1(VALU_DEP_3)
	v_add_co_u32 v10, vcc_lo, v22, v10
	s_wait_alu 0xfffd
	v_add_co_ci_u32_e64 v11, null, 0, v11, vcc_lo
	s_delay_alu instid0(VALU_DEP_2) | instskip(SKIP_1) | instid1(VALU_DEP_2)
	v_add_co_u32 v10, vcc_lo, v10, v12
	s_wait_alu 0xfffd
	v_add_co_ci_u32_e32 v10, vcc_lo, v11, v13, vcc_lo
	s_wait_alu 0xfffd
	v_add_co_ci_u32_e32 v11, vcc_lo, 0, v15, vcc_lo
	s_delay_alu instid0(VALU_DEP_2) | instskip(SKIP_1) | instid1(VALU_DEP_2)
	v_add_co_u32 v12, vcc_lo, v10, v14
	s_wait_alu 0xfffd
	v_add_co_ci_u32_e64 v13, null, 0, v11, vcc_lo
	s_delay_alu instid0(VALU_DEP_2) | instskip(SKIP_1) | instid1(VALU_DEP_3)
	v_mul_lo_u32 v14, s51, v12
	v_mad_co_u64_u32 v[10:11], null, s50, v12, 0
	v_mul_lo_u32 v15, s50, v13
	s_delay_alu instid0(VALU_DEP_2) | instskip(NEXT) | instid1(VALU_DEP_2)
	v_sub_co_u32 v10, vcc_lo, v16, v10
	v_add3_u32 v11, v11, v15, v14
	v_add_co_u32 v15, s0, v12, 2
	s_wait_alu 0xf1ff
	v_add_co_ci_u32_e64 v16, null, 0, v13, s0
	s_delay_alu instid0(VALU_DEP_3) | instskip(SKIP_3) | instid1(VALU_DEP_3)
	v_sub_nc_u32_e32 v14, v17, v11
	v_sub_co_u32 v22, s0, v10, s50
	s_wait_alu 0xfffd
	v_sub_co_ci_u32_e64 v11, null, v17, v11, vcc_lo
	v_subrev_co_ci_u32_e64 v14, null, s51, v14, vcc_lo
	s_delay_alu instid0(VALU_DEP_3) | instskip(SKIP_1) | instid1(VALU_DEP_2)
	v_cmp_le_u32_e32 vcc_lo, s50, v22
	s_wait_alu 0xf1ff
	v_subrev_co_ci_u32_e64 v14, null, 0, v14, s0
	s_wait_alu 0xfffd
	v_cndmask_b32_e64 v17, 0, -1, vcc_lo
	s_delay_alu instid0(VALU_DEP_2)
	v_cmp_le_u32_e32 vcc_lo, s51, v14
	s_wait_alu 0xfffd
	v_cndmask_b32_e64 v22, 0, -1, vcc_lo
	v_cmp_le_u32_e32 vcc_lo, s50, v10
	s_wait_alu 0xfffd
	v_cndmask_b32_e64 v10, 0, -1, vcc_lo
	;; [unrolled: 3-line block ×3, first 2 shown]
	v_cmp_eq_u32_e32 vcc_lo, s51, v14
	s_wait_alu 0xfffd
	v_cndmask_b32_e32 v14, v22, v17, vcc_lo
	v_add_co_u32 v17, vcc_lo, v12, 1
	s_wait_alu 0xfffd
	v_add_co_ci_u32_e64 v22, null, 0, v13, vcc_lo
	v_cmp_eq_u32_e32 vcc_lo, s51, v11
	s_wait_alu 0xfffd
	v_cndmask_b32_e32 v10, v23, v10, vcc_lo
	v_cmp_ne_u32_e32 vcc_lo, 0, v14
	s_wait_alu 0xfffd
	v_cndmask_b32_e32 v11, v22, v16, vcc_lo
	s_delay_alu instid0(VALU_DEP_3) | instskip(SKIP_2) | instid1(VALU_DEP_2)
	v_cmp_ne_u32_e64 s0, 0, v10
	v_cndmask_b32_e32 v10, v17, v15, vcc_lo
	s_wait_alu 0xf1ff
	v_cndmask_b32_e64 v11, v13, v11, s0
	s_delay_alu instid0(VALU_DEP_2) | instskip(NEXT) | instid1(VALU_DEP_2)
	v_cndmask_b32_e64 v10, v12, v10, s0
	v_xor_b32_e32 v11, v11, v3
	s_delay_alu instid0(VALU_DEP_2) | instskip(NEXT) | instid1(VALU_DEP_1)
	v_xor_b32_e32 v10, v10, v3
	v_sub_co_u32 v10, vcc_lo, v10, v3
	s_wait_alu 0xfffd
	s_delay_alu instid0(VALU_DEP_3)
	v_sub_co_ci_u32_e64 v11, null, v11, v3, vcc_lo
.LBB66_19:                              ;   in Loop: Header=BB66_17 Depth=2
	s_wait_alu 0xfffe
	s_and_not1_saveexec_b32 s0, s1
	s_cbranch_execz .LBB66_16
; %bb.20:                               ;   in Loop: Header=BB66_17 Depth=2
	v_cvt_f32_u32_e32 v3, s46
	s_sub_co_i32 s1, 0, s46
	s_delay_alu instid0(VALU_DEP_1) | instskip(NEXT) | instid1(TRANS32_DEP_1)
	v_rcp_iflag_f32_e32 v3, v3
	v_mul_f32_e32 v3, 0x4f7ffffe, v3
	s_delay_alu instid0(VALU_DEP_1) | instskip(SKIP_1) | instid1(VALU_DEP_1)
	v_cvt_u32_f32_e32 v3, v3
	s_wait_alu 0xfffe
	v_mul_lo_u32 v10, s1, v3
	s_delay_alu instid0(VALU_DEP_1) | instskip(NEXT) | instid1(VALU_DEP_1)
	v_mul_hi_u32 v10, v3, v10
	v_add_nc_u32_e32 v3, v3, v10
	s_delay_alu instid0(VALU_DEP_1) | instskip(NEXT) | instid1(VALU_DEP_1)
	v_mul_hi_u32 v3, v8, v3
	v_mul_lo_u32 v10, v3, s46
	v_add_nc_u32_e32 v11, 1, v3
	s_delay_alu instid0(VALU_DEP_2) | instskip(NEXT) | instid1(VALU_DEP_1)
	v_sub_nc_u32_e32 v10, v8, v10
	v_subrev_nc_u32_e32 v12, s46, v10
	v_cmp_le_u32_e32 vcc_lo, s46, v10
	s_wait_alu 0xfffd
	s_delay_alu instid0(VALU_DEP_2) | instskip(NEXT) | instid1(VALU_DEP_1)
	v_dual_cndmask_b32 v10, v10, v12 :: v_dual_cndmask_b32 v3, v3, v11
	v_cmp_le_u32_e32 vcc_lo, s46, v10
	s_delay_alu instid0(VALU_DEP_2) | instskip(SKIP_1) | instid1(VALU_DEP_1)
	v_add_nc_u32_e32 v11, 1, v3
	s_wait_alu 0xfffd
	v_dual_cndmask_b32 v10, v3, v11 :: v_dual_mov_b32 v11, v2
	s_branch .LBB66_16
.LBB66_21:                              ;   in Loop: Header=BB66_22 Depth=2
	s_wait_alu 0xfffe
	s_or_b32 exec_lo, exec_lo, s0
	v_mul_lo_u32 v3, v11, s44
	v_mul_lo_u32 v26, v10, s45
	v_mad_co_u64_u32 v[22:23], null, v10, s44, 0
	v_mul_lo_u32 v27, v13, s48
	v_mul_lo_u32 v28, v12, s49
	v_mad_co_u64_u32 v[24:25], null, v12, s48, 0
	s_load_b64 s[0:1], s[38:39], 0x0
	s_add_nc_u64 s[42:43], s[42:43], -4
	v_add3_u32 v3, v23, v26, v3
	v_sub_co_u32 v8, vcc_lo, v8, v22
	v_mul_lo_u32 v22, v15, s52
	v_add3_u32 v23, v25, v28, v27
	s_wait_alu 0xfffd
	v_sub_co_ci_u32_e64 v3, null, v9, v3, vcc_lo
	v_mul_lo_u32 v25, s47, v8
	v_mad_co_u64_u32 v[6:7], null, s46, v8, v[6:7]
	s_delay_alu instid0(VALU_DEP_3)
	v_mul_lo_u32 v3, s46, v3
	v_mul_lo_u32 v26, v14, s53
	v_mad_co_u64_u32 v[8:9], null, v14, s52, 0
	v_sub_co_u32 v10, vcc_lo, v10, v24
	s_wait_alu 0xfffd
	v_sub_co_ci_u32_e64 v11, null, v11, v23, vcc_lo
	v_add3_u32 v7, v25, v7, v3
	s_add_nc_u64 s[38:39], s[38:39], s[18:19]
	s_delay_alu instid0(VALU_DEP_4)
	v_add3_u32 v3, v9, v26, v22
	v_mul_lo_u32 v22, s51, v10
	v_mul_lo_u32 v11, s50, v11
	v_mad_co_u64_u32 v[6:7], null, s50, v10, v[6:7]
	v_sub_co_u32 v10, vcc_lo, v12, v8
	s_wait_alu 0xfffd
	v_sub_co_ci_u32_e64 v3, null, v13, v3, vcc_lo
	v_mul_lo_u32 v12, v17, s56
	v_mul_lo_u32 v13, v16, s57
	v_mad_co_u64_u32 v[8:9], null, v16, s56, 0
	v_add3_u32 v7, v22, v7, v11
	v_mul_lo_u32 v3, s54, v3
	s_cmp_eq_u64 s[42:43], 0
	s_add_nc_u64 s[40:41], s[40:41], s[18:19]
	s_delay_alu instid0(VALU_DEP_2) | instskip(SKIP_4) | instid1(VALU_DEP_2)
	v_mad_co_u64_u32 v[6:7], null, s54, v10, v[6:7]
	v_mul_lo_u32 v10, s55, v10
	v_add3_u32 v9, v9, v13, v12
	v_sub_co_u32 v8, vcc_lo, v14, v8
	s_wait_alu 0xfffd
	v_sub_co_ci_u32_e64 v9, null, v15, v9, vcc_lo
	s_delay_alu instid0(VALU_DEP_4) | instskip(SKIP_1) | instid1(VALU_DEP_2)
	v_add3_u32 v7, v10, v7, v3
	s_wait_kmcnt 0x0
	v_mul_lo_u32 v3, s0, v9
	v_mul_lo_u32 v9, s1, v8
	s_delay_alu instid0(VALU_DEP_3) | instskip(NEXT) | instid1(VALU_DEP_1)
	v_mad_co_u64_u32 v[6:7], null, s0, v8, v[6:7]
	v_add3_u32 v7, v9, v7, v3
	v_dual_mov_b32 v8, v16 :: v_dual_mov_b32 v9, v17
	s_cbranch_scc1 .LBB66_38
.LBB66_22:                              ;   Parent Loop BB66_3 Depth=1
                                        ; =>  This Inner Loop Header: Depth=2
	s_load_b64 s[44:45], s[40:41], 0x18
                                        ; implicit-def: $vgpr10_vgpr11
	s_mov_b32 s0, exec_lo
	s_wait_kmcnt 0x0
	v_or_b32_e32 v3, s45, v9
	s_delay_alu instid0(VALU_DEP_1)
	v_cmpx_ne_u64_e32 0, v[2:3]
	s_wait_alu 0xfffe
	s_xor_b32 s1, exec_lo, s0
	s_cbranch_execz .LBB66_24
; %bb.23:                               ;   in Loop: Header=BB66_22 Depth=2
	s_ashr_i32 s46, s45, 31
	v_ashrrev_i32_e32 v3, 31, v9
	s_wait_alu 0xfffe
	s_mov_b32 s47, s46
	s_wait_alu 0xfffe
	s_add_nc_u64 s[48:49], s[44:45], s[46:47]
	v_add_co_u32 v10, vcc_lo, v8, v3
	s_wait_alu 0xfffe
	s_xor_b64 s[48:49], s[48:49], s[46:47]
	s_wait_alu 0xfffd
	v_add_co_ci_u32_e64 v11, null, v9, v3, vcc_lo
	s_wait_alu 0xfffe
	s_cvt_f32_u32 s0, s48
	s_cvt_f32_u32 s14, s49
	s_sub_nc_u64 s[52:53], 0, s[48:49]
	v_xor_b32_e32 v16, v10, v3
	v_xor_b32_e32 v17, v11, v3
	s_wait_alu 0xfffe
	s_fmamk_f32 s0, s14, 0x4f800000, s0
	v_xor_b32_e32 v3, s46, v3
	s_wait_alu 0xfffe
	s_delay_alu instid0(SALU_CYCLE_1) | instskip(NEXT) | instid1(TRANS32_DEP_1)
	v_s_rcp_f32 s0, s0
	s_mul_f32 s0, s0, 0x5f7ffffc
	s_wait_alu 0xfffe
	s_delay_alu instid0(SALU_CYCLE_2) | instskip(SKIP_1) | instid1(SALU_CYCLE_2)
	s_mul_f32 s14, s0, 0x2f800000
	s_wait_alu 0xfffe
	s_trunc_f32 s14, s14
	s_wait_alu 0xfffe
	s_delay_alu instid0(SALU_CYCLE_2) | instskip(SKIP_2) | instid1(SALU_CYCLE_1)
	s_fmamk_f32 s0, s14, 0xcf800000, s0
	s_cvt_u32_f32 s51, s14
	s_wait_alu 0xfffe
	s_cvt_u32_f32 s50, s0
	s_wait_alu 0xfffe
	s_delay_alu instid0(SALU_CYCLE_2)
	s_mul_u64 s[54:55], s[52:53], s[50:51]
	s_wait_alu 0xfffe
	s_mul_hi_u32 s57, s50, s55
	s_mul_i32 s56, s50, s55
	s_mul_hi_u32 s14, s50, s54
	s_mul_i32 s47, s51, s54
	s_wait_alu 0xfffe
	s_add_nc_u64 s[56:57], s[14:15], s[56:57]
	s_mul_hi_u32 s0, s51, s54
	s_mul_hi_u32 s58, s51, s55
	s_wait_alu 0xfffe
	s_add_co_u32 s14, s56, s47
	s_add_co_ci_u32 s14, s57, s0
	s_mul_i32 s54, s51, s55
	s_add_co_ci_u32 s55, s58, 0
	s_wait_alu 0xfffe
	s_add_nc_u64 s[54:55], s[14:15], s[54:55]
	s_wait_alu 0xfffe
	s_add_co_u32 s50, s50, s54
	s_cselect_b32 s0, -1, 0
	s_wait_alu 0xfffe
	s_cmp_lg_u32 s0, 0
	s_add_co_ci_u32 s51, s51, s55
	s_wait_alu 0xfffe
	s_mul_u64 s[52:53], s[52:53], s[50:51]
	s_wait_alu 0xfffe
	s_mul_hi_u32 s55, s50, s53
	s_mul_i32 s54, s50, s53
	s_mul_hi_u32 s14, s50, s52
	s_mul_i32 s47, s51, s52
	s_wait_alu 0xfffe
	s_add_nc_u64 s[54:55], s[14:15], s[54:55]
	s_mul_hi_u32 s0, s51, s52
	s_mul_hi_u32 s56, s51, s53
	s_wait_alu 0xfffe
	s_add_co_u32 s14, s54, s47
	s_add_co_ci_u32 s14, s55, s0
	s_mul_i32 s52, s51, s53
	s_add_co_ci_u32 s53, s56, 0
	s_wait_alu 0xfffe
	s_add_nc_u64 s[52:53], s[14:15], s[52:53]
	s_wait_alu 0xfffe
	s_add_co_u32 s0, s50, s52
	s_cselect_b32 s14, -1, 0
	s_wait_alu 0xfffe
	v_mul_hi_u32 v22, v16, s0
	s_cmp_lg_u32 s14, 0
	v_mad_co_u64_u32 v[12:13], null, v17, s0, 0
	s_add_co_ci_u32 s14, s51, s53
	s_wait_alu 0xfffe
	v_mad_co_u64_u32 v[10:11], null, v16, s14, 0
	v_mad_co_u64_u32 v[14:15], null, v17, s14, 0
	s_delay_alu instid0(VALU_DEP_2) | instskip(SKIP_1) | instid1(VALU_DEP_3)
	v_add_co_u32 v10, vcc_lo, v22, v10
	s_wait_alu 0xfffd
	v_add_co_ci_u32_e64 v11, null, 0, v11, vcc_lo
	s_delay_alu instid0(VALU_DEP_2) | instskip(SKIP_1) | instid1(VALU_DEP_2)
	v_add_co_u32 v10, vcc_lo, v10, v12
	s_wait_alu 0xfffd
	v_add_co_ci_u32_e32 v10, vcc_lo, v11, v13, vcc_lo
	s_wait_alu 0xfffd
	v_add_co_ci_u32_e32 v11, vcc_lo, 0, v15, vcc_lo
	s_delay_alu instid0(VALU_DEP_2) | instskip(SKIP_1) | instid1(VALU_DEP_2)
	v_add_co_u32 v12, vcc_lo, v10, v14
	s_wait_alu 0xfffd
	v_add_co_ci_u32_e64 v13, null, 0, v11, vcc_lo
	s_delay_alu instid0(VALU_DEP_2) | instskip(SKIP_1) | instid1(VALU_DEP_3)
	v_mul_lo_u32 v14, s49, v12
	v_mad_co_u64_u32 v[10:11], null, s48, v12, 0
	v_mul_lo_u32 v15, s48, v13
	s_delay_alu instid0(VALU_DEP_2) | instskip(NEXT) | instid1(VALU_DEP_2)
	v_sub_co_u32 v10, vcc_lo, v16, v10
	v_add3_u32 v11, v11, v15, v14
	v_add_co_u32 v15, s0, v12, 2
	s_wait_alu 0xf1ff
	v_add_co_ci_u32_e64 v16, null, 0, v13, s0
	s_delay_alu instid0(VALU_DEP_3) | instskip(SKIP_3) | instid1(VALU_DEP_3)
	v_sub_nc_u32_e32 v14, v17, v11
	v_sub_co_u32 v22, s0, v10, s48
	s_wait_alu 0xfffd
	v_sub_co_ci_u32_e64 v11, null, v17, v11, vcc_lo
	v_subrev_co_ci_u32_e64 v14, null, s49, v14, vcc_lo
	s_delay_alu instid0(VALU_DEP_3) | instskip(SKIP_1) | instid1(VALU_DEP_2)
	v_cmp_le_u32_e32 vcc_lo, s48, v22
	s_wait_alu 0xf1ff
	v_subrev_co_ci_u32_e64 v14, null, 0, v14, s0
	s_wait_alu 0xfffd
	v_cndmask_b32_e64 v17, 0, -1, vcc_lo
	s_delay_alu instid0(VALU_DEP_2)
	v_cmp_le_u32_e32 vcc_lo, s49, v14
	s_wait_alu 0xfffd
	v_cndmask_b32_e64 v22, 0, -1, vcc_lo
	v_cmp_le_u32_e32 vcc_lo, s48, v10
	s_wait_alu 0xfffd
	v_cndmask_b32_e64 v10, 0, -1, vcc_lo
	;; [unrolled: 3-line block ×3, first 2 shown]
	v_cmp_eq_u32_e32 vcc_lo, s49, v14
	s_wait_alu 0xfffd
	v_cndmask_b32_e32 v14, v22, v17, vcc_lo
	v_add_co_u32 v17, vcc_lo, v12, 1
	s_wait_alu 0xfffd
	v_add_co_ci_u32_e64 v22, null, 0, v13, vcc_lo
	v_cmp_eq_u32_e32 vcc_lo, s49, v11
	s_wait_alu 0xfffd
	v_cndmask_b32_e32 v10, v23, v10, vcc_lo
	v_cmp_ne_u32_e32 vcc_lo, 0, v14
	s_wait_alu 0xfffd
	v_cndmask_b32_e32 v11, v22, v16, vcc_lo
	s_delay_alu instid0(VALU_DEP_3) | instskip(SKIP_2) | instid1(VALU_DEP_2)
	v_cmp_ne_u32_e64 s0, 0, v10
	v_cndmask_b32_e32 v10, v17, v15, vcc_lo
	s_wait_alu 0xf1ff
	v_cndmask_b32_e64 v11, v13, v11, s0
	s_delay_alu instid0(VALU_DEP_2) | instskip(NEXT) | instid1(VALU_DEP_2)
	v_cndmask_b32_e64 v10, v12, v10, s0
	v_xor_b32_e32 v11, v11, v3
	s_delay_alu instid0(VALU_DEP_2) | instskip(NEXT) | instid1(VALU_DEP_1)
	v_xor_b32_e32 v10, v10, v3
	v_sub_co_u32 v10, vcc_lo, v10, v3
	s_wait_alu 0xfffd
	s_delay_alu instid0(VALU_DEP_3)
	v_sub_co_ci_u32_e64 v11, null, v11, v3, vcc_lo
.LBB66_24:                              ;   in Loop: Header=BB66_22 Depth=2
	s_wait_alu 0xfffe
	s_and_not1_saveexec_b32 s0, s1
	s_cbranch_execz .LBB66_26
; %bb.25:                               ;   in Loop: Header=BB66_22 Depth=2
	v_cvt_f32_u32_e32 v3, s44
	s_sub_co_i32 s1, 0, s44
	s_delay_alu instid0(VALU_DEP_1) | instskip(NEXT) | instid1(TRANS32_DEP_1)
	v_rcp_iflag_f32_e32 v3, v3
	v_mul_f32_e32 v3, 0x4f7ffffe, v3
	s_delay_alu instid0(VALU_DEP_1) | instskip(SKIP_1) | instid1(VALU_DEP_1)
	v_cvt_u32_f32_e32 v3, v3
	s_wait_alu 0xfffe
	v_mul_lo_u32 v10, s1, v3
	s_delay_alu instid0(VALU_DEP_1) | instskip(NEXT) | instid1(VALU_DEP_1)
	v_mul_hi_u32 v10, v3, v10
	v_add_nc_u32_e32 v3, v3, v10
	s_delay_alu instid0(VALU_DEP_1) | instskip(NEXT) | instid1(VALU_DEP_1)
	v_mul_hi_u32 v3, v8, v3
	v_mul_lo_u32 v10, v3, s44
	v_add_nc_u32_e32 v11, 1, v3
	s_delay_alu instid0(VALU_DEP_2) | instskip(NEXT) | instid1(VALU_DEP_1)
	v_sub_nc_u32_e32 v10, v8, v10
	v_subrev_nc_u32_e32 v12, s44, v10
	v_cmp_le_u32_e32 vcc_lo, s44, v10
	s_wait_alu 0xfffd
	s_delay_alu instid0(VALU_DEP_2) | instskip(NEXT) | instid1(VALU_DEP_1)
	v_dual_cndmask_b32 v10, v10, v12 :: v_dual_cndmask_b32 v3, v3, v11
	v_cmp_le_u32_e32 vcc_lo, s44, v10
	s_delay_alu instid0(VALU_DEP_2) | instskip(SKIP_1) | instid1(VALU_DEP_1)
	v_add_nc_u32_e32 v11, 1, v3
	s_wait_alu 0xfffd
	v_dual_cndmask_b32 v10, v3, v11 :: v_dual_mov_b32 v11, v2
.LBB66_26:                              ;   in Loop: Header=BB66_22 Depth=2
	s_wait_alu 0xfffe
	s_or_b32 exec_lo, exec_lo, s0
	s_load_b64 s[48:49], s[40:41], 0x10
	s_load_b64 s[46:47], s[38:39], 0x18
                                        ; implicit-def: $vgpr12_vgpr13
	s_mov_b32 s0, exec_lo
	s_wait_kmcnt 0x0
	v_or_b32_e32 v3, s49, v11
	s_delay_alu instid0(VALU_DEP_1)
	v_cmpx_ne_u64_e32 0, v[2:3]
	s_wait_alu 0xfffe
	s_xor_b32 s1, exec_lo, s0
	s_cbranch_execz .LBB66_28
; %bb.27:                               ;   in Loop: Header=BB66_22 Depth=2
	s_ashr_i32 s50, s49, 31
	v_ashrrev_i32_e32 v3, 31, v11
	s_wait_alu 0xfffe
	s_mov_b32 s51, s50
	s_wait_alu 0xfffe
	s_add_nc_u64 s[52:53], s[48:49], s[50:51]
	v_add_co_u32 v12, vcc_lo, v10, v3
	s_wait_alu 0xfffe
	s_xor_b64 s[52:53], s[52:53], s[50:51]
	s_wait_alu 0xfffd
	v_add_co_ci_u32_e64 v13, null, v11, v3, vcc_lo
	s_wait_alu 0xfffe
	s_cvt_f32_u32 s0, s52
	s_cvt_f32_u32 s14, s53
	s_sub_nc_u64 s[56:57], 0, s[52:53]
	v_xor_b32_e32 v22, v12, v3
	v_xor_b32_e32 v23, v13, v3
	s_wait_alu 0xfffe
	s_fmamk_f32 s0, s14, 0x4f800000, s0
	v_xor_b32_e32 v3, s50, v3
	s_wait_alu 0xfffe
	s_delay_alu instid0(SALU_CYCLE_1) | instskip(NEXT) | instid1(TRANS32_DEP_1)
	v_s_rcp_f32 s0, s0
	s_mul_f32 s0, s0, 0x5f7ffffc
	s_wait_alu 0xfffe
	s_delay_alu instid0(SALU_CYCLE_2) | instskip(SKIP_1) | instid1(SALU_CYCLE_2)
	s_mul_f32 s14, s0, 0x2f800000
	s_wait_alu 0xfffe
	s_trunc_f32 s14, s14
	s_wait_alu 0xfffe
	s_delay_alu instid0(SALU_CYCLE_2) | instskip(SKIP_2) | instid1(SALU_CYCLE_1)
	s_fmamk_f32 s0, s14, 0xcf800000, s0
	s_cvt_u32_f32 s55, s14
	s_wait_alu 0xfffe
	s_cvt_u32_f32 s54, s0
	s_wait_alu 0xfffe
	s_delay_alu instid0(SALU_CYCLE_2)
	s_mul_u64 s[58:59], s[56:57], s[54:55]
	s_wait_alu 0xfffe
	s_mul_hi_u32 s61, s54, s59
	s_mul_i32 s60, s54, s59
	s_mul_hi_u32 s14, s54, s58
	s_mul_i32 s51, s55, s58
	s_wait_alu 0xfffe
	s_add_nc_u64 s[60:61], s[14:15], s[60:61]
	s_mul_hi_u32 s0, s55, s58
	s_mul_hi_u32 s66, s55, s59
	s_wait_alu 0xfffe
	s_add_co_u32 s14, s60, s51
	s_add_co_ci_u32 s14, s61, s0
	s_mul_i32 s58, s55, s59
	s_add_co_ci_u32 s59, s66, 0
	s_wait_alu 0xfffe
	s_add_nc_u64 s[58:59], s[14:15], s[58:59]
	s_wait_alu 0xfffe
	s_add_co_u32 s54, s54, s58
	s_cselect_b32 s0, -1, 0
	s_wait_alu 0xfffe
	s_cmp_lg_u32 s0, 0
	s_add_co_ci_u32 s55, s55, s59
	s_wait_alu 0xfffe
	s_mul_u64 s[56:57], s[56:57], s[54:55]
	s_wait_alu 0xfffe
	s_mul_hi_u32 s59, s54, s57
	s_mul_i32 s58, s54, s57
	s_mul_hi_u32 s14, s54, s56
	s_mul_i32 s51, s55, s56
	s_wait_alu 0xfffe
	s_add_nc_u64 s[58:59], s[14:15], s[58:59]
	s_mul_hi_u32 s0, s55, s56
	s_mul_hi_u32 s60, s55, s57
	s_wait_alu 0xfffe
	s_add_co_u32 s14, s58, s51
	s_add_co_ci_u32 s14, s59, s0
	s_mul_i32 s56, s55, s57
	s_add_co_ci_u32 s57, s60, 0
	s_wait_alu 0xfffe
	s_add_nc_u64 s[56:57], s[14:15], s[56:57]
	s_wait_alu 0xfffe
	s_add_co_u32 s0, s54, s56
	s_cselect_b32 s14, -1, 0
	s_wait_alu 0xfffe
	v_mul_hi_u32 v24, v22, s0
	s_cmp_lg_u32 s14, 0
	v_mad_co_u64_u32 v[14:15], null, v23, s0, 0
	s_add_co_ci_u32 s14, s55, s57
	s_wait_alu 0xfffe
	v_mad_co_u64_u32 v[12:13], null, v22, s14, 0
	v_mad_co_u64_u32 v[16:17], null, v23, s14, 0
	s_delay_alu instid0(VALU_DEP_2) | instskip(SKIP_1) | instid1(VALU_DEP_3)
	v_add_co_u32 v12, vcc_lo, v24, v12
	s_wait_alu 0xfffd
	v_add_co_ci_u32_e64 v13, null, 0, v13, vcc_lo
	s_delay_alu instid0(VALU_DEP_2) | instskip(SKIP_1) | instid1(VALU_DEP_2)
	v_add_co_u32 v12, vcc_lo, v12, v14
	s_wait_alu 0xfffd
	v_add_co_ci_u32_e32 v12, vcc_lo, v13, v15, vcc_lo
	s_wait_alu 0xfffd
	v_add_co_ci_u32_e32 v13, vcc_lo, 0, v17, vcc_lo
	s_delay_alu instid0(VALU_DEP_2) | instskip(SKIP_1) | instid1(VALU_DEP_2)
	v_add_co_u32 v14, vcc_lo, v12, v16
	s_wait_alu 0xfffd
	v_add_co_ci_u32_e64 v15, null, 0, v13, vcc_lo
	s_delay_alu instid0(VALU_DEP_2) | instskip(SKIP_1) | instid1(VALU_DEP_3)
	v_mul_lo_u32 v16, s53, v14
	v_mad_co_u64_u32 v[12:13], null, s52, v14, 0
	v_mul_lo_u32 v17, s52, v15
	s_delay_alu instid0(VALU_DEP_2) | instskip(NEXT) | instid1(VALU_DEP_2)
	v_sub_co_u32 v12, vcc_lo, v22, v12
	v_add3_u32 v13, v13, v17, v16
	v_add_co_u32 v17, s0, v14, 2
	s_wait_alu 0xf1ff
	v_add_co_ci_u32_e64 v22, null, 0, v15, s0
	s_delay_alu instid0(VALU_DEP_3) | instskip(SKIP_3) | instid1(VALU_DEP_3)
	v_sub_nc_u32_e32 v16, v23, v13
	v_sub_co_u32 v24, s0, v12, s52
	s_wait_alu 0xfffd
	v_sub_co_ci_u32_e64 v13, null, v23, v13, vcc_lo
	v_subrev_co_ci_u32_e64 v16, null, s53, v16, vcc_lo
	s_delay_alu instid0(VALU_DEP_3) | instskip(SKIP_1) | instid1(VALU_DEP_2)
	v_cmp_le_u32_e32 vcc_lo, s52, v24
	s_wait_alu 0xf1ff
	v_subrev_co_ci_u32_e64 v16, null, 0, v16, s0
	s_wait_alu 0xfffd
	v_cndmask_b32_e64 v23, 0, -1, vcc_lo
	s_delay_alu instid0(VALU_DEP_2)
	v_cmp_le_u32_e32 vcc_lo, s53, v16
	s_wait_alu 0xfffd
	v_cndmask_b32_e64 v24, 0, -1, vcc_lo
	v_cmp_le_u32_e32 vcc_lo, s52, v12
	s_wait_alu 0xfffd
	v_cndmask_b32_e64 v12, 0, -1, vcc_lo
	;; [unrolled: 3-line block ×3, first 2 shown]
	v_cmp_eq_u32_e32 vcc_lo, s53, v16
	s_wait_alu 0xfffd
	v_cndmask_b32_e32 v16, v24, v23, vcc_lo
	v_add_co_u32 v23, vcc_lo, v14, 1
	s_wait_alu 0xfffd
	v_add_co_ci_u32_e64 v24, null, 0, v15, vcc_lo
	v_cmp_eq_u32_e32 vcc_lo, s53, v13
	s_wait_alu 0xfffd
	v_cndmask_b32_e32 v12, v25, v12, vcc_lo
	v_cmp_ne_u32_e32 vcc_lo, 0, v16
	s_wait_alu 0xfffd
	v_cndmask_b32_e32 v13, v24, v22, vcc_lo
	s_delay_alu instid0(VALU_DEP_3) | instskip(SKIP_2) | instid1(VALU_DEP_2)
	v_cmp_ne_u32_e64 s0, 0, v12
	v_cndmask_b32_e32 v12, v23, v17, vcc_lo
	s_wait_alu 0xf1ff
	v_cndmask_b32_e64 v13, v15, v13, s0
	s_delay_alu instid0(VALU_DEP_2) | instskip(NEXT) | instid1(VALU_DEP_2)
	v_cndmask_b32_e64 v12, v14, v12, s0
	v_xor_b32_e32 v13, v13, v3
	s_delay_alu instid0(VALU_DEP_2) | instskip(NEXT) | instid1(VALU_DEP_1)
	v_xor_b32_e32 v12, v12, v3
	v_sub_co_u32 v12, vcc_lo, v12, v3
	s_wait_alu 0xfffd
	s_delay_alu instid0(VALU_DEP_3)
	v_sub_co_ci_u32_e64 v13, null, v13, v3, vcc_lo
.LBB66_28:                              ;   in Loop: Header=BB66_22 Depth=2
	s_wait_alu 0xfffe
	s_and_not1_saveexec_b32 s0, s1
	s_cbranch_execz .LBB66_30
; %bb.29:                               ;   in Loop: Header=BB66_22 Depth=2
	v_cvt_f32_u32_e32 v3, s48
	s_sub_co_i32 s1, 0, s48
	s_delay_alu instid0(VALU_DEP_1) | instskip(NEXT) | instid1(TRANS32_DEP_1)
	v_rcp_iflag_f32_e32 v3, v3
	v_mul_f32_e32 v3, 0x4f7ffffe, v3
	s_delay_alu instid0(VALU_DEP_1) | instskip(SKIP_1) | instid1(VALU_DEP_1)
	v_cvt_u32_f32_e32 v3, v3
	s_wait_alu 0xfffe
	v_mul_lo_u32 v12, s1, v3
	s_delay_alu instid0(VALU_DEP_1) | instskip(NEXT) | instid1(VALU_DEP_1)
	v_mul_hi_u32 v12, v3, v12
	v_add_nc_u32_e32 v3, v3, v12
	s_delay_alu instid0(VALU_DEP_1) | instskip(NEXT) | instid1(VALU_DEP_1)
	v_mul_hi_u32 v3, v10, v3
	v_mul_lo_u32 v12, v3, s48
	v_add_nc_u32_e32 v13, 1, v3
	s_delay_alu instid0(VALU_DEP_2) | instskip(NEXT) | instid1(VALU_DEP_1)
	v_sub_nc_u32_e32 v12, v10, v12
	v_subrev_nc_u32_e32 v14, s48, v12
	v_cmp_le_u32_e32 vcc_lo, s48, v12
	s_wait_alu 0xfffd
	s_delay_alu instid0(VALU_DEP_2) | instskip(NEXT) | instid1(VALU_DEP_1)
	v_dual_cndmask_b32 v12, v12, v14 :: v_dual_cndmask_b32 v3, v3, v13
	v_cmp_le_u32_e32 vcc_lo, s48, v12
	s_delay_alu instid0(VALU_DEP_2) | instskip(SKIP_1) | instid1(VALU_DEP_1)
	v_add_nc_u32_e32 v13, 1, v3
	s_wait_alu 0xfffd
	v_dual_cndmask_b32 v12, v3, v13 :: v_dual_mov_b32 v13, v2
.LBB66_30:                              ;   in Loop: Header=BB66_22 Depth=2
	s_wait_alu 0xfffe
	s_or_b32 exec_lo, exec_lo, s0
	s_load_b64 s[52:53], s[40:41], 0x8
	s_load_b64 s[50:51], s[38:39], 0x10
                                        ; implicit-def: $vgpr14_vgpr15
	s_mov_b32 s0, exec_lo
	s_wait_kmcnt 0x0
	v_or_b32_e32 v3, s53, v13
	s_delay_alu instid0(VALU_DEP_1)
	v_cmpx_ne_u64_e32 0, v[2:3]
	s_wait_alu 0xfffe
	s_xor_b32 s1, exec_lo, s0
	s_cbranch_execz .LBB66_32
; %bb.31:                               ;   in Loop: Header=BB66_22 Depth=2
	s_ashr_i32 s54, s53, 31
	v_ashrrev_i32_e32 v3, 31, v13
	s_wait_alu 0xfffe
	s_mov_b32 s55, s54
	s_wait_alu 0xfffe
	s_add_nc_u64 s[56:57], s[52:53], s[54:55]
	v_add_co_u32 v14, vcc_lo, v12, v3
	s_wait_alu 0xfffe
	s_xor_b64 s[56:57], s[56:57], s[54:55]
	s_wait_alu 0xfffd
	v_add_co_ci_u32_e64 v15, null, v13, v3, vcc_lo
	s_wait_alu 0xfffe
	s_cvt_f32_u32 s0, s56
	s_cvt_f32_u32 s14, s57
	s_sub_nc_u64 s[60:61], 0, s[56:57]
	v_xor_b32_e32 v24, v14, v3
	v_xor_b32_e32 v25, v15, v3
	s_wait_alu 0xfffe
	s_fmamk_f32 s0, s14, 0x4f800000, s0
	v_xor_b32_e32 v3, s54, v3
	s_wait_alu 0xfffe
	s_delay_alu instid0(SALU_CYCLE_1) | instskip(NEXT) | instid1(TRANS32_DEP_1)
	v_s_rcp_f32 s0, s0
	s_mul_f32 s0, s0, 0x5f7ffffc
	s_wait_alu 0xfffe
	s_delay_alu instid0(SALU_CYCLE_2) | instskip(SKIP_1) | instid1(SALU_CYCLE_2)
	s_mul_f32 s14, s0, 0x2f800000
	s_wait_alu 0xfffe
	s_trunc_f32 s14, s14
	s_wait_alu 0xfffe
	s_delay_alu instid0(SALU_CYCLE_2) | instskip(SKIP_2) | instid1(SALU_CYCLE_1)
	s_fmamk_f32 s0, s14, 0xcf800000, s0
	s_cvt_u32_f32 s59, s14
	s_wait_alu 0xfffe
	s_cvt_u32_f32 s58, s0
	s_wait_alu 0xfffe
	s_delay_alu instid0(SALU_CYCLE_2) | instskip(NEXT) | instid1(SALU_CYCLE_1)
	s_mul_u64 s[66:67], s[60:61], s[58:59]
	s_mul_hi_u32 s69, s58, s67
	s_mul_i32 s68, s58, s67
	s_mul_hi_u32 s14, s58, s66
	s_mul_i32 s55, s59, s66
	s_wait_alu 0xfffe
	s_add_nc_u64 s[68:69], s[14:15], s[68:69]
	s_mul_hi_u32 s0, s59, s66
	s_mul_hi_u32 s70, s59, s67
	s_add_co_u32 s14, s68, s55
	s_wait_alu 0xfffe
	s_add_co_ci_u32 s14, s69, s0
	s_mul_i32 s66, s59, s67
	s_add_co_ci_u32 s67, s70, 0
	s_wait_alu 0xfffe
	s_add_nc_u64 s[66:67], s[14:15], s[66:67]
	s_delay_alu instid0(SALU_CYCLE_1)
	s_add_co_u32 s58, s58, s66
	s_cselect_b32 s0, -1, 0
	s_wait_alu 0xfffe
	s_cmp_lg_u32 s0, 0
	s_add_co_ci_u32 s59, s59, s67
	s_wait_alu 0xfffe
	s_mul_u64 s[60:61], s[60:61], s[58:59]
	s_wait_alu 0xfffe
	s_mul_hi_u32 s67, s58, s61
	s_mul_i32 s66, s58, s61
	s_mul_hi_u32 s14, s58, s60
	s_mul_i32 s55, s59, s60
	s_wait_alu 0xfffe
	s_add_nc_u64 s[66:67], s[14:15], s[66:67]
	s_mul_hi_u32 s0, s59, s60
	s_mul_hi_u32 s68, s59, s61
	s_add_co_u32 s14, s66, s55
	s_wait_alu 0xfffe
	s_add_co_ci_u32 s14, s67, s0
	s_mul_i32 s60, s59, s61
	s_add_co_ci_u32 s61, s68, 0
	s_wait_alu 0xfffe
	s_add_nc_u64 s[60:61], s[14:15], s[60:61]
	s_wait_alu 0xfffe
	s_add_co_u32 s0, s58, s60
	s_cselect_b32 s14, -1, 0
	s_wait_alu 0xfffe
	v_mul_hi_u32 v26, v24, s0
	s_cmp_lg_u32 s14, 0
	v_mad_co_u64_u32 v[16:17], null, v25, s0, 0
	s_add_co_ci_u32 s14, s59, s61
	s_wait_alu 0xfffe
	v_mad_co_u64_u32 v[14:15], null, v24, s14, 0
	v_mad_co_u64_u32 v[22:23], null, v25, s14, 0
	s_delay_alu instid0(VALU_DEP_2) | instskip(SKIP_1) | instid1(VALU_DEP_3)
	v_add_co_u32 v14, vcc_lo, v26, v14
	s_wait_alu 0xfffd
	v_add_co_ci_u32_e64 v15, null, 0, v15, vcc_lo
	s_delay_alu instid0(VALU_DEP_2) | instskip(SKIP_1) | instid1(VALU_DEP_2)
	v_add_co_u32 v14, vcc_lo, v14, v16
	s_wait_alu 0xfffd
	v_add_co_ci_u32_e32 v14, vcc_lo, v15, v17, vcc_lo
	s_wait_alu 0xfffd
	v_add_co_ci_u32_e32 v15, vcc_lo, 0, v23, vcc_lo
	s_delay_alu instid0(VALU_DEP_2) | instskip(SKIP_1) | instid1(VALU_DEP_2)
	v_add_co_u32 v16, vcc_lo, v14, v22
	s_wait_alu 0xfffd
	v_add_co_ci_u32_e64 v17, null, 0, v15, vcc_lo
	s_delay_alu instid0(VALU_DEP_2) | instskip(SKIP_1) | instid1(VALU_DEP_3)
	v_mul_lo_u32 v22, s57, v16
	v_mad_co_u64_u32 v[14:15], null, s56, v16, 0
	v_mul_lo_u32 v23, s56, v17
	s_delay_alu instid0(VALU_DEP_2) | instskip(NEXT) | instid1(VALU_DEP_2)
	v_sub_co_u32 v14, vcc_lo, v24, v14
	v_add3_u32 v15, v15, v23, v22
	v_add_co_u32 v23, s0, v16, 2
	s_wait_alu 0xf1ff
	v_add_co_ci_u32_e64 v24, null, 0, v17, s0
	s_delay_alu instid0(VALU_DEP_3) | instskip(SKIP_3) | instid1(VALU_DEP_3)
	v_sub_nc_u32_e32 v22, v25, v15
	v_sub_co_u32 v26, s0, v14, s56
	s_wait_alu 0xfffd
	v_sub_co_ci_u32_e64 v15, null, v25, v15, vcc_lo
	v_subrev_co_ci_u32_e64 v22, null, s57, v22, vcc_lo
	s_delay_alu instid0(VALU_DEP_3) | instskip(SKIP_1) | instid1(VALU_DEP_2)
	v_cmp_le_u32_e32 vcc_lo, s56, v26
	s_wait_alu 0xf1ff
	v_subrev_co_ci_u32_e64 v22, null, 0, v22, s0
	s_wait_alu 0xfffd
	v_cndmask_b32_e64 v25, 0, -1, vcc_lo
	s_delay_alu instid0(VALU_DEP_2)
	v_cmp_le_u32_e32 vcc_lo, s57, v22
	s_wait_alu 0xfffd
	v_cndmask_b32_e64 v26, 0, -1, vcc_lo
	v_cmp_le_u32_e32 vcc_lo, s56, v14
	s_wait_alu 0xfffd
	v_cndmask_b32_e64 v14, 0, -1, vcc_lo
	;; [unrolled: 3-line block ×3, first 2 shown]
	v_cmp_eq_u32_e32 vcc_lo, s57, v22
	s_wait_alu 0xfffd
	v_cndmask_b32_e32 v22, v26, v25, vcc_lo
	v_add_co_u32 v25, vcc_lo, v16, 1
	s_wait_alu 0xfffd
	v_add_co_ci_u32_e64 v26, null, 0, v17, vcc_lo
	v_cmp_eq_u32_e32 vcc_lo, s57, v15
	s_wait_alu 0xfffd
	v_cndmask_b32_e32 v14, v27, v14, vcc_lo
	v_cmp_ne_u32_e32 vcc_lo, 0, v22
	s_wait_alu 0xfffd
	v_cndmask_b32_e32 v15, v26, v24, vcc_lo
	s_delay_alu instid0(VALU_DEP_3) | instskip(SKIP_2) | instid1(VALU_DEP_2)
	v_cmp_ne_u32_e64 s0, 0, v14
	v_cndmask_b32_e32 v14, v25, v23, vcc_lo
	s_wait_alu 0xf1ff
	v_cndmask_b32_e64 v15, v17, v15, s0
	s_delay_alu instid0(VALU_DEP_2) | instskip(NEXT) | instid1(VALU_DEP_2)
	v_cndmask_b32_e64 v14, v16, v14, s0
	v_xor_b32_e32 v15, v15, v3
	s_delay_alu instid0(VALU_DEP_2) | instskip(NEXT) | instid1(VALU_DEP_1)
	v_xor_b32_e32 v14, v14, v3
	v_sub_co_u32 v14, vcc_lo, v14, v3
	s_wait_alu 0xfffd
	s_delay_alu instid0(VALU_DEP_3)
	v_sub_co_ci_u32_e64 v15, null, v15, v3, vcc_lo
.LBB66_32:                              ;   in Loop: Header=BB66_22 Depth=2
	s_wait_alu 0xfffe
	s_and_not1_saveexec_b32 s0, s1
	s_cbranch_execz .LBB66_34
; %bb.33:                               ;   in Loop: Header=BB66_22 Depth=2
	v_cvt_f32_u32_e32 v3, s52
	s_sub_co_i32 s1, 0, s52
	s_delay_alu instid0(VALU_DEP_1) | instskip(NEXT) | instid1(TRANS32_DEP_1)
	v_rcp_iflag_f32_e32 v3, v3
	v_mul_f32_e32 v3, 0x4f7ffffe, v3
	s_delay_alu instid0(VALU_DEP_1) | instskip(SKIP_1) | instid1(VALU_DEP_1)
	v_cvt_u32_f32_e32 v3, v3
	s_wait_alu 0xfffe
	v_mul_lo_u32 v14, s1, v3
	s_delay_alu instid0(VALU_DEP_1) | instskip(NEXT) | instid1(VALU_DEP_1)
	v_mul_hi_u32 v14, v3, v14
	v_add_nc_u32_e32 v3, v3, v14
	s_delay_alu instid0(VALU_DEP_1) | instskip(NEXT) | instid1(VALU_DEP_1)
	v_mul_hi_u32 v3, v12, v3
	v_mul_lo_u32 v14, v3, s52
	v_add_nc_u32_e32 v15, 1, v3
	s_delay_alu instid0(VALU_DEP_2) | instskip(NEXT) | instid1(VALU_DEP_1)
	v_sub_nc_u32_e32 v14, v12, v14
	v_subrev_nc_u32_e32 v16, s52, v14
	v_cmp_le_u32_e32 vcc_lo, s52, v14
	s_wait_alu 0xfffd
	s_delay_alu instid0(VALU_DEP_2) | instskip(NEXT) | instid1(VALU_DEP_1)
	v_dual_cndmask_b32 v14, v14, v16 :: v_dual_cndmask_b32 v3, v3, v15
	v_cmp_le_u32_e32 vcc_lo, s52, v14
	s_delay_alu instid0(VALU_DEP_2) | instskip(SKIP_1) | instid1(VALU_DEP_1)
	v_add_nc_u32_e32 v15, 1, v3
	s_wait_alu 0xfffd
	v_dual_cndmask_b32 v14, v3, v15 :: v_dual_mov_b32 v15, v2
.LBB66_34:                              ;   in Loop: Header=BB66_22 Depth=2
	s_wait_alu 0xfffe
	s_or_b32 exec_lo, exec_lo, s0
	s_load_b64 s[56:57], s[40:41], 0x0
	s_load_b64 s[54:55], s[38:39], 0x8
                                        ; implicit-def: $vgpr16_vgpr17
	s_mov_b32 s0, exec_lo
	s_wait_kmcnt 0x0
	v_or_b32_e32 v3, s57, v15
	s_delay_alu instid0(VALU_DEP_1)
	v_cmpx_ne_u64_e32 0, v[2:3]
	s_wait_alu 0xfffe
	s_xor_b32 s1, exec_lo, s0
	s_cbranch_execz .LBB66_36
; %bb.35:                               ;   in Loop: Header=BB66_22 Depth=2
	s_ashr_i32 s58, s57, 31
	v_ashrrev_i32_e32 v3, 31, v15
	s_wait_alu 0xfffe
	s_mov_b32 s59, s58
	s_wait_alu 0xfffe
	s_add_nc_u64 s[60:61], s[56:57], s[58:59]
	v_add_co_u32 v16, vcc_lo, v14, v3
	s_wait_alu 0xfffe
	s_xor_b64 s[60:61], s[60:61], s[58:59]
	s_wait_alu 0xfffd
	v_add_co_ci_u32_e64 v17, null, v15, v3, vcc_lo
	s_wait_alu 0xfffe
	s_cvt_f32_u32 s0, s60
	s_cvt_f32_u32 s14, s61
	s_sub_nc_u64 s[68:69], 0, s[60:61]
	v_xor_b32_e32 v26, v16, v3
	v_xor_b32_e32 v27, v17, v3
	s_wait_alu 0xfffe
	s_fmamk_f32 s0, s14, 0x4f800000, s0
	v_xor_b32_e32 v3, s58, v3
	s_wait_alu 0xfffe
	s_delay_alu instid0(SALU_CYCLE_1) | instskip(NEXT) | instid1(TRANS32_DEP_1)
	v_s_rcp_f32 s0, s0
	s_mul_f32 s0, s0, 0x5f7ffffc
	s_wait_alu 0xfffe
	s_delay_alu instid0(SALU_CYCLE_2) | instskip(SKIP_1) | instid1(SALU_CYCLE_2)
	s_mul_f32 s14, s0, 0x2f800000
	s_wait_alu 0xfffe
	s_trunc_f32 s14, s14
	s_wait_alu 0xfffe
	s_delay_alu instid0(SALU_CYCLE_2) | instskip(SKIP_2) | instid1(SALU_CYCLE_1)
	s_fmamk_f32 s0, s14, 0xcf800000, s0
	s_cvt_u32_f32 s67, s14
	s_wait_alu 0xfffe
	s_cvt_u32_f32 s66, s0
	s_delay_alu instid0(SALU_CYCLE_3) | instskip(NEXT) | instid1(SALU_CYCLE_1)
	s_mul_u64 s[70:71], s[68:69], s[66:67]
	s_mul_hi_u32 s73, s66, s71
	s_mul_i32 s72, s66, s71
	s_mul_hi_u32 s14, s66, s70
	s_mul_i32 s59, s67, s70
	s_wait_alu 0xfffe
	s_add_nc_u64 s[72:73], s[14:15], s[72:73]
	s_mul_hi_u32 s0, s67, s70
	s_mul_hi_u32 s74, s67, s71
	s_add_co_u32 s14, s72, s59
	s_wait_alu 0xfffe
	s_add_co_ci_u32 s14, s73, s0
	s_mul_i32 s70, s67, s71
	s_add_co_ci_u32 s71, s74, 0
	s_wait_alu 0xfffe
	s_add_nc_u64 s[70:71], s[14:15], s[70:71]
	s_delay_alu instid0(SALU_CYCLE_1) | instskip(SKIP_4) | instid1(SALU_CYCLE_1)
	s_add_co_u32 s66, s66, s70
	s_cselect_b32 s0, -1, 0
	s_wait_alu 0xfffe
	s_cmp_lg_u32 s0, 0
	s_add_co_ci_u32 s67, s67, s71
	s_mul_u64 s[68:69], s[68:69], s[66:67]
	s_delay_alu instid0(SALU_CYCLE_1)
	s_mul_hi_u32 s71, s66, s69
	s_mul_i32 s70, s66, s69
	s_mul_hi_u32 s14, s66, s68
	s_mul_i32 s59, s67, s68
	s_wait_alu 0xfffe
	s_add_nc_u64 s[70:71], s[14:15], s[70:71]
	s_mul_hi_u32 s0, s67, s68
	s_mul_hi_u32 s72, s67, s69
	s_add_co_u32 s14, s70, s59
	s_wait_alu 0xfffe
	s_add_co_ci_u32 s14, s71, s0
	s_mul_i32 s68, s67, s69
	s_add_co_ci_u32 s69, s72, 0
	s_wait_alu 0xfffe
	s_add_nc_u64 s[68:69], s[14:15], s[68:69]
	s_delay_alu instid0(SALU_CYCLE_1)
	s_add_co_u32 s0, s66, s68
	s_cselect_b32 s14, -1, 0
	s_wait_alu 0xfffe
	v_mul_hi_u32 v28, v26, s0
	s_cmp_lg_u32 s14, 0
	v_mad_co_u64_u32 v[22:23], null, v27, s0, 0
	s_add_co_ci_u32 s14, s67, s69
	s_wait_alu 0xfffe
	v_mad_co_u64_u32 v[16:17], null, v26, s14, 0
	v_mad_co_u64_u32 v[24:25], null, v27, s14, 0
	s_delay_alu instid0(VALU_DEP_2) | instskip(SKIP_1) | instid1(VALU_DEP_3)
	v_add_co_u32 v16, vcc_lo, v28, v16
	s_wait_alu 0xfffd
	v_add_co_ci_u32_e64 v17, null, 0, v17, vcc_lo
	s_delay_alu instid0(VALU_DEP_2) | instskip(SKIP_1) | instid1(VALU_DEP_2)
	v_add_co_u32 v16, vcc_lo, v16, v22
	s_wait_alu 0xfffd
	v_add_co_ci_u32_e32 v16, vcc_lo, v17, v23, vcc_lo
	s_wait_alu 0xfffd
	v_add_co_ci_u32_e32 v17, vcc_lo, 0, v25, vcc_lo
	s_delay_alu instid0(VALU_DEP_2) | instskip(SKIP_1) | instid1(VALU_DEP_2)
	v_add_co_u32 v22, vcc_lo, v16, v24
	s_wait_alu 0xfffd
	v_add_co_ci_u32_e64 v23, null, 0, v17, vcc_lo
	s_delay_alu instid0(VALU_DEP_2) | instskip(SKIP_1) | instid1(VALU_DEP_3)
	v_mul_lo_u32 v24, s61, v22
	v_mad_co_u64_u32 v[16:17], null, s60, v22, 0
	v_mul_lo_u32 v25, s60, v23
	s_delay_alu instid0(VALU_DEP_2) | instskip(NEXT) | instid1(VALU_DEP_2)
	v_sub_co_u32 v16, vcc_lo, v26, v16
	v_add3_u32 v17, v17, v25, v24
	v_add_co_u32 v25, s0, v22, 2
	s_wait_alu 0xf1ff
	v_add_co_ci_u32_e64 v26, null, 0, v23, s0
	s_delay_alu instid0(VALU_DEP_3) | instskip(SKIP_3) | instid1(VALU_DEP_3)
	v_sub_nc_u32_e32 v24, v27, v17
	v_sub_co_u32 v28, s0, v16, s60
	s_wait_alu 0xfffd
	v_sub_co_ci_u32_e64 v17, null, v27, v17, vcc_lo
	v_subrev_co_ci_u32_e64 v24, null, s61, v24, vcc_lo
	s_delay_alu instid0(VALU_DEP_3) | instskip(SKIP_1) | instid1(VALU_DEP_2)
	v_cmp_le_u32_e32 vcc_lo, s60, v28
	s_wait_alu 0xf1ff
	v_subrev_co_ci_u32_e64 v24, null, 0, v24, s0
	s_wait_alu 0xfffd
	v_cndmask_b32_e64 v27, 0, -1, vcc_lo
	s_delay_alu instid0(VALU_DEP_2)
	v_cmp_le_u32_e32 vcc_lo, s61, v24
	s_wait_alu 0xfffd
	v_cndmask_b32_e64 v28, 0, -1, vcc_lo
	v_cmp_le_u32_e32 vcc_lo, s60, v16
	s_wait_alu 0xfffd
	v_cndmask_b32_e64 v16, 0, -1, vcc_lo
	;; [unrolled: 3-line block ×3, first 2 shown]
	v_cmp_eq_u32_e32 vcc_lo, s61, v24
	s_wait_alu 0xfffd
	v_cndmask_b32_e32 v24, v28, v27, vcc_lo
	v_add_co_u32 v27, vcc_lo, v22, 1
	s_wait_alu 0xfffd
	v_add_co_ci_u32_e64 v28, null, 0, v23, vcc_lo
	v_cmp_eq_u32_e32 vcc_lo, s61, v17
	s_wait_alu 0xfffd
	v_cndmask_b32_e32 v16, v29, v16, vcc_lo
	v_cmp_ne_u32_e32 vcc_lo, 0, v24
	s_wait_alu 0xfffd
	v_cndmask_b32_e32 v17, v28, v26, vcc_lo
	s_delay_alu instid0(VALU_DEP_3) | instskip(SKIP_2) | instid1(VALU_DEP_2)
	v_cmp_ne_u32_e64 s0, 0, v16
	v_cndmask_b32_e32 v16, v27, v25, vcc_lo
	s_wait_alu 0xf1ff
	v_cndmask_b32_e64 v17, v23, v17, s0
	s_delay_alu instid0(VALU_DEP_2) | instskip(NEXT) | instid1(VALU_DEP_2)
	v_cndmask_b32_e64 v16, v22, v16, s0
	v_xor_b32_e32 v17, v17, v3
	s_delay_alu instid0(VALU_DEP_2) | instskip(NEXT) | instid1(VALU_DEP_1)
	v_xor_b32_e32 v16, v16, v3
	v_sub_co_u32 v16, vcc_lo, v16, v3
	s_wait_alu 0xfffd
	s_delay_alu instid0(VALU_DEP_3)
	v_sub_co_ci_u32_e64 v17, null, v17, v3, vcc_lo
.LBB66_36:                              ;   in Loop: Header=BB66_22 Depth=2
	s_wait_alu 0xfffe
	s_and_not1_saveexec_b32 s0, s1
	s_cbranch_execz .LBB66_21
; %bb.37:                               ;   in Loop: Header=BB66_22 Depth=2
	v_cvt_f32_u32_e32 v3, s56
	s_sub_co_i32 s1, 0, s56
	s_delay_alu instid0(VALU_DEP_1) | instskip(NEXT) | instid1(TRANS32_DEP_1)
	v_rcp_iflag_f32_e32 v3, v3
	v_mul_f32_e32 v3, 0x4f7ffffe, v3
	s_delay_alu instid0(VALU_DEP_1) | instskip(SKIP_1) | instid1(VALU_DEP_1)
	v_cvt_u32_f32_e32 v3, v3
	s_wait_alu 0xfffe
	v_mul_lo_u32 v16, s1, v3
	s_delay_alu instid0(VALU_DEP_1) | instskip(NEXT) | instid1(VALU_DEP_1)
	v_mul_hi_u32 v16, v3, v16
	v_add_nc_u32_e32 v3, v3, v16
	s_delay_alu instid0(VALU_DEP_1) | instskip(NEXT) | instid1(VALU_DEP_1)
	v_mul_hi_u32 v3, v14, v3
	v_mul_lo_u32 v16, v3, s56
	v_add_nc_u32_e32 v17, 1, v3
	s_delay_alu instid0(VALU_DEP_2) | instskip(NEXT) | instid1(VALU_DEP_1)
	v_sub_nc_u32_e32 v16, v14, v16
	v_subrev_nc_u32_e32 v22, s56, v16
	v_cmp_le_u32_e32 vcc_lo, s56, v16
	s_wait_alu 0xfffd
	s_delay_alu instid0(VALU_DEP_2) | instskip(NEXT) | instid1(VALU_DEP_1)
	v_dual_cndmask_b32 v16, v16, v22 :: v_dual_cndmask_b32 v3, v3, v17
	v_cmp_le_u32_e32 vcc_lo, s56, v16
	s_delay_alu instid0(VALU_DEP_2) | instskip(SKIP_1) | instid1(VALU_DEP_1)
	v_add_nc_u32_e32 v17, 1, v3
	s_wait_alu 0xfffd
	v_dual_cndmask_b32 v16, v3, v17 :: v_dual_mov_b32 v17, v2
	s_branch .LBB66_21
.LBB66_38:                              ;   in Loop: Header=BB66_3 Depth=1
	s_load_b64 s[0:1], s[24:25], 0x0
	s_wait_kmcnt 0x0
	v_cmp_gt_i64_e32 vcc_lo, s[0:1], v[4:5]
	s_and_b32 exec_lo, exec_lo, vcc_lo
	s_cbranch_execz .LBB66_2
; %bb.39:                               ;   in Loop: Header=BB66_3 Depth=1
	v_add_co_u32 v3, vcc_lo, v4, 1
	s_wait_alu 0xfffd
	v_add_co_ci_u32_e64 v4, null, 0, v5, vcc_lo
	v_lshlrev_b64_e32 v[5:6], 3, v[6:7]
	s_delay_alu instid0(VALU_DEP_3) | instskip(SKIP_1) | instid1(VALU_DEP_3)
	v_sub_co_u32 v8, vcc_lo, v3, v20
	s_wait_alu 0xfffd
	v_sub_co_ci_u32_e64 v9, null, v4, v21, vcc_lo
	v_cmp_gt_i64_e32 vcc_lo, s[0:1], v[3:4]
	s_delay_alu instid0(VALU_DEP_4) | instskip(NEXT) | instid1(VALU_DEP_3)
	v_add_co_u32 v4, s1, s10, v5
	v_cmp_gt_i64_e64 s0, s[4:5], v[8:9]
	s_wait_alu 0xf1ff
	v_add_co_ci_u32_e64 v5, null, s11, v6, s1
	v_mov_b32_e32 v3, v2
	s_delay_alu instid0(VALU_DEP_3)
	s_and_b32 s0, vcc_lo, s0
	global_store_b64 v[4:5], v[2:3], off
	s_wait_alu 0xfffe
	s_and_b32 exec_lo, exec_lo, s0
	s_cbranch_execz .LBB66_2
; %bb.40:                               ;   in Loop: Header=BB66_3 Depth=1
	s_lshl_b64 s[0:1], s[2:3], 3
	s_wait_alu 0xfffe
	v_add_co_u32 v4, vcc_lo, v4, s0
	s_wait_alu 0xfffd
	v_add_co_ci_u32_e64 v5, null, s1, v5, vcc_lo
	global_store_b64 v[4:5], v[2:3], off
	s_branch .LBB66_2
.LBB66_41:
	s_endpgm
	.section	.rodata,"a",@progbits
	.p2align	6, 0x0
	.amdhsa_kernel _ZN2at6native16triu_tril_kernelIllLb1ELi2ELb1EEEvNS_4cuda6detail10TensorInfoIT_T0_EENS4_IKS5_S6_EEllS6_
		.amdhsa_group_segment_fixed_size 0
		.amdhsa_private_segment_fixed_size 0
		.amdhsa_kernarg_size 1112
		.amdhsa_user_sgpr_count 2
		.amdhsa_user_sgpr_dispatch_ptr 0
		.amdhsa_user_sgpr_queue_ptr 0
		.amdhsa_user_sgpr_kernarg_segment_ptr 1
		.amdhsa_user_sgpr_dispatch_id 0
		.amdhsa_user_sgpr_private_segment_size 0
		.amdhsa_wavefront_size32 1
		.amdhsa_uses_dynamic_stack 0
		.amdhsa_enable_private_segment 0
		.amdhsa_system_sgpr_workgroup_id_x 1
		.amdhsa_system_sgpr_workgroup_id_y 0
		.amdhsa_system_sgpr_workgroup_id_z 0
		.amdhsa_system_sgpr_workgroup_info 0
		.amdhsa_system_vgpr_workitem_id 0
		.amdhsa_next_free_vgpr 30
		.amdhsa_next_free_sgpr 75
		.amdhsa_reserve_vcc 1
		.amdhsa_float_round_mode_32 0
		.amdhsa_float_round_mode_16_64 0
		.amdhsa_float_denorm_mode_32 3
		.amdhsa_float_denorm_mode_16_64 3
		.amdhsa_fp16_overflow 0
		.amdhsa_workgroup_processor_mode 1
		.amdhsa_memory_ordered 1
		.amdhsa_forward_progress 1
		.amdhsa_inst_pref_size 65
		.amdhsa_round_robin_scheduling 0
		.amdhsa_exception_fp_ieee_invalid_op 0
		.amdhsa_exception_fp_denorm_src 0
		.amdhsa_exception_fp_ieee_div_zero 0
		.amdhsa_exception_fp_ieee_overflow 0
		.amdhsa_exception_fp_ieee_underflow 0
		.amdhsa_exception_fp_ieee_inexact 0
		.amdhsa_exception_int_div_zero 0
	.end_amdhsa_kernel
	.section	.text._ZN2at6native16triu_tril_kernelIllLb1ELi2ELb1EEEvNS_4cuda6detail10TensorInfoIT_T0_EENS4_IKS5_S6_EEllS6_,"axG",@progbits,_ZN2at6native16triu_tril_kernelIllLb1ELi2ELb1EEEvNS_4cuda6detail10TensorInfoIT_T0_EENS4_IKS5_S6_EEllS6_,comdat
.Lfunc_end66:
	.size	_ZN2at6native16triu_tril_kernelIllLb1ELi2ELb1EEEvNS_4cuda6detail10TensorInfoIT_T0_EENS4_IKS5_S6_EEllS6_, .Lfunc_end66-_ZN2at6native16triu_tril_kernelIllLb1ELi2ELb1EEEvNS_4cuda6detail10TensorInfoIT_T0_EENS4_IKS5_S6_EEllS6_
                                        ; -- End function
	.set _ZN2at6native16triu_tril_kernelIllLb1ELi2ELb1EEEvNS_4cuda6detail10TensorInfoIT_T0_EENS4_IKS5_S6_EEllS6_.num_vgpr, 30
	.set _ZN2at6native16triu_tril_kernelIllLb1ELi2ELb1EEEvNS_4cuda6detail10TensorInfoIT_T0_EENS4_IKS5_S6_EEllS6_.num_agpr, 0
	.set _ZN2at6native16triu_tril_kernelIllLb1ELi2ELb1EEEvNS_4cuda6detail10TensorInfoIT_T0_EENS4_IKS5_S6_EEllS6_.numbered_sgpr, 75
	.set _ZN2at6native16triu_tril_kernelIllLb1ELi2ELb1EEEvNS_4cuda6detail10TensorInfoIT_T0_EENS4_IKS5_S6_EEllS6_.num_named_barrier, 0
	.set _ZN2at6native16triu_tril_kernelIllLb1ELi2ELb1EEEvNS_4cuda6detail10TensorInfoIT_T0_EENS4_IKS5_S6_EEllS6_.private_seg_size, 0
	.set _ZN2at6native16triu_tril_kernelIllLb1ELi2ELb1EEEvNS_4cuda6detail10TensorInfoIT_T0_EENS4_IKS5_S6_EEllS6_.uses_vcc, 1
	.set _ZN2at6native16triu_tril_kernelIllLb1ELi2ELb1EEEvNS_4cuda6detail10TensorInfoIT_T0_EENS4_IKS5_S6_EEllS6_.uses_flat_scratch, 0
	.set _ZN2at6native16triu_tril_kernelIllLb1ELi2ELb1EEEvNS_4cuda6detail10TensorInfoIT_T0_EENS4_IKS5_S6_EEllS6_.has_dyn_sized_stack, 0
	.set _ZN2at6native16triu_tril_kernelIllLb1ELi2ELb1EEEvNS_4cuda6detail10TensorInfoIT_T0_EENS4_IKS5_S6_EEllS6_.has_recursion, 0
	.set _ZN2at6native16triu_tril_kernelIllLb1ELi2ELb1EEEvNS_4cuda6detail10TensorInfoIT_T0_EENS4_IKS5_S6_EEllS6_.has_indirect_call, 0
	.section	.AMDGPU.csdata,"",@progbits
; Kernel info:
; codeLenInByte = 8320
; TotalNumSgprs: 77
; NumVgprs: 30
; ScratchSize: 0
; MemoryBound: 0
; FloatMode: 240
; IeeeMode: 1
; LDSByteSize: 0 bytes/workgroup (compile time only)
; SGPRBlocks: 0
; VGPRBlocks: 3
; NumSGPRsForWavesPerEU: 77
; NumVGPRsForWavesPerEU: 30
; Occupancy: 16
; WaveLimiterHint : 0
; COMPUTE_PGM_RSRC2:SCRATCH_EN: 0
; COMPUTE_PGM_RSRC2:USER_SGPR: 2
; COMPUTE_PGM_RSRC2:TRAP_HANDLER: 0
; COMPUTE_PGM_RSRC2:TGID_X_EN: 1
; COMPUTE_PGM_RSRC2:TGID_Y_EN: 0
; COMPUTE_PGM_RSRC2:TGID_Z_EN: 0
; COMPUTE_PGM_RSRC2:TIDIG_COMP_CNT: 0
	.section	.text._ZN2at6native16triu_tril_kernelIllLb1ELi2ELb0EEEvNS_4cuda6detail10TensorInfoIT_T0_EENS4_IKS5_S6_EEllS6_,"axG",@progbits,_ZN2at6native16triu_tril_kernelIllLb1ELi2ELb0EEEvNS_4cuda6detail10TensorInfoIT_T0_EENS4_IKS5_S6_EEllS6_,comdat
	.protected	_ZN2at6native16triu_tril_kernelIllLb1ELi2ELb0EEEvNS_4cuda6detail10TensorInfoIT_T0_EENS4_IKS5_S6_EEllS6_ ; -- Begin function _ZN2at6native16triu_tril_kernelIllLb1ELi2ELb0EEEvNS_4cuda6detail10TensorInfoIT_T0_EENS4_IKS5_S6_EEllS6_
	.globl	_ZN2at6native16triu_tril_kernelIllLb1ELi2ELb0EEEvNS_4cuda6detail10TensorInfoIT_T0_EENS4_IKS5_S6_EEllS6_
	.p2align	8
	.type	_ZN2at6native16triu_tril_kernelIllLb1ELi2ELb0EEEvNS_4cuda6detail10TensorInfoIT_T0_EENS4_IKS5_S6_EEllS6_,@function
_ZN2at6native16triu_tril_kernelIllLb1ELi2ELb0EEEvNS_4cuda6detail10TensorInfoIT_T0_EENS4_IKS5_S6_EEllS6_: ; @_ZN2at6native16triu_tril_kernelIllLb1ELi2ELb0EEEvNS_4cuda6detail10TensorInfoIT_T0_EENS4_IKS5_S6_EEllS6_
; %bb.0:
	s_clause 0x1
	s_load_b32 s2, s[0:1], 0x364
	s_load_b128 s[4:7], s[0:1], 0x340
	v_mov_b32_e32 v2, 0
	s_delay_alu instid0(VALU_DEP_1) | instskip(SKIP_3) | instid1(VALU_DEP_1)
	v_mov_b32_e32 v1, v2
	s_wait_kmcnt 0x0
	s_and_b32 s16, s2, 0xffff
	s_mov_b32 s2, exec_lo
	v_mad_co_u64_u32 v[0:1], null, s16, ttmp9, v[0:1]
	s_delay_alu instid0(VALU_DEP_1) | instskip(NEXT) | instid1(VALU_DEP_1)
	v_lshlrev_b64_e32 v[0:1], 1, v[0:1]
	v_cmpx_gt_i64_e64 s[6:7], v[0:1]
	s_cbranch_execz .LBB67_38
; %bb.1:
	s_clause 0x1
	s_load_b32 s38, s[0:1], 0x338
	s_load_b64 s[2:3], s[0:1], 0x1a0
	s_add_nc_u64 s[20:21], s[0:1], 0x1a0
	s_load_b64 s[22:23], s[0:1], 0x350
	s_add_nc_u64 s[14:15], s[0:1], 0x358
	s_mov_b32 s27, 0
	s_mov_b32 s63, 0
	s_wait_kmcnt 0x0
	s_ashr_i32 s39, s38, 31
	s_add_co_i32 s28, s38, -3
	s_lshl_b64 s[18:19], s[38:39], 3
	s_ashr_i32 s29, s28, 31
	s_add_nc_u64 s[12:13], s[20:21], s[18:19]
	v_cmp_gt_i64_e64 s62, s[38:39], 2
	s_add_nc_u64 s[8:9], s[12:13], -8
	s_add_nc_u64 s[30:31], s[28:29], -1
	s_load_b128 s[8:11], s[8:9], 0x0
	s_load_b32 s17, s[14:15], 0x0
	s_clause 0x1
	s_load_b64 s[24:25], s[0:1], 0x0
	s_load_b128 s[12:15], s[12:13], 0xc0
	v_cvt_f32_u32_e32 v3, s22
	s_add_nc_u64 s[38:39], s[0:1], 0xc8
	s_delay_alu instid0(VALU_DEP_1)
	v_rcp_iflag_f32_e32 v3, v3
	s_wait_kmcnt 0x0
	v_cvt_f32_u32_e32 v4, s8
	s_mul_i32 s26, s17, s16
	s_add_nc_u64 s[16:17], s[0:1], s[18:19]
	s_lshl_b32 s33, s26, 1
	s_load_b128 s[16:19], s[16:17], 0xc0
	v_rcp_iflag_f32_e32 v4, v4
	s_delay_alu instid0(TRANS32_DEP_2)
	v_mul_f32_e32 v3, 0x4f7ffffe, v3
	s_bitcmp0_b32 s28, 0
	s_cselect_b32 s60, -1, 0
	s_lshl_b64 s[36:37], s[28:29], 3
	s_cmp_lg_u32 s28, 0
	s_add_nc_u64 s[34:35], s[20:21], s[36:37]
	s_add_nc_u64 s[36:37], s[0:1], s[36:37]
	s_cselect_b32 s61, -1, 0
	s_delay_alu instid0(TRANS32_DEP_1) | instskip(SKIP_2) | instid1(VALU_DEP_2)
	v_mul_f32_e32 v4, 0x4f7ffffe, v4
	v_cvt_u32_f32_e32 v18, v3
	s_ashr_i32 s40, s23, 31
	v_cvt_u32_f32_e32 v19, v4
	s_branch .LBB67_3
.LBB67_2:                               ;   in Loop: Header=BB67_3 Depth=1
	s_wait_alu 0xfffe
	s_or_b32 exec_lo, exec_lo, s0
	v_add_co_u32 v0, vcc_lo, v0, s33
	s_wait_alu 0xfffd
	v_add_co_ci_u32_e64 v1, null, 0, v1, vcc_lo
	s_delay_alu instid0(VALU_DEP_1) | instskip(SKIP_1) | instid1(SALU_CYCLE_1)
	v_cmp_le_i64_e32 vcc_lo, s[6:7], v[0:1]
	s_or_b32 s63, vcc_lo, s63
	s_and_not1_b32 exec_lo, exec_lo, s63
	s_cbranch_execz .LBB67_38
.LBB67_3:                               ; =>This Loop Header: Depth=1
                                        ;     Child Loop BB67_21 Depth 2
	v_or_b32_e32 v3, s23, v1
                                        ; implicit-def: $vgpr6_vgpr7
	s_mov_b32 s0, exec_lo
	s_delay_alu instid0(VALU_DEP_1)
	v_cmpx_ne_u64_e32 0, v[2:3]
	s_wait_alu 0xfffe
	s_xor_b32 s1, exec_lo, s0
	s_cbranch_execz .LBB67_5
; %bb.4:                                ;   in Loop: Header=BB67_3 Depth=1
	s_mov_b32 s41, s40
	v_ashrrev_i32_e32 v9, 31, v1
	s_wait_alu 0xfffe
	s_add_nc_u64 s[42:43], s[22:23], s[40:41]
	s_wait_alu 0xfffe
	s_xor_b64 s[42:43], s[42:43], s[40:41]
	v_add_co_u32 v3, vcc_lo, v0, v9
	s_wait_alu 0xfffe
	s_cvt_f32_u32 s0, s42
	s_cvt_f32_u32 s26, s43
	s_sub_nc_u64 s[46:47], 0, s[42:43]
	s_wait_alu 0xfffd
	v_add_co_ci_u32_e64 v4, null, v1, v9, vcc_lo
	s_wait_alu 0xfffe
	s_fmamk_f32 s0, s26, 0x4f800000, s0
	v_xor_b32_e32 v10, v3, v9
	s_delay_alu instid0(VALU_DEP_2) | instskip(SKIP_2) | instid1(TRANS32_DEP_1)
	v_xor_b32_e32 v11, v4, v9
	s_wait_alu 0xfffe
	v_s_rcp_f32 s0, s0
	s_mul_f32 s0, s0, 0x5f7ffffc
	s_wait_alu 0xfffe
	s_delay_alu instid0(SALU_CYCLE_2) | instskip(SKIP_1) | instid1(SALU_CYCLE_2)
	s_mul_f32 s26, s0, 0x2f800000
	s_wait_alu 0xfffe
	s_trunc_f32 s26, s26
	s_wait_alu 0xfffe
	s_delay_alu instid0(SALU_CYCLE_2) | instskip(SKIP_2) | instid1(SALU_CYCLE_1)
	s_fmamk_f32 s0, s26, 0xcf800000, s0
	s_cvt_u32_f32 s45, s26
	s_wait_alu 0xfffe
	s_cvt_u32_f32 s44, s0
	s_wait_alu 0xfffe
	s_delay_alu instid0(SALU_CYCLE_2)
	s_mul_u64 s[48:49], s[46:47], s[44:45]
	s_wait_alu 0xfffe
	s_mul_hi_u32 s51, s44, s49
	s_mul_i32 s50, s44, s49
	s_mul_hi_u32 s26, s44, s48
	s_mul_i32 s41, s45, s48
	s_wait_alu 0xfffe
	s_add_nc_u64 s[50:51], s[26:27], s[50:51]
	s_mul_hi_u32 s0, s45, s48
	s_mul_hi_u32 s52, s45, s49
	s_wait_alu 0xfffe
	s_add_co_u32 s26, s50, s41
	s_add_co_ci_u32 s26, s51, s0
	s_mul_i32 s48, s45, s49
	s_add_co_ci_u32 s49, s52, 0
	s_wait_alu 0xfffe
	s_add_nc_u64 s[48:49], s[26:27], s[48:49]
	s_wait_alu 0xfffe
	s_add_co_u32 s44, s44, s48
	s_cselect_b32 s0, -1, 0
	s_wait_alu 0xfffe
	s_cmp_lg_u32 s0, 0
	s_add_co_ci_u32 s45, s45, s49
	s_wait_alu 0xfffe
	s_mul_u64 s[46:47], s[46:47], s[44:45]
	s_wait_alu 0xfffe
	s_mul_hi_u32 s49, s44, s47
	s_mul_i32 s48, s44, s47
	s_mul_hi_u32 s26, s44, s46
	s_mul_i32 s41, s45, s46
	s_wait_alu 0xfffe
	s_add_nc_u64 s[48:49], s[26:27], s[48:49]
	s_mul_hi_u32 s0, s45, s46
	s_mul_hi_u32 s50, s45, s47
	s_wait_alu 0xfffe
	s_add_co_u32 s26, s48, s41
	s_add_co_ci_u32 s26, s49, s0
	s_mul_i32 s46, s45, s47
	s_add_co_ci_u32 s47, s50, 0
	s_wait_alu 0xfffe
	s_add_nc_u64 s[46:47], s[26:27], s[46:47]
	s_wait_alu 0xfffe
	s_add_co_u32 s0, s44, s46
	s_cselect_b32 s26, -1, 0
	s_wait_alu 0xfffe
	v_mul_hi_u32 v12, v10, s0
	s_cmp_lg_u32 s26, 0
	v_mad_co_u64_u32 v[5:6], null, v11, s0, 0
	s_add_co_ci_u32 s26, s45, s47
	s_wait_alu 0xfffe
	v_mad_co_u64_u32 v[3:4], null, v10, s26, 0
	v_mad_co_u64_u32 v[7:8], null, v11, s26, 0
	s_delay_alu instid0(VALU_DEP_2) | instskip(SKIP_1) | instid1(VALU_DEP_3)
	v_add_co_u32 v3, vcc_lo, v12, v3
	s_wait_alu 0xfffd
	v_add_co_ci_u32_e64 v4, null, 0, v4, vcc_lo
	s_delay_alu instid0(VALU_DEP_2) | instskip(SKIP_1) | instid1(VALU_DEP_2)
	v_add_co_u32 v3, vcc_lo, v3, v5
	s_wait_alu 0xfffd
	v_add_co_ci_u32_e32 v3, vcc_lo, v4, v6, vcc_lo
	s_wait_alu 0xfffd
	v_add_co_ci_u32_e32 v4, vcc_lo, 0, v8, vcc_lo
	s_delay_alu instid0(VALU_DEP_2) | instskip(SKIP_1) | instid1(VALU_DEP_2)
	v_add_co_u32 v5, vcc_lo, v3, v7
	s_wait_alu 0xfffd
	v_add_co_ci_u32_e64 v6, null, 0, v4, vcc_lo
	s_delay_alu instid0(VALU_DEP_2) | instskip(SKIP_1) | instid1(VALU_DEP_3)
	v_mul_lo_u32 v7, s43, v5
	v_mad_co_u64_u32 v[3:4], null, s42, v5, 0
	v_mul_lo_u32 v8, s42, v6
	s_delay_alu instid0(VALU_DEP_2) | instskip(NEXT) | instid1(VALU_DEP_2)
	v_sub_co_u32 v3, vcc_lo, v10, v3
	v_add3_u32 v4, v4, v8, v7
	v_add_co_u32 v8, s0, v5, 2
	s_wait_alu 0xf1ff
	v_add_co_ci_u32_e64 v10, null, 0, v6, s0
	s_delay_alu instid0(VALU_DEP_3) | instskip(SKIP_3) | instid1(VALU_DEP_3)
	v_sub_nc_u32_e32 v7, v11, v4
	v_sub_co_u32 v12, s0, v3, s42
	s_wait_alu 0xfffd
	v_sub_co_ci_u32_e64 v4, null, v11, v4, vcc_lo
	v_subrev_co_ci_u32_e64 v7, null, s43, v7, vcc_lo
	s_delay_alu instid0(VALU_DEP_3) | instskip(SKIP_1) | instid1(VALU_DEP_2)
	v_cmp_le_u32_e32 vcc_lo, s42, v12
	s_wait_alu 0xf1ff
	v_subrev_co_ci_u32_e64 v7, null, 0, v7, s0
	s_wait_alu 0xfffd
	v_cndmask_b32_e64 v11, 0, -1, vcc_lo
	s_delay_alu instid0(VALU_DEP_2)
	v_cmp_le_u32_e32 vcc_lo, s43, v7
	s_wait_alu 0xfffd
	v_cndmask_b32_e64 v12, 0, -1, vcc_lo
	v_cmp_le_u32_e32 vcc_lo, s42, v3
	s_wait_alu 0xfffd
	v_cndmask_b32_e64 v3, 0, -1, vcc_lo
	;; [unrolled: 3-line block ×3, first 2 shown]
	v_cmp_eq_u32_e32 vcc_lo, s43, v7
	s_wait_alu 0xfffd
	v_cndmask_b32_e32 v7, v12, v11, vcc_lo
	v_add_co_u32 v11, vcc_lo, v5, 1
	s_wait_alu 0xfffd
	v_add_co_ci_u32_e64 v12, null, 0, v6, vcc_lo
	v_cmp_eq_u32_e32 vcc_lo, s43, v4
	s_wait_alu 0xfffd
	v_cndmask_b32_e32 v3, v13, v3, vcc_lo
	v_cmp_ne_u32_e32 vcc_lo, 0, v7
	v_xor_b32_e32 v7, s40, v9
	s_wait_alu 0xfffd
	v_cndmask_b32_e32 v4, v12, v10, vcc_lo
	v_cmp_ne_u32_e64 s0, 0, v3
	v_cndmask_b32_e32 v3, v11, v8, vcc_lo
	s_wait_alu 0xf1ff
	s_delay_alu instid0(VALU_DEP_2) | instskip(NEXT) | instid1(VALU_DEP_2)
	v_cndmask_b32_e64 v4, v6, v4, s0
	v_cndmask_b32_e64 v3, v5, v3, s0
	s_delay_alu instid0(VALU_DEP_2) | instskip(NEXT) | instid1(VALU_DEP_2)
	v_xor_b32_e32 v4, v4, v7
	v_xor_b32_e32 v3, v3, v7
	s_delay_alu instid0(VALU_DEP_1) | instskip(SKIP_1) | instid1(VALU_DEP_3)
	v_sub_co_u32 v6, vcc_lo, v3, v7
	s_wait_alu 0xfffd
	v_sub_co_ci_u32_e64 v7, null, v4, v7, vcc_lo
.LBB67_5:                               ;   in Loop: Header=BB67_3 Depth=1
	s_wait_alu 0xfffe
	s_and_not1_saveexec_b32 s0, s1
	s_cbranch_execz .LBB67_7
; %bb.6:                                ;   in Loop: Header=BB67_3 Depth=1
	s_sub_co_i32 s1, 0, s22
	v_mov_b32_e32 v7, v2
	s_wait_alu 0xfffe
	v_mul_lo_u32 v3, s1, v18
	s_delay_alu instid0(VALU_DEP_1) | instskip(NEXT) | instid1(VALU_DEP_1)
	v_mul_hi_u32 v3, v18, v3
	v_add_nc_u32_e32 v3, v18, v3
	s_delay_alu instid0(VALU_DEP_1) | instskip(NEXT) | instid1(VALU_DEP_1)
	v_mul_hi_u32 v3, v0, v3
	v_mul_lo_u32 v4, v3, s22
	v_add_nc_u32_e32 v5, 1, v3
	s_delay_alu instid0(VALU_DEP_2) | instskip(NEXT) | instid1(VALU_DEP_1)
	v_sub_nc_u32_e32 v4, v0, v4
	v_subrev_nc_u32_e32 v6, s22, v4
	v_cmp_le_u32_e32 vcc_lo, s22, v4
	s_wait_alu 0xfffd
	s_delay_alu instid0(VALU_DEP_2) | instskip(NEXT) | instid1(VALU_DEP_1)
	v_dual_cndmask_b32 v4, v4, v6 :: v_dual_cndmask_b32 v3, v3, v5
	v_cmp_le_u32_e32 vcc_lo, s22, v4
	s_delay_alu instid0(VALU_DEP_2) | instskip(SKIP_1) | instid1(VALU_DEP_1)
	v_add_nc_u32_e32 v5, 1, v3
	s_wait_alu 0xfffd
	v_cndmask_b32_e32 v6, v3, v5, vcc_lo
.LBB67_7:                               ;   in Loop: Header=BB67_3 Depth=1
	s_wait_alu 0xfffe
	s_or_b32 exec_lo, exec_lo, s0
	v_or_b32_e32 v3, s9, v7
                                        ; implicit-def: $vgpr10_vgpr11
	s_mov_b32 s0, exec_lo
	s_delay_alu instid0(VALU_DEP_1)
	v_cmpx_ne_u64_e32 0, v[2:3]
	s_wait_alu 0xfffe
	s_xor_b32 s1, exec_lo, s0
	s_cbranch_execz .LBB67_9
; %bb.8:                                ;   in Loop: Header=BB67_3 Depth=1
	s_ashr_i32 s42, s9, 31
	v_ashrrev_i32_e32 v5, 31, v7
	s_wait_alu 0xfffe
	s_mov_b32 s43, s42
	s_wait_alu 0xfffe
	s_add_nc_u64 s[44:45], s[8:9], s[42:43]
	v_add_co_u32 v3, vcc_lo, v6, v5
	s_wait_alu 0xfffe
	s_xor_b64 s[44:45], s[44:45], s[42:43]
	s_wait_alu 0xfffd
	v_add_co_ci_u32_e64 v4, null, v7, v5, vcc_lo
	s_wait_alu 0xfffe
	s_cvt_f32_u32 s0, s44
	s_cvt_f32_u32 s26, s45
	s_sub_nc_u64 s[48:49], 0, s[44:45]
	v_xor_b32_e32 v12, v3, v5
	v_xor_b32_e32 v13, v4, v5
	s_wait_alu 0xfffe
	s_fmamk_f32 s0, s26, 0x4f800000, s0
	v_xor_b32_e32 v5, s42, v5
	s_wait_alu 0xfffe
	s_delay_alu instid0(SALU_CYCLE_1) | instskip(NEXT) | instid1(TRANS32_DEP_1)
	v_s_rcp_f32 s0, s0
	s_mul_f32 s0, s0, 0x5f7ffffc
	s_wait_alu 0xfffe
	s_delay_alu instid0(SALU_CYCLE_2) | instskip(SKIP_1) | instid1(SALU_CYCLE_2)
	s_mul_f32 s26, s0, 0x2f800000
	s_wait_alu 0xfffe
	s_trunc_f32 s26, s26
	s_wait_alu 0xfffe
	s_delay_alu instid0(SALU_CYCLE_2) | instskip(SKIP_2) | instid1(SALU_CYCLE_1)
	s_fmamk_f32 s0, s26, 0xcf800000, s0
	s_cvt_u32_f32 s47, s26
	s_wait_alu 0xfffe
	s_cvt_u32_f32 s46, s0
	s_wait_alu 0xfffe
	s_delay_alu instid0(SALU_CYCLE_2)
	s_mul_u64 s[50:51], s[48:49], s[46:47]
	s_wait_alu 0xfffe
	s_mul_hi_u32 s53, s46, s51
	s_mul_i32 s52, s46, s51
	s_mul_hi_u32 s26, s46, s50
	s_mul_i32 s41, s47, s50
	s_wait_alu 0xfffe
	s_add_nc_u64 s[52:53], s[26:27], s[52:53]
	s_mul_hi_u32 s0, s47, s50
	s_mul_hi_u32 s43, s47, s51
	s_wait_alu 0xfffe
	s_add_co_u32 s26, s52, s41
	s_add_co_ci_u32 s26, s53, s0
	s_mul_i32 s50, s47, s51
	s_add_co_ci_u32 s51, s43, 0
	s_wait_alu 0xfffe
	s_add_nc_u64 s[50:51], s[26:27], s[50:51]
	s_wait_alu 0xfffe
	s_add_co_u32 s46, s46, s50
	s_cselect_b32 s0, -1, 0
	s_wait_alu 0xfffe
	s_cmp_lg_u32 s0, 0
	s_add_co_ci_u32 s47, s47, s51
	s_wait_alu 0xfffe
	s_mul_u64 s[48:49], s[48:49], s[46:47]
	s_wait_alu 0xfffe
	s_mul_hi_u32 s51, s46, s49
	s_mul_i32 s50, s46, s49
	s_mul_hi_u32 s26, s46, s48
	s_mul_i32 s41, s47, s48
	s_wait_alu 0xfffe
	s_add_nc_u64 s[50:51], s[26:27], s[50:51]
	s_mul_hi_u32 s0, s47, s48
	s_mul_hi_u32 s43, s47, s49
	s_wait_alu 0xfffe
	s_add_co_u32 s26, s50, s41
	s_add_co_ci_u32 s26, s51, s0
	s_mul_i32 s48, s47, s49
	s_add_co_ci_u32 s49, s43, 0
	s_wait_alu 0xfffe
	s_add_nc_u64 s[48:49], s[26:27], s[48:49]
	s_wait_alu 0xfffe
	s_add_co_u32 s0, s46, s48
	s_cselect_b32 s26, -1, 0
	s_wait_alu 0xfffe
	v_mul_hi_u32 v14, v12, s0
	s_cmp_lg_u32 s26, 0
	v_mad_co_u64_u32 v[8:9], null, v13, s0, 0
	s_add_co_ci_u32 s26, s47, s49
	s_wait_alu 0xfffe
	v_mad_co_u64_u32 v[3:4], null, v12, s26, 0
	v_mad_co_u64_u32 v[10:11], null, v13, s26, 0
	s_delay_alu instid0(VALU_DEP_2) | instskip(SKIP_1) | instid1(VALU_DEP_3)
	v_add_co_u32 v3, vcc_lo, v14, v3
	s_wait_alu 0xfffd
	v_add_co_ci_u32_e64 v4, null, 0, v4, vcc_lo
	s_delay_alu instid0(VALU_DEP_2) | instskip(SKIP_1) | instid1(VALU_DEP_2)
	v_add_co_u32 v3, vcc_lo, v3, v8
	s_wait_alu 0xfffd
	v_add_co_ci_u32_e32 v3, vcc_lo, v4, v9, vcc_lo
	s_wait_alu 0xfffd
	v_add_co_ci_u32_e32 v4, vcc_lo, 0, v11, vcc_lo
	s_delay_alu instid0(VALU_DEP_2) | instskip(SKIP_1) | instid1(VALU_DEP_2)
	v_add_co_u32 v8, vcc_lo, v3, v10
	s_wait_alu 0xfffd
	v_add_co_ci_u32_e64 v9, null, 0, v4, vcc_lo
	s_delay_alu instid0(VALU_DEP_2) | instskip(SKIP_1) | instid1(VALU_DEP_3)
	v_mul_lo_u32 v10, s45, v8
	v_mad_co_u64_u32 v[3:4], null, s44, v8, 0
	v_mul_lo_u32 v11, s44, v9
	s_delay_alu instid0(VALU_DEP_2) | instskip(NEXT) | instid1(VALU_DEP_2)
	v_sub_co_u32 v3, vcc_lo, v12, v3
	v_add3_u32 v4, v4, v11, v10
	v_add_co_u32 v11, s0, v8, 2
	s_wait_alu 0xf1ff
	v_add_co_ci_u32_e64 v12, null, 0, v9, s0
	s_delay_alu instid0(VALU_DEP_3) | instskip(SKIP_3) | instid1(VALU_DEP_3)
	v_sub_nc_u32_e32 v10, v13, v4
	v_sub_co_u32 v14, s0, v3, s44
	s_wait_alu 0xfffd
	v_sub_co_ci_u32_e64 v4, null, v13, v4, vcc_lo
	v_subrev_co_ci_u32_e64 v10, null, s45, v10, vcc_lo
	s_delay_alu instid0(VALU_DEP_3) | instskip(SKIP_1) | instid1(VALU_DEP_2)
	v_cmp_le_u32_e32 vcc_lo, s44, v14
	s_wait_alu 0xf1ff
	v_subrev_co_ci_u32_e64 v10, null, 0, v10, s0
	s_wait_alu 0xfffd
	v_cndmask_b32_e64 v13, 0, -1, vcc_lo
	s_delay_alu instid0(VALU_DEP_2)
	v_cmp_le_u32_e32 vcc_lo, s45, v10
	s_wait_alu 0xfffd
	v_cndmask_b32_e64 v14, 0, -1, vcc_lo
	v_cmp_le_u32_e32 vcc_lo, s44, v3
	s_wait_alu 0xfffd
	v_cndmask_b32_e64 v3, 0, -1, vcc_lo
	;; [unrolled: 3-line block ×3, first 2 shown]
	v_cmp_eq_u32_e32 vcc_lo, s45, v10
	s_wait_alu 0xfffd
	v_cndmask_b32_e32 v10, v14, v13, vcc_lo
	v_add_co_u32 v13, vcc_lo, v8, 1
	s_wait_alu 0xfffd
	v_add_co_ci_u32_e64 v14, null, 0, v9, vcc_lo
	v_cmp_eq_u32_e32 vcc_lo, s45, v4
	s_wait_alu 0xfffd
	v_cndmask_b32_e32 v3, v15, v3, vcc_lo
	v_cmp_ne_u32_e32 vcc_lo, 0, v10
	s_delay_alu instid0(VALU_DEP_2) | instskip(SKIP_3) | instid1(VALU_DEP_1)
	v_cmp_ne_u32_e64 s0, 0, v3
	s_wait_alu 0xfffd
	v_dual_cndmask_b32 v4, v14, v12 :: v_dual_cndmask_b32 v3, v13, v11
	s_wait_alu 0xf1ff
	v_cndmask_b32_e64 v4, v9, v4, s0
	s_delay_alu instid0(VALU_DEP_2) | instskip(NEXT) | instid1(VALU_DEP_2)
	v_cndmask_b32_e64 v3, v8, v3, s0
	v_xor_b32_e32 v4, v4, v5
	s_delay_alu instid0(VALU_DEP_2) | instskip(NEXT) | instid1(VALU_DEP_1)
	v_xor_b32_e32 v3, v3, v5
	v_sub_co_u32 v10, vcc_lo, v3, v5
	s_wait_alu 0xfffd
	s_delay_alu instid0(VALU_DEP_3)
	v_sub_co_ci_u32_e64 v11, null, v4, v5, vcc_lo
.LBB67_9:                               ;   in Loop: Header=BB67_3 Depth=1
	s_wait_alu 0xfffe
	s_and_not1_saveexec_b32 s0, s1
	s_cbranch_execz .LBB67_11
; %bb.10:                               ;   in Loop: Header=BB67_3 Depth=1
	s_sub_co_i32 s1, 0, s8
	v_mov_b32_e32 v11, v2
	s_wait_alu 0xfffe
	v_mul_lo_u32 v3, s1, v19
	s_delay_alu instid0(VALU_DEP_1) | instskip(NEXT) | instid1(VALU_DEP_1)
	v_mul_hi_u32 v3, v19, v3
	v_add_nc_u32_e32 v3, v19, v3
	s_delay_alu instid0(VALU_DEP_1) | instskip(NEXT) | instid1(VALU_DEP_1)
	v_mul_hi_u32 v3, v6, v3
	v_mul_lo_u32 v4, v3, s8
	v_add_nc_u32_e32 v5, 1, v3
	s_delay_alu instid0(VALU_DEP_2) | instskip(NEXT) | instid1(VALU_DEP_1)
	v_sub_nc_u32_e32 v4, v6, v4
	v_subrev_nc_u32_e32 v8, s8, v4
	v_cmp_le_u32_e32 vcc_lo, s8, v4
	s_wait_alu 0xfffd
	s_delay_alu instid0(VALU_DEP_2) | instskip(NEXT) | instid1(VALU_DEP_1)
	v_dual_cndmask_b32 v4, v4, v8 :: v_dual_cndmask_b32 v3, v3, v5
	v_cmp_le_u32_e32 vcc_lo, s8, v4
	s_delay_alu instid0(VALU_DEP_2) | instskip(SKIP_1) | instid1(VALU_DEP_1)
	v_add_nc_u32_e32 v5, 1, v3
	s_wait_alu 0xfffd
	v_cndmask_b32_e32 v10, v3, v5, vcc_lo
.LBB67_11:                              ;   in Loop: Header=BB67_3 Depth=1
	s_wait_alu 0xfffe
	s_or_b32 exec_lo, exec_lo, s0
	v_mul_lo_u32 v5, v7, s22
	v_mul_lo_u32 v12, v6, s23
	v_mad_co_u64_u32 v[3:4], null, v6, s22, 0
	v_mul_lo_u32 v13, v11, s8
	v_mul_lo_u32 v14, v10, s9
	v_mad_co_u64_u32 v[8:9], null, v10, s8, 0
	s_delay_alu instid0(VALU_DEP_4) | instskip(SKIP_1) | instid1(VALU_DEP_3)
	v_add3_u32 v5, v4, v12, v5
	v_sub_co_u32 v4, vcc_lo, v0, v3
	v_add3_u32 v3, v9, v14, v13
	s_wait_alu 0xfffd
	s_delay_alu instid0(VALU_DEP_3) | instskip(NEXT) | instid1(VALU_DEP_3)
	v_sub_co_ci_u32_e64 v5, null, v1, v5, vcc_lo
	v_mul_lo_u32 v9, s15, v4
	v_mad_co_u64_u32 v[12:13], null, s14, v4, 0
	s_wait_kmcnt 0x0
	v_mul_lo_u32 v20, s19, v4
	v_mul_lo_u32 v21, s14, v5
	;; [unrolled: 1-line block ×3, first 2 shown]
	v_mad_co_u64_u32 v[14:15], null, s18, v4, 0
	v_sub_co_u32 v16, vcc_lo, v6, v8
	s_wait_alu 0xfffd
	v_sub_co_ci_u32_e64 v17, null, v7, v3, vcc_lo
	v_add3_u32 v13, v13, v21, v9
	s_delay_alu instid0(VALU_DEP_3) | instskip(SKIP_1) | instid1(VALU_DEP_4)
	v_mul_lo_u32 v3, s13, v16
	v_add3_u32 v15, v15, v22, v20
	v_mul_lo_u32 v21, s12, v17
	s_and_not1_b32 vcc_lo, exec_lo, s62
	v_mad_co_u64_u32 v[8:9], null, s12, v16, v[12:13]
	v_mul_lo_u32 v12, s16, v17
	v_mul_lo_u32 v13, s17, v16
	v_mad_co_u64_u32 v[6:7], null, s16, v16, v[14:15]
	s_delay_alu instid0(VALU_DEP_4) | instskip(NEXT) | instid1(VALU_DEP_2)
	v_add3_u32 v9, v3, v9, v21
	v_add3_u32 v7, v13, v7, v12
	s_wait_alu 0xfffe
	s_cbranch_vccnz .LBB67_29
; %bb.12:                               ;   in Loop: Header=BB67_3 Depth=1
	s_and_not1_b32 vcc_lo, exec_lo, s60
	s_wait_alu 0xfffe
	s_cbranch_vccnz .LBB67_18
; %bb.13:                               ;   in Loop: Header=BB67_3 Depth=1
	s_load_b64 s[42:43], s[34:35], 0x8
                                        ; implicit-def: $vgpr12_vgpr13
	s_mov_b32 s0, exec_lo
	s_wait_kmcnt 0x0
	v_or_b32_e32 v3, s43, v11
	s_delay_alu instid0(VALU_DEP_1)
	v_cmpx_ne_u64_e32 0, v[2:3]
	s_wait_alu 0xfffe
	s_xor_b32 s1, exec_lo, s0
	s_cbranch_execz .LBB67_15
; %bb.14:                               ;   in Loop: Header=BB67_3 Depth=1
	s_ashr_i32 s44, s43, 31
	v_ashrrev_i32_e32 v3, 31, v11
	s_wait_alu 0xfffe
	s_mov_b32 s45, s44
	s_wait_alu 0xfffe
	s_add_nc_u64 s[46:47], s[42:43], s[44:45]
	v_add_co_u32 v12, vcc_lo, v10, v3
	s_wait_alu 0xfffe
	s_xor_b64 s[46:47], s[46:47], s[44:45]
	s_wait_alu 0xfffd
	v_add_co_ci_u32_e64 v13, null, v11, v3, vcc_lo
	s_wait_alu 0xfffe
	s_cvt_f32_u32 s0, s46
	s_cvt_f32_u32 s26, s47
	s_sub_nc_u64 s[50:51], 0, s[46:47]
	v_xor_b32_e32 v22, v12, v3
	v_xor_b32_e32 v23, v13, v3
	s_wait_alu 0xfffe
	s_fmamk_f32 s0, s26, 0x4f800000, s0
	v_xor_b32_e32 v3, s44, v3
	s_wait_alu 0xfffe
	s_delay_alu instid0(SALU_CYCLE_1) | instskip(NEXT) | instid1(TRANS32_DEP_1)
	v_s_rcp_f32 s0, s0
	s_mul_f32 s0, s0, 0x5f7ffffc
	s_wait_alu 0xfffe
	s_delay_alu instid0(SALU_CYCLE_2) | instskip(SKIP_1) | instid1(SALU_CYCLE_2)
	s_mul_f32 s26, s0, 0x2f800000
	s_wait_alu 0xfffe
	s_trunc_f32 s26, s26
	s_wait_alu 0xfffe
	s_delay_alu instid0(SALU_CYCLE_2) | instskip(SKIP_2) | instid1(SALU_CYCLE_1)
	s_fmamk_f32 s0, s26, 0xcf800000, s0
	s_cvt_u32_f32 s49, s26
	s_wait_alu 0xfffe
	s_cvt_u32_f32 s48, s0
	s_wait_alu 0xfffe
	s_delay_alu instid0(SALU_CYCLE_2)
	s_mul_u64 s[52:53], s[50:51], s[48:49]
	s_wait_alu 0xfffe
	s_mul_hi_u32 s55, s48, s53
	s_mul_i32 s54, s48, s53
	s_mul_hi_u32 s26, s48, s52
	s_mul_i32 s41, s49, s52
	s_wait_alu 0xfffe
	s_add_nc_u64 s[54:55], s[26:27], s[54:55]
	s_mul_hi_u32 s0, s49, s52
	s_mul_hi_u32 s45, s49, s53
	s_wait_alu 0xfffe
	s_add_co_u32 s26, s54, s41
	s_add_co_ci_u32 s26, s55, s0
	s_mul_i32 s52, s49, s53
	s_add_co_ci_u32 s53, s45, 0
	s_wait_alu 0xfffe
	s_add_nc_u64 s[52:53], s[26:27], s[52:53]
	s_wait_alu 0xfffe
	s_add_co_u32 s48, s48, s52
	s_cselect_b32 s0, -1, 0
	s_wait_alu 0xfffe
	s_cmp_lg_u32 s0, 0
	s_add_co_ci_u32 s49, s49, s53
	s_wait_alu 0xfffe
	s_mul_u64 s[50:51], s[50:51], s[48:49]
	s_wait_alu 0xfffe
	s_mul_hi_u32 s53, s48, s51
	s_mul_i32 s52, s48, s51
	s_mul_hi_u32 s26, s48, s50
	s_mul_i32 s41, s49, s50
	s_wait_alu 0xfffe
	s_add_nc_u64 s[52:53], s[26:27], s[52:53]
	s_mul_hi_u32 s0, s49, s50
	s_mul_hi_u32 s45, s49, s51
	s_wait_alu 0xfffe
	s_add_co_u32 s26, s52, s41
	s_add_co_ci_u32 s26, s53, s0
	s_mul_i32 s50, s49, s51
	s_add_co_ci_u32 s51, s45, 0
	s_wait_alu 0xfffe
	s_add_nc_u64 s[50:51], s[26:27], s[50:51]
	s_wait_alu 0xfffe
	s_add_co_u32 s0, s48, s50
	s_cselect_b32 s26, -1, 0
	s_wait_alu 0xfffe
	v_mul_hi_u32 v24, v22, s0
	s_cmp_lg_u32 s26, 0
	v_mad_co_u64_u32 v[14:15], null, v23, s0, 0
	s_add_co_ci_u32 s26, s49, s51
	s_wait_alu 0xfffe
	v_mad_co_u64_u32 v[12:13], null, v22, s26, 0
	v_mad_co_u64_u32 v[20:21], null, v23, s26, 0
	s_delay_alu instid0(VALU_DEP_2) | instskip(SKIP_1) | instid1(VALU_DEP_3)
	v_add_co_u32 v12, vcc_lo, v24, v12
	s_wait_alu 0xfffd
	v_add_co_ci_u32_e64 v13, null, 0, v13, vcc_lo
	s_delay_alu instid0(VALU_DEP_2) | instskip(SKIP_1) | instid1(VALU_DEP_2)
	v_add_co_u32 v12, vcc_lo, v12, v14
	s_wait_alu 0xfffd
	v_add_co_ci_u32_e32 v12, vcc_lo, v13, v15, vcc_lo
	s_wait_alu 0xfffd
	v_add_co_ci_u32_e32 v13, vcc_lo, 0, v21, vcc_lo
	s_delay_alu instid0(VALU_DEP_2) | instskip(SKIP_1) | instid1(VALU_DEP_2)
	v_add_co_u32 v14, vcc_lo, v12, v20
	s_wait_alu 0xfffd
	v_add_co_ci_u32_e64 v15, null, 0, v13, vcc_lo
	s_delay_alu instid0(VALU_DEP_2) | instskip(SKIP_1) | instid1(VALU_DEP_3)
	v_mul_lo_u32 v20, s47, v14
	v_mad_co_u64_u32 v[12:13], null, s46, v14, 0
	v_mul_lo_u32 v21, s46, v15
	s_delay_alu instid0(VALU_DEP_2) | instskip(NEXT) | instid1(VALU_DEP_2)
	v_sub_co_u32 v12, vcc_lo, v22, v12
	v_add3_u32 v13, v13, v21, v20
	v_add_co_u32 v21, s0, v14, 2
	s_wait_alu 0xf1ff
	v_add_co_ci_u32_e64 v22, null, 0, v15, s0
	s_delay_alu instid0(VALU_DEP_3) | instskip(SKIP_3) | instid1(VALU_DEP_3)
	v_sub_nc_u32_e32 v20, v23, v13
	v_sub_co_u32 v24, s0, v12, s46
	s_wait_alu 0xfffd
	v_sub_co_ci_u32_e64 v13, null, v23, v13, vcc_lo
	v_subrev_co_ci_u32_e64 v20, null, s47, v20, vcc_lo
	s_delay_alu instid0(VALU_DEP_3) | instskip(SKIP_1) | instid1(VALU_DEP_2)
	v_cmp_le_u32_e32 vcc_lo, s46, v24
	s_wait_alu 0xf1ff
	v_subrev_co_ci_u32_e64 v20, null, 0, v20, s0
	s_wait_alu 0xfffd
	v_cndmask_b32_e64 v23, 0, -1, vcc_lo
	s_delay_alu instid0(VALU_DEP_2)
	v_cmp_le_u32_e32 vcc_lo, s47, v20
	s_wait_alu 0xfffd
	v_cndmask_b32_e64 v24, 0, -1, vcc_lo
	v_cmp_le_u32_e32 vcc_lo, s46, v12
	s_wait_alu 0xfffd
	v_cndmask_b32_e64 v12, 0, -1, vcc_lo
	;; [unrolled: 3-line block ×3, first 2 shown]
	v_cmp_eq_u32_e32 vcc_lo, s47, v20
	s_wait_alu 0xfffd
	v_cndmask_b32_e32 v20, v24, v23, vcc_lo
	v_add_co_u32 v23, vcc_lo, v14, 1
	s_wait_alu 0xfffd
	v_add_co_ci_u32_e64 v24, null, 0, v15, vcc_lo
	v_cmp_eq_u32_e32 vcc_lo, s47, v13
	s_wait_alu 0xfffd
	v_cndmask_b32_e32 v12, v25, v12, vcc_lo
	v_cmp_ne_u32_e32 vcc_lo, 0, v20
	s_wait_alu 0xfffd
	v_cndmask_b32_e32 v13, v24, v22, vcc_lo
	s_delay_alu instid0(VALU_DEP_3) | instskip(SKIP_2) | instid1(VALU_DEP_2)
	v_cmp_ne_u32_e64 s0, 0, v12
	v_cndmask_b32_e32 v12, v23, v21, vcc_lo
	s_wait_alu 0xf1ff
	v_cndmask_b32_e64 v13, v15, v13, s0
	s_delay_alu instid0(VALU_DEP_2) | instskip(NEXT) | instid1(VALU_DEP_2)
	v_cndmask_b32_e64 v12, v14, v12, s0
	v_xor_b32_e32 v13, v13, v3
	s_delay_alu instid0(VALU_DEP_2) | instskip(NEXT) | instid1(VALU_DEP_1)
	v_xor_b32_e32 v12, v12, v3
	v_sub_co_u32 v12, vcc_lo, v12, v3
	s_wait_alu 0xfffd
	s_delay_alu instid0(VALU_DEP_3)
	v_sub_co_ci_u32_e64 v13, null, v13, v3, vcc_lo
.LBB67_15:                              ;   in Loop: Header=BB67_3 Depth=1
	s_wait_alu 0xfffe
	s_and_not1_saveexec_b32 s0, s1
	s_cbranch_execz .LBB67_17
; %bb.16:                               ;   in Loop: Header=BB67_3 Depth=1
	v_cvt_f32_u32_e32 v3, s42
	s_sub_co_i32 s1, 0, s42
	s_delay_alu instid0(VALU_DEP_1) | instskip(NEXT) | instid1(TRANS32_DEP_1)
	v_rcp_iflag_f32_e32 v3, v3
	v_mul_f32_e32 v3, 0x4f7ffffe, v3
	s_delay_alu instid0(VALU_DEP_1) | instskip(SKIP_1) | instid1(VALU_DEP_1)
	v_cvt_u32_f32_e32 v3, v3
	s_wait_alu 0xfffe
	v_mul_lo_u32 v12, s1, v3
	s_delay_alu instid0(VALU_DEP_1) | instskip(NEXT) | instid1(VALU_DEP_1)
	v_mul_hi_u32 v12, v3, v12
	v_add_nc_u32_e32 v3, v3, v12
	s_delay_alu instid0(VALU_DEP_1) | instskip(NEXT) | instid1(VALU_DEP_1)
	v_mul_hi_u32 v3, v10, v3
	v_mul_lo_u32 v12, v3, s42
	v_add_nc_u32_e32 v13, 1, v3
	s_delay_alu instid0(VALU_DEP_2) | instskip(NEXT) | instid1(VALU_DEP_1)
	v_sub_nc_u32_e32 v12, v10, v12
	v_subrev_nc_u32_e32 v14, s42, v12
	v_cmp_le_u32_e32 vcc_lo, s42, v12
	s_wait_alu 0xfffd
	s_delay_alu instid0(VALU_DEP_2) | instskip(NEXT) | instid1(VALU_DEP_1)
	v_dual_cndmask_b32 v12, v12, v14 :: v_dual_cndmask_b32 v3, v3, v13
	v_cmp_le_u32_e32 vcc_lo, s42, v12
	s_delay_alu instid0(VALU_DEP_2) | instskip(SKIP_1) | instid1(VALU_DEP_1)
	v_add_nc_u32_e32 v13, 1, v3
	s_wait_alu 0xfffd
	v_dual_cndmask_b32 v12, v3, v13 :: v_dual_mov_b32 v13, v2
.LBB67_17:                              ;   in Loop: Header=BB67_3 Depth=1
	s_wait_alu 0xfffe
	s_or_b32 exec_lo, exec_lo, s0
	s_delay_alu instid0(VALU_DEP_1) | instskip(NEXT) | instid1(VALU_DEP_2)
	v_mul_lo_u32 v3, v13, s42
	v_mul_lo_u32 v20, v12, s43
	s_load_b64 s[0:1], s[34:35], 0xd0
	v_mad_co_u64_u32 v[14:15], null, v12, s42, 0
	s_load_b64 s[42:43], s[36:37], 0xd0
	v_add3_u32 v3, v15, v20, v3
	v_sub_co_u32 v10, vcc_lo, v10, v14
	s_wait_alu 0xfffd
	s_delay_alu instid0(VALU_DEP_2) | instskip(SKIP_1) | instid1(VALU_DEP_1)
	v_sub_co_ci_u32_e64 v3, null, v11, v3, vcc_lo
	s_wait_kmcnt 0x0
	v_mul_lo_u32 v11, s0, v3
	v_mul_lo_u32 v14, s1, v10
	v_mad_co_u64_u32 v[8:9], null, s0, v10, v[8:9]
	v_mul_lo_u32 v3, s42, v3
	v_mul_lo_u32 v15, s43, v10
	v_mad_co_u64_u32 v[6:7], null, s42, v10, v[6:7]
	s_mov_b64 s[0:1], s[30:31]
	v_add3_u32 v9, v14, v9, v11
	v_dual_mov_b32 v10, v12 :: v_dual_mov_b32 v11, v13
	v_add3_u32 v7, v15, v7, v3
	s_and_not1_b32 vcc_lo, exec_lo, s61
	s_wait_alu 0xfffe
	s_cbranch_vccz .LBB67_19
	s_branch .LBB67_29
.LBB67_18:                              ;   in Loop: Header=BB67_3 Depth=1
	s_mov_b64 s[0:1], s[28:29]
	s_and_not1_b32 vcc_lo, exec_lo, s61
	s_wait_alu 0xfffe
	s_cbranch_vccnz .LBB67_29
.LBB67_19:                              ;   in Loop: Header=BB67_3 Depth=1
	s_lshl_b64 s[44:45], s[0:1], 3
	s_add_nc_u64 s[46:47], s[0:1], 1
	s_wait_alu 0xfffe
	s_add_nc_u64 s[42:43], s[38:39], s[44:45]
	s_add_nc_u64 s[44:45], s[20:21], s[44:45]
	s_branch .LBB67_21
.LBB67_20:                              ;   in Loop: Header=BB67_21 Depth=2
	s_wait_alu 0xfffe
	s_or_b32 exec_lo, exec_lo, s0
	v_mul_lo_u32 v3, v13, s48
	v_mul_lo_u32 v24, v12, s49
	v_mad_co_u64_u32 v[20:21], null, v12, s48, 0
	s_load_b64 s[0:1], s[44:45], 0xc8
	s_load_b64 s[48:49], s[42:43], 0x0
	v_mul_lo_u32 v25, v15, s54
	v_mul_lo_u32 v26, v14, s55
	v_mad_co_u64_u32 v[22:23], null, v14, s54, 0
	v_add3_u32 v3, v21, v24, v3
	v_sub_co_u32 v10, vcc_lo, v10, v20
	s_add_nc_u64 s[46:47], s[46:47], -2
	s_add_nc_u64 s[42:43], s[42:43], -16
	s_wait_alu 0xfffd
	v_sub_co_ci_u32_e64 v3, null, v11, v3, vcc_lo
	v_mul_lo_u32 v11, s53, v10
	v_mad_co_u64_u32 v[8:9], null, s52, v10, v[8:9]
	s_delay_alu instid0(VALU_DEP_3)
	v_mul_lo_u32 v20, s52, v3
	v_mul_lo_u32 v21, s51, v10
	v_mad_co_u64_u32 v[6:7], null, s50, v10, v[6:7]
	v_mul_lo_u32 v3, s50, v3
	v_add3_u32 v10, v23, v26, v25
	s_wait_alu 0xfffe
	s_cmp_eq_u64 s[46:47], 0
	s_add_nc_u64 s[44:45], s[44:45], -16
	v_add3_u32 v9, v11, v9, v20
	v_sub_co_u32 v11, vcc_lo, v12, v22
	s_wait_alu 0xfffd
	v_sub_co_ci_u32_e64 v10, null, v13, v10, vcc_lo
	v_add3_u32 v7, v21, v7, v3
	s_wait_kmcnt 0x0
	v_mad_co_u64_u32 v[8:9], null, s0, v11, v[8:9]
	s_delay_alu instid0(VALU_DEP_3) | instskip(SKIP_4) | instid1(VALU_DEP_4)
	v_mul_lo_u32 v3, s0, v10
	v_mul_lo_u32 v12, s1, v11
	;; [unrolled: 1-line block ×4, first 2 shown]
	v_mad_co_u64_u32 v[6:7], null, s48, v11, v[6:7]
	v_add3_u32 v9, v12, v9, v3
	s_delay_alu instid0(VALU_DEP_2)
	v_add3_u32 v7, v13, v7, v10
	v_dual_mov_b32 v10, v14 :: v_dual_mov_b32 v11, v15
	s_cbranch_scc1 .LBB67_29
.LBB67_21:                              ;   Parent Loop BB67_3 Depth=1
                                        ; =>  This Inner Loop Header: Depth=2
	s_load_b64 s[48:49], s[44:45], 0x8
                                        ; implicit-def: $vgpr12_vgpr13
	s_mov_b32 s0, exec_lo
	s_wait_kmcnt 0x0
	v_or_b32_e32 v3, s49, v11
	s_delay_alu instid0(VALU_DEP_1)
	v_cmpx_ne_u64_e32 0, v[2:3]
	s_wait_alu 0xfffe
	s_xor_b32 s1, exec_lo, s0
	s_cbranch_execz .LBB67_23
; %bb.22:                               ;   in Loop: Header=BB67_21 Depth=2
	s_ashr_i32 s50, s49, 31
	v_ashrrev_i32_e32 v3, 31, v11
	s_wait_alu 0xfffe
	s_mov_b32 s51, s50
	s_wait_alu 0xfffe
	s_add_nc_u64 s[52:53], s[48:49], s[50:51]
	v_add_co_u32 v12, vcc_lo, v10, v3
	s_wait_alu 0xfffe
	s_xor_b64 s[52:53], s[52:53], s[50:51]
	s_wait_alu 0xfffd
	v_add_co_ci_u32_e64 v13, null, v11, v3, vcc_lo
	s_wait_alu 0xfffe
	s_cvt_f32_u32 s0, s52
	s_cvt_f32_u32 s26, s53
	s_sub_nc_u64 s[56:57], 0, s[52:53]
	v_xor_b32_e32 v22, v12, v3
	v_xor_b32_e32 v23, v13, v3
	s_wait_alu 0xfffe
	s_fmamk_f32 s0, s26, 0x4f800000, s0
	v_xor_b32_e32 v3, s50, v3
	s_wait_alu 0xfffe
	s_delay_alu instid0(SALU_CYCLE_1) | instskip(NEXT) | instid1(TRANS32_DEP_1)
	v_s_rcp_f32 s0, s0
	s_mul_f32 s0, s0, 0x5f7ffffc
	s_wait_alu 0xfffe
	s_delay_alu instid0(SALU_CYCLE_2) | instskip(SKIP_1) | instid1(SALU_CYCLE_2)
	s_mul_f32 s26, s0, 0x2f800000
	s_wait_alu 0xfffe
	s_trunc_f32 s26, s26
	s_wait_alu 0xfffe
	s_delay_alu instid0(SALU_CYCLE_2) | instskip(SKIP_2) | instid1(SALU_CYCLE_1)
	s_fmamk_f32 s0, s26, 0xcf800000, s0
	s_cvt_u32_f32 s55, s26
	s_wait_alu 0xfffe
	s_cvt_u32_f32 s54, s0
	s_wait_alu 0xfffe
	s_delay_alu instid0(SALU_CYCLE_2)
	s_mul_u64 s[58:59], s[56:57], s[54:55]
	s_wait_alu 0xfffe
	s_mul_hi_u32 s65, s54, s59
	s_mul_i32 s64, s54, s59
	s_mul_hi_u32 s26, s54, s58
	s_mul_i32 s41, s55, s58
	s_wait_alu 0xfffe
	s_add_nc_u64 s[64:65], s[26:27], s[64:65]
	s_mul_hi_u32 s0, s55, s58
	s_mul_hi_u32 s51, s55, s59
	s_add_co_u32 s26, s64, s41
	s_wait_alu 0xfffe
	s_add_co_ci_u32 s26, s65, s0
	s_mul_i32 s58, s55, s59
	s_add_co_ci_u32 s59, s51, 0
	s_wait_alu 0xfffe
	s_add_nc_u64 s[58:59], s[26:27], s[58:59]
	s_wait_alu 0xfffe
	s_add_co_u32 s54, s54, s58
	s_cselect_b32 s0, -1, 0
	s_wait_alu 0xfffe
	s_cmp_lg_u32 s0, 0
	s_add_co_ci_u32 s55, s55, s59
	s_wait_alu 0xfffe
	s_mul_u64 s[56:57], s[56:57], s[54:55]
	s_wait_alu 0xfffe
	s_mul_hi_u32 s59, s54, s57
	s_mul_i32 s58, s54, s57
	s_mul_hi_u32 s26, s54, s56
	s_mul_i32 s41, s55, s56
	s_wait_alu 0xfffe
	s_add_nc_u64 s[58:59], s[26:27], s[58:59]
	s_mul_hi_u32 s0, s55, s56
	s_mul_hi_u32 s51, s55, s57
	s_wait_alu 0xfffe
	s_add_co_u32 s26, s58, s41
	s_add_co_ci_u32 s26, s59, s0
	s_mul_i32 s56, s55, s57
	s_add_co_ci_u32 s57, s51, 0
	s_wait_alu 0xfffe
	s_add_nc_u64 s[56:57], s[26:27], s[56:57]
	s_wait_alu 0xfffe
	s_add_co_u32 s0, s54, s56
	s_cselect_b32 s26, -1, 0
	s_wait_alu 0xfffe
	v_mul_hi_u32 v24, v22, s0
	s_cmp_lg_u32 s26, 0
	v_mad_co_u64_u32 v[14:15], null, v23, s0, 0
	s_add_co_ci_u32 s26, s55, s57
	s_wait_alu 0xfffe
	v_mad_co_u64_u32 v[12:13], null, v22, s26, 0
	v_mad_co_u64_u32 v[20:21], null, v23, s26, 0
	s_delay_alu instid0(VALU_DEP_2) | instskip(SKIP_1) | instid1(VALU_DEP_3)
	v_add_co_u32 v12, vcc_lo, v24, v12
	s_wait_alu 0xfffd
	v_add_co_ci_u32_e64 v13, null, 0, v13, vcc_lo
	s_delay_alu instid0(VALU_DEP_2) | instskip(SKIP_1) | instid1(VALU_DEP_2)
	v_add_co_u32 v12, vcc_lo, v12, v14
	s_wait_alu 0xfffd
	v_add_co_ci_u32_e32 v12, vcc_lo, v13, v15, vcc_lo
	s_wait_alu 0xfffd
	v_add_co_ci_u32_e32 v13, vcc_lo, 0, v21, vcc_lo
	s_delay_alu instid0(VALU_DEP_2) | instskip(SKIP_1) | instid1(VALU_DEP_2)
	v_add_co_u32 v14, vcc_lo, v12, v20
	s_wait_alu 0xfffd
	v_add_co_ci_u32_e64 v15, null, 0, v13, vcc_lo
	s_delay_alu instid0(VALU_DEP_2) | instskip(SKIP_1) | instid1(VALU_DEP_3)
	v_mul_lo_u32 v20, s53, v14
	v_mad_co_u64_u32 v[12:13], null, s52, v14, 0
	v_mul_lo_u32 v21, s52, v15
	s_delay_alu instid0(VALU_DEP_2) | instskip(NEXT) | instid1(VALU_DEP_2)
	v_sub_co_u32 v12, vcc_lo, v22, v12
	v_add3_u32 v13, v13, v21, v20
	v_add_co_u32 v21, s0, v14, 2
	s_wait_alu 0xf1ff
	v_add_co_ci_u32_e64 v22, null, 0, v15, s0
	s_delay_alu instid0(VALU_DEP_3) | instskip(SKIP_3) | instid1(VALU_DEP_3)
	v_sub_nc_u32_e32 v20, v23, v13
	v_sub_co_u32 v24, s0, v12, s52
	s_wait_alu 0xfffd
	v_sub_co_ci_u32_e64 v13, null, v23, v13, vcc_lo
	v_subrev_co_ci_u32_e64 v20, null, s53, v20, vcc_lo
	s_delay_alu instid0(VALU_DEP_3) | instskip(SKIP_1) | instid1(VALU_DEP_2)
	v_cmp_le_u32_e32 vcc_lo, s52, v24
	s_wait_alu 0xf1ff
	v_subrev_co_ci_u32_e64 v20, null, 0, v20, s0
	s_wait_alu 0xfffd
	v_cndmask_b32_e64 v23, 0, -1, vcc_lo
	s_delay_alu instid0(VALU_DEP_2)
	v_cmp_le_u32_e32 vcc_lo, s53, v20
	s_wait_alu 0xfffd
	v_cndmask_b32_e64 v24, 0, -1, vcc_lo
	v_cmp_le_u32_e32 vcc_lo, s52, v12
	s_wait_alu 0xfffd
	v_cndmask_b32_e64 v12, 0, -1, vcc_lo
	;; [unrolled: 3-line block ×3, first 2 shown]
	v_cmp_eq_u32_e32 vcc_lo, s53, v20
	s_wait_alu 0xfffd
	v_cndmask_b32_e32 v20, v24, v23, vcc_lo
	v_add_co_u32 v23, vcc_lo, v14, 1
	s_wait_alu 0xfffd
	v_add_co_ci_u32_e64 v24, null, 0, v15, vcc_lo
	v_cmp_eq_u32_e32 vcc_lo, s53, v13
	s_wait_alu 0xfffd
	v_cndmask_b32_e32 v12, v25, v12, vcc_lo
	v_cmp_ne_u32_e32 vcc_lo, 0, v20
	s_wait_alu 0xfffd
	v_cndmask_b32_e32 v13, v24, v22, vcc_lo
	s_delay_alu instid0(VALU_DEP_3) | instskip(SKIP_2) | instid1(VALU_DEP_2)
	v_cmp_ne_u32_e64 s0, 0, v12
	v_cndmask_b32_e32 v12, v23, v21, vcc_lo
	s_wait_alu 0xf1ff
	v_cndmask_b32_e64 v13, v15, v13, s0
	s_delay_alu instid0(VALU_DEP_2) | instskip(NEXT) | instid1(VALU_DEP_2)
	v_cndmask_b32_e64 v12, v14, v12, s0
	v_xor_b32_e32 v13, v13, v3
	s_delay_alu instid0(VALU_DEP_2) | instskip(NEXT) | instid1(VALU_DEP_1)
	v_xor_b32_e32 v12, v12, v3
	v_sub_co_u32 v12, vcc_lo, v12, v3
	s_wait_alu 0xfffd
	s_delay_alu instid0(VALU_DEP_3)
	v_sub_co_ci_u32_e64 v13, null, v13, v3, vcc_lo
.LBB67_23:                              ;   in Loop: Header=BB67_21 Depth=2
	s_wait_alu 0xfffe
	s_and_not1_saveexec_b32 s0, s1
	s_cbranch_execz .LBB67_25
; %bb.24:                               ;   in Loop: Header=BB67_21 Depth=2
	v_cvt_f32_u32_e32 v3, s48
	s_sub_co_i32 s1, 0, s48
	s_delay_alu instid0(VALU_DEP_1) | instskip(NEXT) | instid1(TRANS32_DEP_1)
	v_rcp_iflag_f32_e32 v3, v3
	v_mul_f32_e32 v3, 0x4f7ffffe, v3
	s_delay_alu instid0(VALU_DEP_1) | instskip(SKIP_1) | instid1(VALU_DEP_1)
	v_cvt_u32_f32_e32 v3, v3
	s_wait_alu 0xfffe
	v_mul_lo_u32 v12, s1, v3
	s_delay_alu instid0(VALU_DEP_1) | instskip(NEXT) | instid1(VALU_DEP_1)
	v_mul_hi_u32 v12, v3, v12
	v_add_nc_u32_e32 v3, v3, v12
	s_delay_alu instid0(VALU_DEP_1) | instskip(NEXT) | instid1(VALU_DEP_1)
	v_mul_hi_u32 v3, v10, v3
	v_mul_lo_u32 v12, v3, s48
	v_add_nc_u32_e32 v13, 1, v3
	s_delay_alu instid0(VALU_DEP_2) | instskip(NEXT) | instid1(VALU_DEP_1)
	v_sub_nc_u32_e32 v12, v10, v12
	v_subrev_nc_u32_e32 v14, s48, v12
	v_cmp_le_u32_e32 vcc_lo, s48, v12
	s_wait_alu 0xfffd
	s_delay_alu instid0(VALU_DEP_2) | instskip(NEXT) | instid1(VALU_DEP_1)
	v_dual_cndmask_b32 v12, v12, v14 :: v_dual_cndmask_b32 v3, v3, v13
	v_cmp_le_u32_e32 vcc_lo, s48, v12
	s_delay_alu instid0(VALU_DEP_2) | instskip(SKIP_1) | instid1(VALU_DEP_1)
	v_add_nc_u32_e32 v13, 1, v3
	s_wait_alu 0xfffd
	v_dual_cndmask_b32 v12, v3, v13 :: v_dual_mov_b32 v13, v2
.LBB67_25:                              ;   in Loop: Header=BB67_21 Depth=2
	s_wait_alu 0xfffe
	s_or_b32 exec_lo, exec_lo, s0
	s_clause 0x1
	s_load_b64 s[54:55], s[44:45], 0x0
	s_load_b64 s[52:53], s[44:45], 0xd0
	;; [unrolled: 1-line block ×3, first 2 shown]
                                        ; implicit-def: $vgpr14_vgpr15
	s_mov_b32 s0, exec_lo
	s_wait_kmcnt 0x0
	v_or_b32_e32 v3, s55, v13
	s_delay_alu instid0(VALU_DEP_1)
	v_cmpx_ne_u64_e32 0, v[2:3]
	s_wait_alu 0xfffe
	s_xor_b32 s1, exec_lo, s0
	s_cbranch_execz .LBB67_27
; %bb.26:                               ;   in Loop: Header=BB67_21 Depth=2
	s_ashr_i32 s56, s55, 31
	v_ashrrev_i32_e32 v3, 31, v13
	s_wait_alu 0xfffe
	s_mov_b32 s57, s56
	s_wait_alu 0xfffe
	s_add_nc_u64 s[58:59], s[54:55], s[56:57]
	v_add_co_u32 v14, vcc_lo, v12, v3
	s_wait_alu 0xfffe
	s_xor_b64 s[58:59], s[58:59], s[56:57]
	s_wait_alu 0xfffd
	v_add_co_ci_u32_e64 v15, null, v13, v3, vcc_lo
	s_wait_alu 0xfffe
	s_cvt_f32_u32 s0, s58
	s_cvt_f32_u32 s26, s59
	s_sub_nc_u64 s[66:67], 0, s[58:59]
	v_xor_b32_e32 v24, v14, v3
	v_xor_b32_e32 v25, v15, v3
	s_wait_alu 0xfffe
	s_fmamk_f32 s0, s26, 0x4f800000, s0
	v_xor_b32_e32 v3, s56, v3
	s_wait_alu 0xfffe
	s_delay_alu instid0(SALU_CYCLE_1) | instskip(NEXT) | instid1(TRANS32_DEP_1)
	v_s_rcp_f32 s0, s0
	s_mul_f32 s0, s0, 0x5f7ffffc
	s_wait_alu 0xfffe
	s_delay_alu instid0(SALU_CYCLE_2) | instskip(SKIP_1) | instid1(SALU_CYCLE_2)
	s_mul_f32 s26, s0, 0x2f800000
	s_wait_alu 0xfffe
	s_trunc_f32 s26, s26
	s_wait_alu 0xfffe
	s_delay_alu instid0(SALU_CYCLE_2) | instskip(SKIP_2) | instid1(SALU_CYCLE_1)
	s_fmamk_f32 s0, s26, 0xcf800000, s0
	s_cvt_u32_f32 s65, s26
	s_wait_alu 0xfffe
	s_cvt_u32_f32 s64, s0
	s_delay_alu instid0(SALU_CYCLE_3) | instskip(NEXT) | instid1(SALU_CYCLE_1)
	s_mul_u64 s[68:69], s[66:67], s[64:65]
	s_mul_hi_u32 s71, s64, s69
	s_mul_i32 s70, s64, s69
	s_mul_hi_u32 s26, s64, s68
	s_mul_i32 s41, s65, s68
	s_wait_alu 0xfffe
	s_add_nc_u64 s[70:71], s[26:27], s[70:71]
	s_mul_hi_u32 s0, s65, s68
	s_mul_hi_u32 s57, s65, s69
	s_add_co_u32 s26, s70, s41
	s_wait_alu 0xfffe
	s_add_co_ci_u32 s26, s71, s0
	s_mul_i32 s68, s65, s69
	s_add_co_ci_u32 s69, s57, 0
	s_wait_alu 0xfffe
	s_add_nc_u64 s[68:69], s[26:27], s[68:69]
	s_delay_alu instid0(SALU_CYCLE_1) | instskip(SKIP_4) | instid1(SALU_CYCLE_1)
	s_add_co_u32 s64, s64, s68
	s_cselect_b32 s0, -1, 0
	s_wait_alu 0xfffe
	s_cmp_lg_u32 s0, 0
	s_add_co_ci_u32 s65, s65, s69
	s_mul_u64 s[66:67], s[66:67], s[64:65]
	s_delay_alu instid0(SALU_CYCLE_1)
	s_mul_hi_u32 s69, s64, s67
	s_mul_i32 s68, s64, s67
	s_mul_hi_u32 s26, s64, s66
	s_mul_i32 s41, s65, s66
	s_wait_alu 0xfffe
	s_add_nc_u64 s[68:69], s[26:27], s[68:69]
	s_mul_hi_u32 s0, s65, s66
	s_mul_hi_u32 s57, s65, s67
	s_add_co_u32 s26, s68, s41
	s_wait_alu 0xfffe
	s_add_co_ci_u32 s26, s69, s0
	s_mul_i32 s66, s65, s67
	s_add_co_ci_u32 s67, s57, 0
	s_wait_alu 0xfffe
	s_add_nc_u64 s[66:67], s[26:27], s[66:67]
	s_delay_alu instid0(SALU_CYCLE_1)
	s_add_co_u32 s0, s64, s66
	s_cselect_b32 s26, -1, 0
	s_wait_alu 0xfffe
	v_mul_hi_u32 v26, v24, s0
	s_cmp_lg_u32 s26, 0
	v_mad_co_u64_u32 v[20:21], null, v25, s0, 0
	s_add_co_ci_u32 s26, s65, s67
	s_wait_alu 0xfffe
	v_mad_co_u64_u32 v[14:15], null, v24, s26, 0
	v_mad_co_u64_u32 v[22:23], null, v25, s26, 0
	s_delay_alu instid0(VALU_DEP_2) | instskip(SKIP_1) | instid1(VALU_DEP_3)
	v_add_co_u32 v14, vcc_lo, v26, v14
	s_wait_alu 0xfffd
	v_add_co_ci_u32_e64 v15, null, 0, v15, vcc_lo
	s_delay_alu instid0(VALU_DEP_2) | instskip(SKIP_1) | instid1(VALU_DEP_2)
	v_add_co_u32 v14, vcc_lo, v14, v20
	s_wait_alu 0xfffd
	v_add_co_ci_u32_e32 v14, vcc_lo, v15, v21, vcc_lo
	s_wait_alu 0xfffd
	v_add_co_ci_u32_e32 v15, vcc_lo, 0, v23, vcc_lo
	s_delay_alu instid0(VALU_DEP_2) | instskip(SKIP_1) | instid1(VALU_DEP_2)
	v_add_co_u32 v20, vcc_lo, v14, v22
	s_wait_alu 0xfffd
	v_add_co_ci_u32_e64 v21, null, 0, v15, vcc_lo
	s_delay_alu instid0(VALU_DEP_2) | instskip(SKIP_1) | instid1(VALU_DEP_3)
	v_mul_lo_u32 v22, s59, v20
	v_mad_co_u64_u32 v[14:15], null, s58, v20, 0
	v_mul_lo_u32 v23, s58, v21
	s_delay_alu instid0(VALU_DEP_2) | instskip(NEXT) | instid1(VALU_DEP_2)
	v_sub_co_u32 v14, vcc_lo, v24, v14
	v_add3_u32 v15, v15, v23, v22
	v_add_co_u32 v23, s0, v20, 2
	s_wait_alu 0xf1ff
	v_add_co_ci_u32_e64 v24, null, 0, v21, s0
	s_delay_alu instid0(VALU_DEP_3) | instskip(SKIP_3) | instid1(VALU_DEP_3)
	v_sub_nc_u32_e32 v22, v25, v15
	v_sub_co_u32 v26, s0, v14, s58
	s_wait_alu 0xfffd
	v_sub_co_ci_u32_e64 v15, null, v25, v15, vcc_lo
	v_subrev_co_ci_u32_e64 v22, null, s59, v22, vcc_lo
	s_delay_alu instid0(VALU_DEP_3) | instskip(SKIP_1) | instid1(VALU_DEP_2)
	v_cmp_le_u32_e32 vcc_lo, s58, v26
	s_wait_alu 0xf1ff
	v_subrev_co_ci_u32_e64 v22, null, 0, v22, s0
	s_wait_alu 0xfffd
	v_cndmask_b32_e64 v25, 0, -1, vcc_lo
	s_delay_alu instid0(VALU_DEP_2)
	v_cmp_le_u32_e32 vcc_lo, s59, v22
	s_wait_alu 0xfffd
	v_cndmask_b32_e64 v26, 0, -1, vcc_lo
	v_cmp_le_u32_e32 vcc_lo, s58, v14
	s_wait_alu 0xfffd
	v_cndmask_b32_e64 v14, 0, -1, vcc_lo
	;; [unrolled: 3-line block ×3, first 2 shown]
	v_cmp_eq_u32_e32 vcc_lo, s59, v22
	s_wait_alu 0xfffd
	v_cndmask_b32_e32 v22, v26, v25, vcc_lo
	v_add_co_u32 v25, vcc_lo, v20, 1
	s_wait_alu 0xfffd
	v_add_co_ci_u32_e64 v26, null, 0, v21, vcc_lo
	v_cmp_eq_u32_e32 vcc_lo, s59, v15
	s_wait_alu 0xfffd
	v_cndmask_b32_e32 v14, v27, v14, vcc_lo
	v_cmp_ne_u32_e32 vcc_lo, 0, v22
	s_wait_alu 0xfffd
	v_cndmask_b32_e32 v15, v26, v24, vcc_lo
	s_delay_alu instid0(VALU_DEP_3) | instskip(SKIP_2) | instid1(VALU_DEP_2)
	v_cmp_ne_u32_e64 s0, 0, v14
	v_cndmask_b32_e32 v14, v25, v23, vcc_lo
	s_wait_alu 0xf1ff
	v_cndmask_b32_e64 v15, v21, v15, s0
	s_delay_alu instid0(VALU_DEP_2) | instskip(NEXT) | instid1(VALU_DEP_2)
	v_cndmask_b32_e64 v14, v20, v14, s0
	v_xor_b32_e32 v15, v15, v3
	s_delay_alu instid0(VALU_DEP_2) | instskip(NEXT) | instid1(VALU_DEP_1)
	v_xor_b32_e32 v14, v14, v3
	v_sub_co_u32 v14, vcc_lo, v14, v3
	s_wait_alu 0xfffd
	s_delay_alu instid0(VALU_DEP_3)
	v_sub_co_ci_u32_e64 v15, null, v15, v3, vcc_lo
.LBB67_27:                              ;   in Loop: Header=BB67_21 Depth=2
	s_wait_alu 0xfffe
	s_and_not1_saveexec_b32 s0, s1
	s_cbranch_execz .LBB67_20
; %bb.28:                               ;   in Loop: Header=BB67_21 Depth=2
	v_cvt_f32_u32_e32 v3, s54
	s_sub_co_i32 s1, 0, s54
	s_delay_alu instid0(VALU_DEP_1) | instskip(NEXT) | instid1(TRANS32_DEP_1)
	v_rcp_iflag_f32_e32 v3, v3
	v_mul_f32_e32 v3, 0x4f7ffffe, v3
	s_delay_alu instid0(VALU_DEP_1) | instskip(SKIP_1) | instid1(VALU_DEP_1)
	v_cvt_u32_f32_e32 v3, v3
	s_wait_alu 0xfffe
	v_mul_lo_u32 v14, s1, v3
	s_delay_alu instid0(VALU_DEP_1) | instskip(NEXT) | instid1(VALU_DEP_1)
	v_mul_hi_u32 v14, v3, v14
	v_add_nc_u32_e32 v3, v3, v14
	s_delay_alu instid0(VALU_DEP_1) | instskip(NEXT) | instid1(VALU_DEP_1)
	v_mul_hi_u32 v3, v12, v3
	v_mul_lo_u32 v14, v3, s54
	v_add_nc_u32_e32 v15, 1, v3
	s_delay_alu instid0(VALU_DEP_2) | instskip(NEXT) | instid1(VALU_DEP_1)
	v_sub_nc_u32_e32 v14, v12, v14
	v_subrev_nc_u32_e32 v20, s54, v14
	v_cmp_le_u32_e32 vcc_lo, s54, v14
	s_wait_alu 0xfffd
	s_delay_alu instid0(VALU_DEP_2) | instskip(NEXT) | instid1(VALU_DEP_1)
	v_dual_cndmask_b32 v14, v14, v20 :: v_dual_cndmask_b32 v3, v3, v15
	v_cmp_le_u32_e32 vcc_lo, s54, v14
	s_delay_alu instid0(VALU_DEP_2) | instskip(SKIP_1) | instid1(VALU_DEP_1)
	v_add_nc_u32_e32 v15, 1, v3
	s_wait_alu 0xfffd
	v_dual_cndmask_b32 v14, v3, v15 :: v_dual_mov_b32 v15, v2
	s_branch .LBB67_20
.LBB67_29:                              ;   in Loop: Header=BB67_3 Depth=1
	v_sub_co_u32 v10, vcc_lo, v4, v16
	s_wait_alu 0xfffd
	v_sub_co_ci_u32_e64 v11, null, v5, v17, vcc_lo
	v_mov_b32_e32 v12, 0
	s_delay_alu instid0(VALU_DEP_3)
	v_add_co_u32 v14, vcc_lo, v10, 2
	v_dual_mov_b32 v13, 0 :: v_dual_mov_b32 v16, 0
	s_wait_alu 0xfffd
	v_add_co_ci_u32_e64 v15, null, 0, v11, vcc_lo
	v_mov_b32_e32 v17, 0
	s_mov_b32 s1, exec_lo
	s_delay_alu instid0(VALU_DEP_2)
	v_cmpx_le_i64_e64 s[4:5], v[14:15]
	s_cbranch_execz .LBB67_35
; %bb.30:                               ;   in Loop: Header=BB67_3 Depth=1
	v_mov_b32_e32 v12, 0
	v_dual_mov_b32 v13, 0 :: v_dual_mov_b32 v14, 0
	v_mov_b32_e32 v15, 0
	s_mov_b32 s0, exec_lo
	v_cmpx_gt_i64_e64 s[10:11], v[4:5]
	s_cbranch_execz .LBB67_34
; %bb.31:                               ;   in Loop: Header=BB67_3 Depth=1
	v_lshlrev_b64_e32 v[8:9], 3, v[8:9]
	s_delay_alu instid0(VALU_DEP_1) | instskip(SKIP_1) | instid1(VALU_DEP_2)
	v_add_co_u32 v8, vcc_lo, s2, v8
	s_wait_alu 0xfffd
	v_add_co_ci_u32_e64 v9, null, s3, v9, vcc_lo
	v_add_co_u32 v14, vcc_lo, v4, 1
	s_wait_alu 0xfffd
	v_add_co_ci_u32_e64 v15, null, 0, v5, vcc_lo
	global_load_b64 v[12:13], v[8:9], off
	v_cmp_gt_i64_e32 vcc_lo, s[10:11], v[14:15]
	v_mov_b32_e32 v14, 0
	v_mov_b32_e32 v15, 0
	s_and_saveexec_b32 s26, vcc_lo
	s_wait_alu 0xfffe
	s_xor_b32 s26, exec_lo, s26
	s_cbranch_execz .LBB67_33
; %bb.32:                               ;   in Loop: Header=BB67_3 Depth=1
	s_lshl_b64 s[42:43], s[14:15], 3
	s_wait_alu 0xfffe
	v_add_co_u32 v8, vcc_lo, v8, s42
	s_wait_alu 0xfffd
	v_add_co_ci_u32_e64 v9, null, s43, v9, vcc_lo
	global_load_b64 v[14:15], v[8:9], off
.LBB67_33:                              ;   in Loop: Header=BB67_3 Depth=1
	s_wait_alu 0xfffe
	s_or_b32 exec_lo, exec_lo, s26
.LBB67_34:                              ;   in Loop: Header=BB67_3 Depth=1
	s_wait_alu 0xfffe
	s_or_b32 exec_lo, exec_lo, s0
	v_add_co_u32 v8, vcc_lo, v10, 1
	s_wait_alu 0xfffd
	v_add_co_ci_u32_e64 v9, null, 0, v11, vcc_lo
	v_cmp_le_i64_e32 vcc_lo, s[4:5], v[10:11]
	s_delay_alu instid0(VALU_DEP_2) | instskip(SKIP_4) | instid1(VALU_DEP_2)
	v_cmp_le_i64_e64 s0, s[4:5], v[8:9]
	s_wait_loadcnt 0x0
	s_wait_alu 0xfffd
	v_dual_cndmask_b32 v17, 0, v13 :: v_dual_cndmask_b32 v16, 0, v12
	s_wait_alu 0xf1ff
	v_cndmask_b32_e64 v13, 0, v15, s0
	v_cndmask_b32_e64 v12, 0, v14, s0
.LBB67_35:                              ;   in Loop: Header=BB67_3 Depth=1
	s_wait_alu 0xfffe
	s_or_b32 exec_lo, exec_lo, s1
	s_delay_alu instid0(SALU_CYCLE_1)
	s_mov_b32 s0, exec_lo
	v_cmpx_gt_i64_e64 s[10:11], v[4:5]
	s_cbranch_execz .LBB67_2
; %bb.36:                               ;   in Loop: Header=BB67_3 Depth=1
	v_lshlrev_b64_e32 v[6:7], 3, v[6:7]
	v_add_co_u32 v8, vcc_lo, v4, 1
	s_wait_alu 0xfffd
	v_add_co_ci_u32_e64 v9, null, 0, v5, vcc_lo
	s_mov_b32 s1, exec_lo
	v_add_co_u32 v3, vcc_lo, s24, v6
	s_wait_alu 0xfffd
	v_add_co_ci_u32_e64 v4, null, s25, v7, vcc_lo
	global_store_b64 v[3:4], v[16:17], off
	v_cmpx_gt_i64_e64 s[10:11], v[8:9]
	s_wait_alu 0xfffe
	s_xor_b32 s1, exec_lo, s1
	s_cbranch_execz .LBB67_2
; %bb.37:                               ;   in Loop: Header=BB67_3 Depth=1
	s_lshl_b64 s[42:43], s[18:19], 3
	s_wait_alu 0xfffe
	v_add_co_u32 v3, vcc_lo, v3, s42
	s_wait_alu 0xfffd
	v_add_co_ci_u32_e64 v4, null, s43, v4, vcc_lo
	global_store_b64 v[3:4], v[12:13], off
	s_branch .LBB67_2
.LBB67_38:
	s_endpgm
	.section	.rodata,"a",@progbits
	.p2align	6, 0x0
	.amdhsa_kernel _ZN2at6native16triu_tril_kernelIllLb1ELi2ELb0EEEvNS_4cuda6detail10TensorInfoIT_T0_EENS4_IKS5_S6_EEllS6_
		.amdhsa_group_segment_fixed_size 0
		.amdhsa_private_segment_fixed_size 0
		.amdhsa_kernarg_size 1112
		.amdhsa_user_sgpr_count 2
		.amdhsa_user_sgpr_dispatch_ptr 0
		.amdhsa_user_sgpr_queue_ptr 0
		.amdhsa_user_sgpr_kernarg_segment_ptr 1
		.amdhsa_user_sgpr_dispatch_id 0
		.amdhsa_user_sgpr_private_segment_size 0
		.amdhsa_wavefront_size32 1
		.amdhsa_uses_dynamic_stack 0
		.amdhsa_enable_private_segment 0
		.amdhsa_system_sgpr_workgroup_id_x 1
		.amdhsa_system_sgpr_workgroup_id_y 0
		.amdhsa_system_sgpr_workgroup_id_z 0
		.amdhsa_system_sgpr_workgroup_info 0
		.amdhsa_system_vgpr_workitem_id 0
		.amdhsa_next_free_vgpr 28
		.amdhsa_next_free_sgpr 72
		.amdhsa_reserve_vcc 1
		.amdhsa_float_round_mode_32 0
		.amdhsa_float_round_mode_16_64 0
		.amdhsa_float_denorm_mode_32 3
		.amdhsa_float_denorm_mode_16_64 3
		.amdhsa_fp16_overflow 0
		.amdhsa_workgroup_processor_mode 1
		.amdhsa_memory_ordered 1
		.amdhsa_forward_progress 1
		.amdhsa_inst_pref_size 52
		.amdhsa_round_robin_scheduling 0
		.amdhsa_exception_fp_ieee_invalid_op 0
		.amdhsa_exception_fp_denorm_src 0
		.amdhsa_exception_fp_ieee_div_zero 0
		.amdhsa_exception_fp_ieee_overflow 0
		.amdhsa_exception_fp_ieee_underflow 0
		.amdhsa_exception_fp_ieee_inexact 0
		.amdhsa_exception_int_div_zero 0
	.end_amdhsa_kernel
	.section	.text._ZN2at6native16triu_tril_kernelIllLb1ELi2ELb0EEEvNS_4cuda6detail10TensorInfoIT_T0_EENS4_IKS5_S6_EEllS6_,"axG",@progbits,_ZN2at6native16triu_tril_kernelIllLb1ELi2ELb0EEEvNS_4cuda6detail10TensorInfoIT_T0_EENS4_IKS5_S6_EEllS6_,comdat
.Lfunc_end67:
	.size	_ZN2at6native16triu_tril_kernelIllLb1ELi2ELb0EEEvNS_4cuda6detail10TensorInfoIT_T0_EENS4_IKS5_S6_EEllS6_, .Lfunc_end67-_ZN2at6native16triu_tril_kernelIllLb1ELi2ELb0EEEvNS_4cuda6detail10TensorInfoIT_T0_EENS4_IKS5_S6_EEllS6_
                                        ; -- End function
	.set _ZN2at6native16triu_tril_kernelIllLb1ELi2ELb0EEEvNS_4cuda6detail10TensorInfoIT_T0_EENS4_IKS5_S6_EEllS6_.num_vgpr, 28
	.set _ZN2at6native16triu_tril_kernelIllLb1ELi2ELb0EEEvNS_4cuda6detail10TensorInfoIT_T0_EENS4_IKS5_S6_EEllS6_.num_agpr, 0
	.set _ZN2at6native16triu_tril_kernelIllLb1ELi2ELb0EEEvNS_4cuda6detail10TensorInfoIT_T0_EENS4_IKS5_S6_EEllS6_.numbered_sgpr, 72
	.set _ZN2at6native16triu_tril_kernelIllLb1ELi2ELb0EEEvNS_4cuda6detail10TensorInfoIT_T0_EENS4_IKS5_S6_EEllS6_.num_named_barrier, 0
	.set _ZN2at6native16triu_tril_kernelIllLb1ELi2ELb0EEEvNS_4cuda6detail10TensorInfoIT_T0_EENS4_IKS5_S6_EEllS6_.private_seg_size, 0
	.set _ZN2at6native16triu_tril_kernelIllLb1ELi2ELb0EEEvNS_4cuda6detail10TensorInfoIT_T0_EENS4_IKS5_S6_EEllS6_.uses_vcc, 1
	.set _ZN2at6native16triu_tril_kernelIllLb1ELi2ELb0EEEvNS_4cuda6detail10TensorInfoIT_T0_EENS4_IKS5_S6_EEllS6_.uses_flat_scratch, 0
	.set _ZN2at6native16triu_tril_kernelIllLb1ELi2ELb0EEEvNS_4cuda6detail10TensorInfoIT_T0_EENS4_IKS5_S6_EEllS6_.has_dyn_sized_stack, 0
	.set _ZN2at6native16triu_tril_kernelIllLb1ELi2ELb0EEEvNS_4cuda6detail10TensorInfoIT_T0_EENS4_IKS5_S6_EEllS6_.has_recursion, 0
	.set _ZN2at6native16triu_tril_kernelIllLb1ELi2ELb0EEEvNS_4cuda6detail10TensorInfoIT_T0_EENS4_IKS5_S6_EEllS6_.has_indirect_call, 0
	.section	.AMDGPU.csdata,"",@progbits
; Kernel info:
; codeLenInByte = 6540
; TotalNumSgprs: 74
; NumVgprs: 28
; ScratchSize: 0
; MemoryBound: 0
; FloatMode: 240
; IeeeMode: 1
; LDSByteSize: 0 bytes/workgroup (compile time only)
; SGPRBlocks: 0
; VGPRBlocks: 3
; NumSGPRsForWavesPerEU: 74
; NumVGPRsForWavesPerEU: 28
; Occupancy: 16
; WaveLimiterHint : 0
; COMPUTE_PGM_RSRC2:SCRATCH_EN: 0
; COMPUTE_PGM_RSRC2:USER_SGPR: 2
; COMPUTE_PGM_RSRC2:TRAP_HANDLER: 0
; COMPUTE_PGM_RSRC2:TGID_X_EN: 1
; COMPUTE_PGM_RSRC2:TGID_Y_EN: 0
; COMPUTE_PGM_RSRC2:TGID_Z_EN: 0
; COMPUTE_PGM_RSRC2:TIDIG_COMP_CNT: 0
	.section	.text._ZN2at6native16triu_tril_kernelIsiLb1ELi4ELb1EEEvNS_4cuda6detail10TensorInfoIT_T0_EENS4_IKS5_S6_EEllS6_,"axG",@progbits,_ZN2at6native16triu_tril_kernelIsiLb1ELi4ELb1EEEvNS_4cuda6detail10TensorInfoIT_T0_EENS4_IKS5_S6_EEllS6_,comdat
	.protected	_ZN2at6native16triu_tril_kernelIsiLb1ELi4ELb1EEEvNS_4cuda6detail10TensorInfoIT_T0_EENS4_IKS5_S6_EEllS6_ ; -- Begin function _ZN2at6native16triu_tril_kernelIsiLb1ELi4ELb1EEEvNS_4cuda6detail10TensorInfoIT_T0_EENS4_IKS5_S6_EEllS6_
	.globl	_ZN2at6native16triu_tril_kernelIsiLb1ELi4ELb1EEEvNS_4cuda6detail10TensorInfoIT_T0_EENS4_IKS5_S6_EEllS6_
	.p2align	8
	.type	_ZN2at6native16triu_tril_kernelIsiLb1ELi4ELb1EEEvNS_4cuda6detail10TensorInfoIT_T0_EENS4_IKS5_S6_EEllS6_,@function
_ZN2at6native16triu_tril_kernelIsiLb1ELi4ELb1EEEvNS_4cuda6detail10TensorInfoIT_T0_EENS4_IKS5_S6_EEllS6_: ; @_ZN2at6native16triu_tril_kernelIsiLb1ELi4ELb1EEEvNS_4cuda6detail10TensorInfoIT_T0_EENS4_IKS5_S6_EEllS6_
; %bb.0:
	s_clause 0x1
	s_load_b32 s2, s[0:1], 0x1d4
	s_load_b128 s[4:7], s[0:1], 0x1b0
	v_mov_b32_e32 v2, 0
	s_mov_b32 s3, exec_lo
	s_delay_alu instid0(VALU_DEP_1)
	v_mov_b32_e32 v1, v2
	s_wait_kmcnt 0x0
	s_and_b32 s2, s2, 0xffff
	s_delay_alu instid0(VALU_DEP_1) | instid1(SALU_CYCLE_1)
	v_mad_co_u64_u32 v[0:1], null, s2, ttmp9, v[0:1]
	s_delay_alu instid0(VALU_DEP_1) | instskip(NEXT) | instid1(VALU_DEP_1)
	v_lshlrev_b64_e32 v[0:1], 2, v[0:1]
	v_cmpx_gt_i64_e64 s[6:7], v[0:1]
	s_cbranch_execz .LBB68_66
; %bb.1:
	s_clause 0x1
	s_load_b32 s20, s[0:1], 0x1a8
	s_load_b32 s8, s[0:1], 0x1c0
	s_add_nc_u64 s[12:13], s[0:1], 0x1c8
	s_add_nc_u64 s[10:11], s[0:1], 0xd8
	s_load_b32 s3, s[12:13], 0x0
	s_mov_b32 s19, 0
	s_mov_b32 s57, 0
	s_wait_kmcnt 0x0
	s_ashr_i32 s21, s20, 31
	v_cvt_f32_u32_e32 v3, s8
	s_lshl_b64 s[22:23], s[20:21], 2
	s_add_co_i32 s9, s20, 6
	s_add_nc_u64 s[12:13], s[10:11], s[22:23]
	s_mul_i32 s3, s3, s2
	s_clause 0x1
	s_load_b32 s14, s[12:13], 0x0
	s_load_b64 s[16:17], s[0:1], 0x0
	v_rcp_iflag_f32_e32 v3, v3
	s_and_b32 s18, s20, 7
	s_add_co_i32 s33, s20, -3
	s_and_b32 s52, s9, 7
	s_lshl_b32 s53, s3, 2
	s_ashr_i32 s9, s8, 31
	v_cmp_gt_i64_e64 s56, s[20:21], 2
	s_add_nc_u64 s[20:21], s[0:1], s[22:23]
	s_wait_kmcnt 0x0
	v_cvt_f32_u32_e32 v4, s14
	s_ashr_i32 s15, s14, 31
	s_cmp_lg_u32 s18, 2
	s_cselect_b32 s54, -1, 0
	s_delay_alu instid0(VALU_DEP_1)
	v_rcp_iflag_f32_e32 v4, v4
	v_mul_f32_e32 v3, 0x4f7ffffe, v3
	s_cmp_gt_u32 s33, 6
	s_cselect_b32 s55, -1, 0
	s_sub_co_i32 s2, 0, s8
	s_wait_alu 0xfffe
	s_ashr_i32 s22, s9, 31
	s_ashr_i32 s24, s15, 31
	s_delay_alu instid0(TRANS32_DEP_1) | instskip(SKIP_1) | instid1(VALU_DEP_2)
	v_mul_f32_e32 v4, 0x4f7ffffe, v4
	v_cvt_u32_f32_e32 v3, v3
	v_cvt_u32_f32_e32 v24, v4
	s_delay_alu instid0(VALU_DEP_2) | instskip(NEXT) | instid1(VALU_DEP_1)
	v_mul_lo_u32 v5, s2, v3
	v_mul_hi_u32 v5, v3, v5
	s_delay_alu instid0(VALU_DEP_1)
	v_add_nc_u32_e32 v25, v3, v5
	s_branch .LBB68_3
.LBB68_2:                               ;   in Loop: Header=BB68_3 Depth=1
	s_wait_alu 0xfffe
	s_or_b32 exec_lo, exec_lo, s23
	v_add_co_u32 v0, vcc_lo, v0, s53
	s_wait_alu 0xfffd
	v_add_co_ci_u32_e64 v1, null, 0, v1, vcc_lo
	s_delay_alu instid0(VALU_DEP_1) | instskip(SKIP_1) | instid1(SALU_CYCLE_1)
	v_cmp_le_i64_e32 vcc_lo, s[6:7], v[0:1]
	s_or_b32 s57, vcc_lo, s57
	s_and_not1_b32 exec_lo, exec_lo, s57
	s_cbranch_execz .LBB68_66
.LBB68_3:                               ; =>This Loop Header: Depth=1
                                        ;     Child Loop BB68_16 Depth 2
                                        ;     Child Loop BB68_22 Depth 2
	v_or_b32_e32 v3, s9, v1
                                        ; implicit-def: $vgpr4_vgpr5
	s_mov_b32 s2, exec_lo
	s_delay_alu instid0(VALU_DEP_1)
	v_cmpx_ne_u64_e32 0, v[2:3]
	s_wait_alu 0xfffe
	s_xor_b32 s3, exec_lo, s2
	s_cbranch_execz .LBB68_5
; %bb.4:                                ;   in Loop: Header=BB68_3 Depth=1
	s_mov_b32 s23, s22
	v_ashrrev_i32_e32 v9, 31, v1
	s_wait_alu 0xfffe
	s_add_nc_u64 s[26:27], s[8:9], s[22:23]
	s_wait_alu 0xfffe
	s_xor_b64 s[26:27], s[26:27], s[22:23]
	v_add_co_u32 v3, vcc_lo, v0, v9
	s_wait_alu 0xfffe
	s_cvt_f32_u32 s2, s26
	s_cvt_f32_u32 s18, s27
	s_sub_nc_u64 s[30:31], 0, s[26:27]
	s_wait_alu 0xfffd
	v_add_co_ci_u32_e64 v4, null, v1, v9, vcc_lo
	s_wait_alu 0xfffe
	s_fmamk_f32 s2, s18, 0x4f800000, s2
	v_xor_b32_e32 v10, v3, v9
	s_delay_alu instid0(VALU_DEP_2) | instskip(SKIP_2) | instid1(TRANS32_DEP_1)
	v_xor_b32_e32 v11, v4, v9
	s_wait_alu 0xfffe
	v_s_rcp_f32 s2, s2
	s_mul_f32 s2, s2, 0x5f7ffffc
	s_wait_alu 0xfffe
	s_delay_alu instid0(SALU_CYCLE_2) | instskip(SKIP_1) | instid1(SALU_CYCLE_2)
	s_mul_f32 s18, s2, 0x2f800000
	s_wait_alu 0xfffe
	s_trunc_f32 s18, s18
	s_wait_alu 0xfffe
	s_delay_alu instid0(SALU_CYCLE_2) | instskip(SKIP_2) | instid1(SALU_CYCLE_1)
	s_fmamk_f32 s2, s18, 0xcf800000, s2
	s_cvt_u32_f32 s29, s18
	s_wait_alu 0xfffe
	s_cvt_u32_f32 s28, s2
	s_wait_alu 0xfffe
	s_delay_alu instid0(SALU_CYCLE_2)
	s_mul_u64 s[34:35], s[30:31], s[28:29]
	s_wait_alu 0xfffe
	s_mul_hi_u32 s37, s28, s35
	s_mul_i32 s36, s28, s35
	s_mul_hi_u32 s18, s28, s34
	s_mul_i32 s23, s29, s34
	s_wait_alu 0xfffe
	s_add_nc_u64 s[36:37], s[18:19], s[36:37]
	s_mul_hi_u32 s2, s29, s34
	s_mul_hi_u32 s25, s29, s35
	s_wait_alu 0xfffe
	s_add_co_u32 s18, s36, s23
	s_add_co_ci_u32 s18, s37, s2
	s_mul_i32 s34, s29, s35
	s_add_co_ci_u32 s35, s25, 0
	s_wait_alu 0xfffe
	s_add_nc_u64 s[34:35], s[18:19], s[34:35]
	s_wait_alu 0xfffe
	s_add_co_u32 s28, s28, s34
	s_cselect_b32 s2, -1, 0
	s_wait_alu 0xfffe
	s_cmp_lg_u32 s2, 0
	s_add_co_ci_u32 s29, s29, s35
	s_wait_alu 0xfffe
	s_mul_u64 s[30:31], s[30:31], s[28:29]
	s_wait_alu 0xfffe
	s_mul_hi_u32 s35, s28, s31
	s_mul_i32 s34, s28, s31
	s_mul_hi_u32 s18, s28, s30
	s_mul_i32 s23, s29, s30
	s_wait_alu 0xfffe
	s_add_nc_u64 s[34:35], s[18:19], s[34:35]
	s_mul_hi_u32 s2, s29, s30
	s_mul_hi_u32 s25, s29, s31
	s_wait_alu 0xfffe
	s_add_co_u32 s18, s34, s23
	s_add_co_ci_u32 s18, s35, s2
	s_mul_i32 s30, s29, s31
	s_add_co_ci_u32 s31, s25, 0
	s_wait_alu 0xfffe
	s_add_nc_u64 s[30:31], s[18:19], s[30:31]
	s_wait_alu 0xfffe
	s_add_co_u32 s2, s28, s30
	s_cselect_b32 s18, -1, 0
	s_wait_alu 0xfffe
	v_mul_hi_u32 v12, v10, s2
	s_cmp_lg_u32 s18, 0
	v_mad_co_u64_u32 v[5:6], null, v11, s2, 0
	s_add_co_ci_u32 s18, s29, s31
	s_wait_alu 0xfffe
	v_mad_co_u64_u32 v[3:4], null, v10, s18, 0
	v_mad_co_u64_u32 v[7:8], null, v11, s18, 0
	s_delay_alu instid0(VALU_DEP_2) | instskip(SKIP_1) | instid1(VALU_DEP_3)
	v_add_co_u32 v3, vcc_lo, v12, v3
	s_wait_alu 0xfffd
	v_add_co_ci_u32_e64 v4, null, 0, v4, vcc_lo
	s_delay_alu instid0(VALU_DEP_2) | instskip(SKIP_1) | instid1(VALU_DEP_2)
	v_add_co_u32 v3, vcc_lo, v3, v5
	s_wait_alu 0xfffd
	v_add_co_ci_u32_e32 v3, vcc_lo, v4, v6, vcc_lo
	s_wait_alu 0xfffd
	v_add_co_ci_u32_e32 v4, vcc_lo, 0, v8, vcc_lo
	s_delay_alu instid0(VALU_DEP_2) | instskip(SKIP_1) | instid1(VALU_DEP_2)
	v_add_co_u32 v5, vcc_lo, v3, v7
	s_wait_alu 0xfffd
	v_add_co_ci_u32_e64 v6, null, 0, v4, vcc_lo
	s_delay_alu instid0(VALU_DEP_2) | instskip(SKIP_1) | instid1(VALU_DEP_3)
	v_mul_lo_u32 v7, s27, v5
	v_mad_co_u64_u32 v[3:4], null, s26, v5, 0
	v_mul_lo_u32 v8, s26, v6
	s_delay_alu instid0(VALU_DEP_2) | instskip(NEXT) | instid1(VALU_DEP_2)
	v_sub_co_u32 v3, vcc_lo, v10, v3
	v_add3_u32 v4, v4, v8, v7
	v_add_co_u32 v8, s2, v5, 2
	s_wait_alu 0xf1ff
	v_add_co_ci_u32_e64 v10, null, 0, v6, s2
	s_delay_alu instid0(VALU_DEP_3) | instskip(SKIP_3) | instid1(VALU_DEP_3)
	v_sub_nc_u32_e32 v7, v11, v4
	v_sub_co_u32 v12, s2, v3, s26
	s_wait_alu 0xfffd
	v_sub_co_ci_u32_e64 v4, null, v11, v4, vcc_lo
	v_subrev_co_ci_u32_e64 v7, null, s27, v7, vcc_lo
	s_delay_alu instid0(VALU_DEP_3) | instskip(SKIP_1) | instid1(VALU_DEP_2)
	v_cmp_le_u32_e32 vcc_lo, s26, v12
	s_wait_alu 0xf1ff
	v_subrev_co_ci_u32_e64 v7, null, 0, v7, s2
	s_wait_alu 0xfffd
	v_cndmask_b32_e64 v11, 0, -1, vcc_lo
	s_delay_alu instid0(VALU_DEP_2)
	v_cmp_le_u32_e32 vcc_lo, s27, v7
	s_wait_alu 0xfffd
	v_cndmask_b32_e64 v12, 0, -1, vcc_lo
	v_cmp_le_u32_e32 vcc_lo, s26, v3
	s_wait_alu 0xfffd
	v_cndmask_b32_e64 v3, 0, -1, vcc_lo
	;; [unrolled: 3-line block ×3, first 2 shown]
	v_cmp_eq_u32_e32 vcc_lo, s27, v7
	s_wait_alu 0xfffd
	v_cndmask_b32_e32 v7, v12, v11, vcc_lo
	v_add_co_u32 v11, vcc_lo, v5, 1
	s_wait_alu 0xfffd
	v_add_co_ci_u32_e64 v12, null, 0, v6, vcc_lo
	v_cmp_eq_u32_e32 vcc_lo, s27, v4
	s_wait_alu 0xfffd
	v_cndmask_b32_e32 v3, v13, v3, vcc_lo
	v_cmp_ne_u32_e32 vcc_lo, 0, v7
	v_xor_b32_e32 v7, s22, v9
	s_wait_alu 0xfffd
	v_cndmask_b32_e32 v4, v12, v10, vcc_lo
	v_cmp_ne_u32_e64 s2, 0, v3
	v_cndmask_b32_e32 v3, v11, v8, vcc_lo
	s_wait_alu 0xf1ff
	s_delay_alu instid0(VALU_DEP_2) | instskip(NEXT) | instid1(VALU_DEP_2)
	v_cndmask_b32_e64 v4, v6, v4, s2
	v_cndmask_b32_e64 v3, v5, v3, s2
	s_delay_alu instid0(VALU_DEP_2) | instskip(NEXT) | instid1(VALU_DEP_2)
	v_xor_b32_e32 v5, v4, v7
	v_xor_b32_e32 v3, v3, v7
	s_delay_alu instid0(VALU_DEP_1) | instskip(SKIP_1) | instid1(VALU_DEP_3)
	v_sub_co_u32 v4, vcc_lo, v3, v7
	s_wait_alu 0xfffd
	v_sub_co_ci_u32_e64 v5, null, v5, v7, vcc_lo
.LBB68_5:                               ;   in Loop: Header=BB68_3 Depth=1
	s_wait_alu 0xfffe
	s_and_not1_saveexec_b32 s2, s3
	s_cbranch_execz .LBB68_7
; %bb.6:                                ;   in Loop: Header=BB68_3 Depth=1
	v_mul_hi_u32 v3, v0, v25
	s_delay_alu instid0(VALU_DEP_1) | instskip(NEXT) | instid1(VALU_DEP_1)
	v_mul_lo_u32 v4, v3, s8
	v_sub_nc_u32_e32 v4, v0, v4
	s_delay_alu instid0(VALU_DEP_1) | instskip(SKIP_2) | instid1(VALU_DEP_2)
	v_subrev_nc_u32_e32 v6, s8, v4
	v_cmp_le_u32_e32 vcc_lo, s8, v4
	s_wait_alu 0xfffd
	v_dual_cndmask_b32 v4, v4, v6 :: v_dual_add_nc_u32 v5, 1, v3
	s_delay_alu instid0(VALU_DEP_1) | instskip(NEXT) | instid1(VALU_DEP_2)
	v_cndmask_b32_e32 v3, v3, v5, vcc_lo
	v_cmp_le_u32_e32 vcc_lo, s8, v4
	s_delay_alu instid0(VALU_DEP_2) | instskip(SKIP_1) | instid1(VALU_DEP_1)
	v_add_nc_u32_e32 v5, 1, v3
	s_wait_alu 0xfffd
	v_dual_cndmask_b32 v4, v3, v5 :: v_dual_mov_b32 v5, v2
.LBB68_7:                               ;   in Loop: Header=BB68_3 Depth=1
	s_wait_alu 0xfffe
	s_or_b32 exec_lo, exec_lo, s2
	s_delay_alu instid0(VALU_DEP_1) | instskip(SKIP_1) | instid1(VALU_DEP_1)
	v_or_b32_e32 v3, s15, v5
                                        ; implicit-def: $vgpr6_vgpr7
	s_mov_b32 s2, exec_lo
	v_cmpx_ne_u64_e32 0, v[2:3]
	s_wait_alu 0xfffe
	s_xor_b32 s3, exec_lo, s2
	s_cbranch_execz .LBB68_9
; %bb.8:                                ;   in Loop: Header=BB68_3 Depth=1
	s_mov_b32 s25, s24
	v_ashrrev_i32_e32 v3, 31, v5
	s_wait_alu 0xfffe
	s_add_nc_u64 s[26:27], s[14:15], s[24:25]
	s_wait_alu 0xfffe
	s_xor_b64 s[26:27], s[26:27], s[24:25]
	v_add_co_u32 v6, vcc_lo, v4, v3
	s_wait_alu 0xfffe
	s_cvt_f32_u32 s2, s26
	s_cvt_f32_u32 s18, s27
	s_sub_nc_u64 s[30:31], 0, s[26:27]
	s_wait_alu 0xfffd
	v_add_co_ci_u32_e64 v5, null, v5, v3, vcc_lo
	s_wait_alu 0xfffe
	s_fmamk_f32 s2, s18, 0x4f800000, s2
	v_xor_b32_e32 v11, v6, v3
	s_delay_alu instid0(VALU_DEP_2) | instskip(SKIP_3) | instid1(TRANS32_DEP_1)
	v_xor_b32_e32 v12, v5, v3
	s_wait_alu 0xfffe
	v_s_rcp_f32 s2, s2
	v_xor_b32_e32 v3, s24, v3
	s_mul_f32 s2, s2, 0x5f7ffffc
	s_wait_alu 0xfffe
	s_delay_alu instid0(SALU_CYCLE_2) | instskip(SKIP_1) | instid1(SALU_CYCLE_2)
	s_mul_f32 s18, s2, 0x2f800000
	s_wait_alu 0xfffe
	s_trunc_f32 s18, s18
	s_wait_alu 0xfffe
	s_delay_alu instid0(SALU_CYCLE_2) | instskip(SKIP_2) | instid1(SALU_CYCLE_1)
	s_fmamk_f32 s2, s18, 0xcf800000, s2
	s_cvt_u32_f32 s29, s18
	s_wait_alu 0xfffe
	s_cvt_u32_f32 s28, s2
	s_wait_alu 0xfffe
	s_delay_alu instid0(SALU_CYCLE_2)
	s_mul_u64 s[34:35], s[30:31], s[28:29]
	s_wait_alu 0xfffe
	s_mul_hi_u32 s37, s28, s35
	s_mul_i32 s36, s28, s35
	s_mul_hi_u32 s18, s28, s34
	s_mul_i32 s23, s29, s34
	s_wait_alu 0xfffe
	s_add_nc_u64 s[36:37], s[18:19], s[36:37]
	s_mul_hi_u32 s2, s29, s34
	s_mul_hi_u32 s25, s29, s35
	s_wait_alu 0xfffe
	s_add_co_u32 s18, s36, s23
	s_add_co_ci_u32 s18, s37, s2
	s_mul_i32 s34, s29, s35
	s_add_co_ci_u32 s35, s25, 0
	s_wait_alu 0xfffe
	s_add_nc_u64 s[34:35], s[18:19], s[34:35]
	s_wait_alu 0xfffe
	s_add_co_u32 s28, s28, s34
	s_cselect_b32 s2, -1, 0
	s_wait_alu 0xfffe
	s_cmp_lg_u32 s2, 0
	s_add_co_ci_u32 s29, s29, s35
	s_wait_alu 0xfffe
	s_mul_u64 s[30:31], s[30:31], s[28:29]
	s_wait_alu 0xfffe
	s_mul_hi_u32 s35, s28, s31
	s_mul_i32 s34, s28, s31
	s_mul_hi_u32 s18, s28, s30
	s_mul_i32 s23, s29, s30
	s_wait_alu 0xfffe
	s_add_nc_u64 s[34:35], s[18:19], s[34:35]
	s_mul_hi_u32 s2, s29, s30
	s_mul_hi_u32 s25, s29, s31
	s_wait_alu 0xfffe
	s_add_co_u32 s18, s34, s23
	s_add_co_ci_u32 s18, s35, s2
	s_mul_i32 s30, s29, s31
	s_add_co_ci_u32 s31, s25, 0
	s_wait_alu 0xfffe
	s_add_nc_u64 s[30:31], s[18:19], s[30:31]
	s_wait_alu 0xfffe
	s_add_co_u32 s2, s28, s30
	s_cselect_b32 s18, -1, 0
	s_wait_alu 0xfffe
	v_mul_hi_u32 v13, v11, s2
	s_cmp_lg_u32 s18, 0
	v_mad_co_u64_u32 v[7:8], null, v12, s2, 0
	s_add_co_ci_u32 s18, s29, s31
	s_wait_alu 0xfffe
	v_mad_co_u64_u32 v[5:6], null, v11, s18, 0
	v_mad_co_u64_u32 v[9:10], null, v12, s18, 0
	s_delay_alu instid0(VALU_DEP_2) | instskip(SKIP_1) | instid1(VALU_DEP_3)
	v_add_co_u32 v5, vcc_lo, v13, v5
	s_wait_alu 0xfffd
	v_add_co_ci_u32_e64 v6, null, 0, v6, vcc_lo
	s_delay_alu instid0(VALU_DEP_2) | instskip(SKIP_1) | instid1(VALU_DEP_2)
	v_add_co_u32 v5, vcc_lo, v5, v7
	s_wait_alu 0xfffd
	v_add_co_ci_u32_e32 v5, vcc_lo, v6, v8, vcc_lo
	s_wait_alu 0xfffd
	v_add_co_ci_u32_e32 v6, vcc_lo, 0, v10, vcc_lo
	s_delay_alu instid0(VALU_DEP_2) | instskip(SKIP_1) | instid1(VALU_DEP_2)
	v_add_co_u32 v7, vcc_lo, v5, v9
	s_wait_alu 0xfffd
	v_add_co_ci_u32_e64 v8, null, 0, v6, vcc_lo
	s_delay_alu instid0(VALU_DEP_2) | instskip(SKIP_1) | instid1(VALU_DEP_3)
	v_mul_lo_u32 v9, s27, v7
	v_mad_co_u64_u32 v[5:6], null, s26, v7, 0
	v_mul_lo_u32 v10, s26, v8
	s_delay_alu instid0(VALU_DEP_2) | instskip(NEXT) | instid1(VALU_DEP_2)
	v_sub_co_u32 v5, vcc_lo, v11, v5
	v_add3_u32 v6, v6, v10, v9
	v_add_co_u32 v10, s2, v7, 2
	s_wait_alu 0xf1ff
	v_add_co_ci_u32_e64 v11, null, 0, v8, s2
	s_delay_alu instid0(VALU_DEP_3) | instskip(SKIP_3) | instid1(VALU_DEP_3)
	v_sub_nc_u32_e32 v9, v12, v6
	v_sub_co_u32 v13, s2, v5, s26
	s_wait_alu 0xfffd
	v_sub_co_ci_u32_e64 v6, null, v12, v6, vcc_lo
	v_subrev_co_ci_u32_e64 v9, null, s27, v9, vcc_lo
	s_delay_alu instid0(VALU_DEP_3) | instskip(SKIP_1) | instid1(VALU_DEP_2)
	v_cmp_le_u32_e32 vcc_lo, s26, v13
	s_wait_alu 0xf1ff
	v_subrev_co_ci_u32_e64 v9, null, 0, v9, s2
	s_wait_alu 0xfffd
	v_cndmask_b32_e64 v12, 0, -1, vcc_lo
	s_delay_alu instid0(VALU_DEP_2)
	v_cmp_le_u32_e32 vcc_lo, s27, v9
	s_wait_alu 0xfffd
	v_cndmask_b32_e64 v13, 0, -1, vcc_lo
	v_cmp_le_u32_e32 vcc_lo, s26, v5
	s_wait_alu 0xfffd
	v_cndmask_b32_e64 v5, 0, -1, vcc_lo
	;; [unrolled: 3-line block ×3, first 2 shown]
	v_cmp_eq_u32_e32 vcc_lo, s27, v9
	s_wait_alu 0xfffd
	v_cndmask_b32_e32 v9, v13, v12, vcc_lo
	v_add_co_u32 v12, vcc_lo, v7, 1
	s_wait_alu 0xfffd
	v_add_co_ci_u32_e64 v13, null, 0, v8, vcc_lo
	v_cmp_eq_u32_e32 vcc_lo, s27, v6
	s_wait_alu 0xfffd
	v_cndmask_b32_e32 v5, v14, v5, vcc_lo
	v_cmp_ne_u32_e32 vcc_lo, 0, v9
	s_wait_alu 0xfffd
	v_cndmask_b32_e32 v6, v13, v11, vcc_lo
	s_delay_alu instid0(VALU_DEP_3) | instskip(SKIP_2) | instid1(VALU_DEP_2)
	v_cmp_ne_u32_e64 s2, 0, v5
	v_cndmask_b32_e32 v5, v12, v10, vcc_lo
	s_wait_alu 0xf1ff
	v_cndmask_b32_e64 v6, v8, v6, s2
	s_delay_alu instid0(VALU_DEP_2) | instskip(NEXT) | instid1(VALU_DEP_2)
	v_cndmask_b32_e64 v5, v7, v5, s2
	v_xor_b32_e32 v7, v6, v3
	s_delay_alu instid0(VALU_DEP_2) | instskip(NEXT) | instid1(VALU_DEP_1)
	v_xor_b32_e32 v5, v5, v3
	v_sub_co_u32 v6, vcc_lo, v5, v3
	s_wait_alu 0xfffd
	s_delay_alu instid0(VALU_DEP_3)
	v_sub_co_ci_u32_e64 v7, null, v7, v3, vcc_lo
.LBB68_9:                               ;   in Loop: Header=BB68_3 Depth=1
	s_wait_alu 0xfffe
	s_and_not1_saveexec_b32 s2, s3
	s_cbranch_execz .LBB68_11
; %bb.10:                               ;   in Loop: Header=BB68_3 Depth=1
	s_sub_co_i32 s3, 0, s14
	s_wait_alu 0xfffe
	v_mul_lo_u32 v3, s3, v24
	s_delay_alu instid0(VALU_DEP_1) | instskip(NEXT) | instid1(VALU_DEP_1)
	v_mul_hi_u32 v3, v24, v3
	v_add_nc_u32_e32 v3, v24, v3
	s_delay_alu instid0(VALU_DEP_1) | instskip(NEXT) | instid1(VALU_DEP_1)
	v_mul_hi_u32 v3, v4, v3
	v_mul_lo_u32 v5, v3, s14
	v_add_nc_u32_e32 v6, 1, v3
	s_delay_alu instid0(VALU_DEP_2) | instskip(NEXT) | instid1(VALU_DEP_1)
	v_sub_nc_u32_e32 v5, v4, v5
	v_subrev_nc_u32_e32 v7, s14, v5
	v_cmp_le_u32_e32 vcc_lo, s14, v5
	s_wait_alu 0xfffd
	s_delay_alu instid0(VALU_DEP_2) | instskip(SKIP_2) | instid1(VALU_DEP_3)
	v_cndmask_b32_e32 v5, v5, v7, vcc_lo
	v_mov_b32_e32 v7, v2
	v_cndmask_b32_e32 v3, v3, v6, vcc_lo
	v_cmp_le_u32_e32 vcc_lo, s14, v5
	s_delay_alu instid0(VALU_DEP_2) | instskip(SKIP_1) | instid1(VALU_DEP_1)
	v_add_nc_u32_e32 v6, 1, v3
	s_wait_alu 0xfffd
	v_cndmask_b32_e32 v6, v3, v6, vcc_lo
.LBB68_11:                              ;   in Loop: Header=BB68_3 Depth=1
	s_wait_alu 0xfffe
	s_or_b32 exec_lo, exec_lo, s2
	v_mad_co_u64_u32 v[8:9], null, v4, s8, 0
	s_delay_alu instid0(VALU_DEP_2) | instskip(SKIP_3) | instid1(VALU_DEP_1)
	v_mad_co_u64_u32 v[9:10], null, v6, s14, 0
	s_mov_b32 s23, exec_lo
	v_sub_co_u32 v27, null, v0, v8
	v_sub_co_u32 v26, null, v4, v9
	v_sub_nc_u32_e32 v3, v27, v26
	s_delay_alu instid0(VALU_DEP_1) | instskip(NEXT) | instid1(VALU_DEP_1)
	v_ashrrev_i32_e32 v4, 31, v3
	v_cmpx_gt_i64_e64 s[4:5], v[3:4]
	s_cbranch_execz .LBB68_2
; %bb.12:                               ;   in Loop: Header=BB68_3 Depth=1
	s_load_b64 s[2:3], s[20:21], 0x64
	s_and_not1_b32 vcc_lo, exec_lo, s56
	s_wait_kmcnt 0x0
	v_mul_lo_u32 v3, s3, v27
	s_delay_alu instid0(VALU_DEP_1)
	v_mad_co_u64_u32 v[4:5], null, s2, v26, v[3:4]
	s_wait_alu 0xfffe
	s_cbranch_vccnz .LBB68_56
; %bb.13:                               ;   in Loop: Header=BB68_3 Depth=1
	s_mov_b32 s25, s52
	s_and_not1_b32 vcc_lo, exec_lo, s54
	s_mov_b32 s18, s33
	s_mov_b32 s2, s33
	s_wait_alu 0xfffe
	s_cbranch_vccz .LBB68_16
; %bb.14:                               ;   in Loop: Header=BB68_3 Depth=1
	s_and_not1_b32 vcc_lo, exec_lo, s55
	s_wait_alu 0xfffe
	s_cbranch_vccz .LBB68_21
	s_branch .LBB68_56
.LBB68_15:                              ;   in Loop: Header=BB68_16 Depth=2
	s_wait_alu 0xfffe
	s_or_b32 exec_lo, exec_lo, s2
	s_add_nc_u64 s[26:27], s[0:1], s[26:27]
	v_mul_lo_u32 v3, v8, s28
	s_load_b32 s2, s[26:27], 0x6c
	s_add_co_i32 s25, s25, -1
	s_add_co_i32 s18, s18, -1
	s_wait_alu 0xfffe
	s_cmp_lg_u32 s25, 0
	s_delay_alu instid0(VALU_DEP_1) | instskip(SKIP_2) | instid1(VALU_DEP_2)
	v_sub_nc_u32_e32 v3, v6, v3
	v_dual_mov_b32 v6, v8 :: v_dual_mov_b32 v7, v9
	s_wait_kmcnt 0x0
	v_mad_co_u64_u32 v[4:5], null, s2, v3, v[4:5]
	s_cbranch_scc0 .LBB68_20
.LBB68_16:                              ;   Parent Loop BB68_3 Depth=1
                                        ; =>  This Inner Loop Header: Depth=2
	s_lshl_b64 s[26:27], s[18:19], 2
                                        ; implicit-def: $vgpr8_vgpr9
	s_mov_b32 s2, exec_lo
	s_wait_alu 0xfffe
	s_add_nc_u64 s[28:29], s[10:11], s[26:27]
	s_load_b32 s28, s[28:29], 0x8
	s_wait_kmcnt 0x0
	s_ashr_i32 s29, s28, 31
	s_wait_alu 0xfffe
	v_or_b32_e32 v3, s29, v7
	s_delay_alu instid0(VALU_DEP_1)
	v_cmpx_ne_u64_e32 0, v[2:3]
	s_xor_b32 s36, exec_lo, s2
	s_cbranch_execz .LBB68_18
; %bb.17:                               ;   in Loop: Header=BB68_16 Depth=2
	s_ashr_i32 s30, s29, 31
	s_mov_b32 s43, s19
	s_wait_alu 0xfffe
	s_mov_b32 s31, s30
	s_mov_b32 s47, s19
	s_wait_alu 0xfffe
	s_add_nc_u64 s[34:35], s[28:29], s[30:31]
	v_ashrrev_i32_e32 v3, 31, v7
	s_wait_alu 0xfffe
	s_xor_b64 s[34:35], s[34:35], s[30:31]
	s_wait_alu 0xfffe
	s_cvt_f32_u32 s2, s34
	s_cvt_f32_u32 s29, s35
	s_sub_nc_u64 s[40:41], 0, s[34:35]
	v_add_co_u32 v5, vcc_lo, v6, v3
	s_wait_alu 0xfffe
	s_fmamk_f32 s2, s29, 0x4f800000, s2
	s_wait_alu 0xfffd
	v_add_co_ci_u32_e64 v7, null, v7, v3, vcc_lo
	v_xor_b32_e32 v5, v5, v3
	s_wait_alu 0xfffe
	v_s_rcp_f32 s2, s2
	s_delay_alu instid0(VALU_DEP_2) | instskip(SKIP_1) | instid1(TRANS32_DEP_1)
	v_xor_b32_e32 v13, v7, v3
	v_xor_b32_e32 v3, s30, v3
	s_mul_f32 s2, s2, 0x5f7ffffc
	s_wait_alu 0xfffe
	s_delay_alu instid0(SALU_CYCLE_2) | instskip(SKIP_1) | instid1(SALU_CYCLE_2)
	s_mul_f32 s29, s2, 0x2f800000
	s_wait_alu 0xfffe
	s_trunc_f32 s29, s29
	s_wait_alu 0xfffe
	s_delay_alu instid0(SALU_CYCLE_2) | instskip(SKIP_2) | instid1(SALU_CYCLE_1)
	s_fmamk_f32 s2, s29, 0xcf800000, s2
	s_cvt_u32_f32 s39, s29
	s_wait_alu 0xfffe
	s_cvt_u32_f32 s38, s2
	s_wait_alu 0xfffe
	s_delay_alu instid0(SALU_CYCLE_2)
	s_mul_u64 s[44:45], s[40:41], s[38:39]
	s_wait_alu 0xfffe
	s_mul_hi_u32 s49, s38, s45
	s_mul_i32 s48, s38, s45
	s_mul_hi_u32 s42, s38, s44
	s_mul_i32 s29, s39, s44
	s_wait_alu 0xfffe
	s_add_nc_u64 s[42:43], s[42:43], s[48:49]
	s_mul_hi_u32 s2, s39, s44
	s_mul_hi_u32 s31, s39, s45
	s_wait_alu 0xfffe
	s_add_co_u32 s29, s42, s29
	s_add_co_ci_u32 s46, s43, s2
	s_mul_i32 s44, s39, s45
	s_add_co_ci_u32 s45, s31, 0
	s_wait_alu 0xfffe
	s_add_nc_u64 s[42:43], s[46:47], s[44:45]
	s_mov_b32 s45, s19
	s_wait_alu 0xfffe
	s_add_co_u32 s38, s38, s42
	s_cselect_b32 s2, -1, 0
	s_wait_alu 0xfffe
	s_cmp_lg_u32 s2, 0
	s_add_co_ci_u32 s39, s39, s43
	s_mov_b32 s43, s19
	s_wait_alu 0xfffe
	s_mul_u64 s[40:41], s[40:41], s[38:39]
	s_wait_alu 0xfffe
	s_mul_hi_u32 s47, s38, s41
	s_mul_i32 s46, s38, s41
	s_mul_hi_u32 s44, s38, s40
	s_mul_i32 s29, s39, s40
	s_wait_alu 0xfffe
	s_add_nc_u64 s[44:45], s[44:45], s[46:47]
	s_mul_hi_u32 s2, s39, s40
	s_mul_hi_u32 s31, s39, s41
	s_wait_alu 0xfffe
	s_add_co_u32 s29, s44, s29
	s_add_co_ci_u32 s42, s45, s2
	s_mul_i32 s40, s39, s41
	s_add_co_ci_u32 s41, s31, 0
	s_wait_alu 0xfffe
	s_add_nc_u64 s[40:41], s[42:43], s[40:41]
	s_wait_alu 0xfffe
	s_add_co_u32 s2, s38, s40
	s_cselect_b32 s29, -1, 0
	s_wait_alu 0xfffe
	v_mul_hi_u32 v14, v5, s2
	s_cmp_lg_u32 s29, 0
	v_mad_co_u64_u32 v[9:10], null, v13, s2, 0
	s_add_co_ci_u32 s29, s39, s41
	s_wait_alu 0xfffe
	v_mad_co_u64_u32 v[7:8], null, v5, s29, 0
	v_mad_co_u64_u32 v[11:12], null, v13, s29, 0
	s_delay_alu instid0(VALU_DEP_2) | instskip(SKIP_1) | instid1(VALU_DEP_3)
	v_add_co_u32 v7, vcc_lo, v14, v7
	s_wait_alu 0xfffd
	v_add_co_ci_u32_e64 v8, null, 0, v8, vcc_lo
	s_delay_alu instid0(VALU_DEP_2) | instskip(SKIP_1) | instid1(VALU_DEP_2)
	v_add_co_u32 v7, vcc_lo, v7, v9
	s_wait_alu 0xfffd
	v_add_co_ci_u32_e32 v7, vcc_lo, v8, v10, vcc_lo
	s_wait_alu 0xfffd
	v_add_co_ci_u32_e32 v8, vcc_lo, 0, v12, vcc_lo
	s_delay_alu instid0(VALU_DEP_2) | instskip(SKIP_1) | instid1(VALU_DEP_2)
	v_add_co_u32 v9, vcc_lo, v7, v11
	s_wait_alu 0xfffd
	v_add_co_ci_u32_e64 v10, null, 0, v8, vcc_lo
	s_delay_alu instid0(VALU_DEP_2) | instskip(SKIP_1) | instid1(VALU_DEP_3)
	v_mul_lo_u32 v11, s35, v9
	v_mad_co_u64_u32 v[7:8], null, s34, v9, 0
	v_mul_lo_u32 v12, s34, v10
	s_delay_alu instid0(VALU_DEP_2) | instskip(NEXT) | instid1(VALU_DEP_2)
	v_sub_co_u32 v5, vcc_lo, v5, v7
	v_add3_u32 v8, v8, v12, v11
	s_delay_alu instid0(VALU_DEP_1) | instskip(SKIP_2) | instid1(VALU_DEP_2)
	v_sub_nc_u32_e32 v11, v13, v8
	s_wait_alu 0xfffd
	v_sub_co_ci_u32_e64 v8, null, v13, v8, vcc_lo
	v_subrev_co_ci_u32_e64 v7, null, s35, v11, vcc_lo
	v_add_co_u32 v11, s2, v9, 2
	s_wait_alu 0xf1ff
	v_add_co_ci_u32_e64 v12, null, 0, v10, s2
	v_sub_co_u32 v14, s2, v5, s34
	s_wait_alu 0xf1ff
	v_subrev_co_ci_u32_e64 v7, null, 0, v7, s2
	s_delay_alu instid0(VALU_DEP_2) | instskip(SKIP_2) | instid1(VALU_DEP_3)
	v_cmp_le_u32_e32 vcc_lo, s34, v14
	s_wait_alu 0xfffd
	v_cndmask_b32_e64 v13, 0, -1, vcc_lo
	v_cmp_le_u32_e32 vcc_lo, s35, v7
	s_wait_alu 0xfffd
	v_cndmask_b32_e64 v14, 0, -1, vcc_lo
	;; [unrolled: 3-line block ×4, first 2 shown]
	v_cmp_eq_u32_e32 vcc_lo, s35, v7
	s_wait_alu 0xfffd
	v_cndmask_b32_e32 v7, v14, v13, vcc_lo
	v_add_co_u32 v13, vcc_lo, v9, 1
	s_wait_alu 0xfffd
	v_add_co_ci_u32_e64 v14, null, 0, v10, vcc_lo
	v_cmp_eq_u32_e32 vcc_lo, s35, v8
	s_wait_alu 0xfffd
	v_cndmask_b32_e32 v5, v15, v5, vcc_lo
	v_cmp_ne_u32_e32 vcc_lo, 0, v7
	s_delay_alu instid0(VALU_DEP_2) | instskip(SKIP_4) | instid1(VALU_DEP_2)
	v_cmp_ne_u32_e64 s2, 0, v5
	s_wait_alu 0xfffd
	v_cndmask_b32_e32 v5, v13, v11, vcc_lo
	v_cndmask_b32_e32 v7, v14, v12, vcc_lo
	s_wait_alu 0xf1ff
	v_cndmask_b32_e64 v5, v9, v5, s2
	s_delay_alu instid0(VALU_DEP_2) | instskip(NEXT) | instid1(VALU_DEP_2)
	v_cndmask_b32_e64 v7, v10, v7, s2
	v_xor_b32_e32 v5, v5, v3
	s_delay_alu instid0(VALU_DEP_2) | instskip(NEXT) | instid1(VALU_DEP_2)
	v_xor_b32_e32 v7, v7, v3
	v_sub_co_u32 v8, vcc_lo, v5, v3
	s_wait_alu 0xfffd
	s_delay_alu instid0(VALU_DEP_2)
	v_sub_co_ci_u32_e64 v9, null, v7, v3, vcc_lo
.LBB68_18:                              ;   in Loop: Header=BB68_16 Depth=2
	s_wait_alu 0xfffe
	s_and_not1_saveexec_b32 s2, s36
	s_cbranch_execz .LBB68_15
; %bb.19:                               ;   in Loop: Header=BB68_16 Depth=2
	v_cvt_f32_u32_e32 v3, s28
	s_sub_co_i32 s29, 0, s28
	v_mov_b32_e32 v9, v2
	s_delay_alu instid0(VALU_DEP_2) | instskip(NEXT) | instid1(TRANS32_DEP_1)
	v_rcp_iflag_f32_e32 v3, v3
	v_mul_f32_e32 v3, 0x4f7ffffe, v3
	s_delay_alu instid0(VALU_DEP_1) | instskip(SKIP_1) | instid1(VALU_DEP_1)
	v_cvt_u32_f32_e32 v3, v3
	s_wait_alu 0xfffe
	v_mul_lo_u32 v5, s29, v3
	s_delay_alu instid0(VALU_DEP_1) | instskip(NEXT) | instid1(VALU_DEP_1)
	v_mul_hi_u32 v5, v3, v5
	v_add_nc_u32_e32 v3, v3, v5
	s_delay_alu instid0(VALU_DEP_1) | instskip(NEXT) | instid1(VALU_DEP_1)
	v_mul_hi_u32 v3, v6, v3
	v_mul_lo_u32 v5, v3, s28
	v_add_nc_u32_e32 v7, 1, v3
	s_delay_alu instid0(VALU_DEP_2) | instskip(NEXT) | instid1(VALU_DEP_1)
	v_sub_nc_u32_e32 v5, v6, v5
	v_cmp_le_u32_e32 vcc_lo, s28, v5
	v_subrev_nc_u32_e32 v8, s28, v5
	s_wait_alu 0xfffd
	v_cndmask_b32_e32 v3, v3, v7, vcc_lo
	s_delay_alu instid0(VALU_DEP_1) | instskip(NEXT) | instid1(VALU_DEP_3)
	v_add_nc_u32_e32 v7, 1, v3
	v_cndmask_b32_e32 v5, v5, v8, vcc_lo
	s_delay_alu instid0(VALU_DEP_1) | instskip(SKIP_1) | instid1(VALU_DEP_3)
	v_cmp_le_u32_e32 vcc_lo, s28, v5
	s_wait_alu 0xfffd
	v_cndmask_b32_e32 v8, v3, v7, vcc_lo
	s_branch .LBB68_15
.LBB68_20:                              ;   in Loop: Header=BB68_3 Depth=1
	s_mov_b32 s2, s18
	s_and_not1_b32 vcc_lo, exec_lo, s55
	s_wait_alu 0xfffe
	s_cbranch_vccnz .LBB68_56
.LBB68_21:                              ;   in Loop: Header=BB68_3 Depth=1
	s_add_co_i32 s26, s2, -7
.LBB68_22:                              ;   Parent Loop BB68_3 Depth=1
                                        ; =>  This Inner Loop Header: Depth=2
	s_wait_alu 0xfffe
	s_add_co_i32 s18, s26, 7
                                        ; implicit-def: $vgpr8_vgpr9
	s_mov_b32 s2, exec_lo
	s_wait_alu 0xfffe
	s_lshl_b64 s[34:35], s[18:19], 2
	s_wait_alu 0xfffe
	s_add_nc_u64 s[28:29], s[10:11], s[34:35]
	s_load_b32 s28, s[28:29], 0x8
	s_wait_kmcnt 0x0
	s_ashr_i32 s29, s28, 31
	s_wait_alu 0xfffe
	v_or_b32_e32 v3, s29, v7
	s_delay_alu instid0(VALU_DEP_1)
	v_cmpx_ne_u64_e32 0, v[2:3]
	s_xor_b32 s25, exec_lo, s2
	s_cbranch_execz .LBB68_24
; %bb.23:                               ;   in Loop: Header=BB68_22 Depth=2
	s_ashr_i32 s30, s29, 31
	v_ashrrev_i32_e32 v3, 31, v7
	s_wait_alu 0xfffe
	s_mov_b32 s31, s30
	s_wait_alu 0xfffe
	s_add_nc_u64 s[36:37], s[28:29], s[30:31]
	v_add_co_u32 v5, vcc_lo, v6, v3
	s_wait_alu 0xfffe
	s_xor_b64 s[36:37], s[36:37], s[30:31]
	s_wait_alu 0xfffd
	v_add_co_ci_u32_e64 v7, null, v7, v3, vcc_lo
	s_wait_alu 0xfffe
	s_cvt_f32_u32 s2, s36
	s_cvt_f32_u32 s18, s37
	s_sub_nc_u64 s[40:41], 0, s[36:37]
	v_xor_b32_e32 v5, v5, v3
	v_xor_b32_e32 v13, v7, v3
	s_wait_alu 0xfffe
	s_fmamk_f32 s2, s18, 0x4f800000, s2
	v_xor_b32_e32 v3, s30, v3
	s_wait_alu 0xfffe
	s_delay_alu instid0(SALU_CYCLE_1) | instskip(NEXT) | instid1(TRANS32_DEP_1)
	v_s_rcp_f32 s2, s2
	s_mul_f32 s2, s2, 0x5f7ffffc
	s_wait_alu 0xfffe
	s_delay_alu instid0(SALU_CYCLE_2) | instskip(SKIP_1) | instid1(SALU_CYCLE_2)
	s_mul_f32 s18, s2, 0x2f800000
	s_wait_alu 0xfffe
	s_trunc_f32 s18, s18
	s_wait_alu 0xfffe
	s_delay_alu instid0(SALU_CYCLE_2) | instskip(SKIP_2) | instid1(SALU_CYCLE_1)
	s_fmamk_f32 s2, s18, 0xcf800000, s2
	s_cvt_u32_f32 s39, s18
	s_wait_alu 0xfffe
	s_cvt_u32_f32 s38, s2
	s_wait_alu 0xfffe
	s_delay_alu instid0(SALU_CYCLE_2)
	s_mul_u64 s[42:43], s[40:41], s[38:39]
	s_wait_alu 0xfffe
	s_mul_hi_u32 s45, s38, s43
	s_mul_i32 s44, s38, s43
	s_mul_hi_u32 s18, s38, s42
	s_mul_i32 s27, s39, s42
	s_wait_alu 0xfffe
	s_add_nc_u64 s[44:45], s[18:19], s[44:45]
	s_mul_hi_u32 s2, s39, s42
	s_mul_hi_u32 s29, s39, s43
	s_wait_alu 0xfffe
	s_add_co_u32 s18, s44, s27
	s_add_co_ci_u32 s18, s45, s2
	s_mul_i32 s42, s39, s43
	s_add_co_ci_u32 s43, s29, 0
	s_wait_alu 0xfffe
	s_add_nc_u64 s[42:43], s[18:19], s[42:43]
	s_wait_alu 0xfffe
	s_add_co_u32 s38, s38, s42
	s_cselect_b32 s2, -1, 0
	s_wait_alu 0xfffe
	s_cmp_lg_u32 s2, 0
	s_add_co_ci_u32 s39, s39, s43
	s_wait_alu 0xfffe
	s_mul_u64 s[40:41], s[40:41], s[38:39]
	s_wait_alu 0xfffe
	s_mul_hi_u32 s43, s38, s41
	s_mul_i32 s42, s38, s41
	s_mul_hi_u32 s18, s38, s40
	s_mul_i32 s27, s39, s40
	s_wait_alu 0xfffe
	s_add_nc_u64 s[42:43], s[18:19], s[42:43]
	s_mul_hi_u32 s2, s39, s40
	s_mul_hi_u32 s29, s39, s41
	s_wait_alu 0xfffe
	s_add_co_u32 s18, s42, s27
	s_add_co_ci_u32 s18, s43, s2
	s_mul_i32 s40, s39, s41
	s_add_co_ci_u32 s41, s29, 0
	s_wait_alu 0xfffe
	s_add_nc_u64 s[40:41], s[18:19], s[40:41]
	s_wait_alu 0xfffe
	s_add_co_u32 s2, s38, s40
	s_cselect_b32 s18, -1, 0
	s_wait_alu 0xfffe
	v_mul_hi_u32 v14, v5, s2
	s_cmp_lg_u32 s18, 0
	v_mad_co_u64_u32 v[9:10], null, v13, s2, 0
	s_add_co_ci_u32 s18, s39, s41
	s_wait_alu 0xfffe
	v_mad_co_u64_u32 v[7:8], null, v5, s18, 0
	v_mad_co_u64_u32 v[11:12], null, v13, s18, 0
	s_delay_alu instid0(VALU_DEP_2) | instskip(SKIP_1) | instid1(VALU_DEP_3)
	v_add_co_u32 v7, vcc_lo, v14, v7
	s_wait_alu 0xfffd
	v_add_co_ci_u32_e64 v8, null, 0, v8, vcc_lo
	s_delay_alu instid0(VALU_DEP_2) | instskip(SKIP_1) | instid1(VALU_DEP_2)
	v_add_co_u32 v7, vcc_lo, v7, v9
	s_wait_alu 0xfffd
	v_add_co_ci_u32_e32 v7, vcc_lo, v8, v10, vcc_lo
	s_wait_alu 0xfffd
	v_add_co_ci_u32_e32 v8, vcc_lo, 0, v12, vcc_lo
	s_delay_alu instid0(VALU_DEP_2) | instskip(SKIP_1) | instid1(VALU_DEP_2)
	v_add_co_u32 v9, vcc_lo, v7, v11
	s_wait_alu 0xfffd
	v_add_co_ci_u32_e64 v10, null, 0, v8, vcc_lo
	s_delay_alu instid0(VALU_DEP_2) | instskip(SKIP_1) | instid1(VALU_DEP_3)
	v_mul_lo_u32 v11, s37, v9
	v_mad_co_u64_u32 v[7:8], null, s36, v9, 0
	v_mul_lo_u32 v12, s36, v10
	s_delay_alu instid0(VALU_DEP_2) | instskip(NEXT) | instid1(VALU_DEP_2)
	v_sub_co_u32 v5, vcc_lo, v5, v7
	v_add3_u32 v8, v8, v12, v11
	s_delay_alu instid0(VALU_DEP_1) | instskip(SKIP_2) | instid1(VALU_DEP_2)
	v_sub_nc_u32_e32 v11, v13, v8
	s_wait_alu 0xfffd
	v_sub_co_ci_u32_e64 v8, null, v13, v8, vcc_lo
	v_subrev_co_ci_u32_e64 v7, null, s37, v11, vcc_lo
	v_add_co_u32 v11, s2, v9, 2
	s_wait_alu 0xf1ff
	v_add_co_ci_u32_e64 v12, null, 0, v10, s2
	v_sub_co_u32 v14, s2, v5, s36
	s_wait_alu 0xf1ff
	v_subrev_co_ci_u32_e64 v7, null, 0, v7, s2
	s_delay_alu instid0(VALU_DEP_2) | instskip(SKIP_2) | instid1(VALU_DEP_3)
	v_cmp_le_u32_e32 vcc_lo, s36, v14
	s_wait_alu 0xfffd
	v_cndmask_b32_e64 v13, 0, -1, vcc_lo
	v_cmp_le_u32_e32 vcc_lo, s37, v7
	s_wait_alu 0xfffd
	v_cndmask_b32_e64 v14, 0, -1, vcc_lo
	;; [unrolled: 3-line block ×4, first 2 shown]
	v_cmp_eq_u32_e32 vcc_lo, s37, v7
	s_wait_alu 0xfffd
	v_cndmask_b32_e32 v7, v14, v13, vcc_lo
	v_add_co_u32 v13, vcc_lo, v9, 1
	s_wait_alu 0xfffd
	v_add_co_ci_u32_e64 v14, null, 0, v10, vcc_lo
	v_cmp_eq_u32_e32 vcc_lo, s37, v8
	s_wait_alu 0xfffd
	v_cndmask_b32_e32 v5, v15, v5, vcc_lo
	v_cmp_ne_u32_e32 vcc_lo, 0, v7
	s_delay_alu instid0(VALU_DEP_2) | instskip(SKIP_4) | instid1(VALU_DEP_2)
	v_cmp_ne_u32_e64 s2, 0, v5
	s_wait_alu 0xfffd
	v_cndmask_b32_e32 v5, v13, v11, vcc_lo
	v_cndmask_b32_e32 v7, v14, v12, vcc_lo
	s_wait_alu 0xf1ff
	v_cndmask_b32_e64 v5, v9, v5, s2
	s_delay_alu instid0(VALU_DEP_2) | instskip(NEXT) | instid1(VALU_DEP_2)
	v_cndmask_b32_e64 v7, v10, v7, s2
	v_xor_b32_e32 v5, v5, v3
	s_delay_alu instid0(VALU_DEP_2) | instskip(NEXT) | instid1(VALU_DEP_2)
	v_xor_b32_e32 v7, v7, v3
	v_sub_co_u32 v8, vcc_lo, v5, v3
	s_wait_alu 0xfffd
	s_delay_alu instid0(VALU_DEP_2)
	v_sub_co_ci_u32_e64 v9, null, v7, v3, vcc_lo
.LBB68_24:                              ;   in Loop: Header=BB68_22 Depth=2
	s_wait_alu 0xfffe
	s_and_not1_saveexec_b32 s2, s25
	s_cbranch_execz .LBB68_26
; %bb.25:                               ;   in Loop: Header=BB68_22 Depth=2
	v_cvt_f32_u32_e32 v3, s28
	s_sub_co_i32 s18, 0, s28
	v_mov_b32_e32 v9, v2
	s_delay_alu instid0(VALU_DEP_2) | instskip(NEXT) | instid1(TRANS32_DEP_1)
	v_rcp_iflag_f32_e32 v3, v3
	v_mul_f32_e32 v3, 0x4f7ffffe, v3
	s_delay_alu instid0(VALU_DEP_1) | instskip(SKIP_1) | instid1(VALU_DEP_1)
	v_cvt_u32_f32_e32 v3, v3
	s_wait_alu 0xfffe
	v_mul_lo_u32 v5, s18, v3
	s_delay_alu instid0(VALU_DEP_1) | instskip(NEXT) | instid1(VALU_DEP_1)
	v_mul_hi_u32 v5, v3, v5
	v_add_nc_u32_e32 v3, v3, v5
	s_delay_alu instid0(VALU_DEP_1) | instskip(NEXT) | instid1(VALU_DEP_1)
	v_mul_hi_u32 v3, v6, v3
	v_mul_lo_u32 v5, v3, s28
	v_add_nc_u32_e32 v7, 1, v3
	s_delay_alu instid0(VALU_DEP_2) | instskip(NEXT) | instid1(VALU_DEP_1)
	v_sub_nc_u32_e32 v5, v6, v5
	v_cmp_le_u32_e32 vcc_lo, s28, v5
	v_subrev_nc_u32_e32 v8, s28, v5
	s_wait_alu 0xfffd
	v_cndmask_b32_e32 v3, v3, v7, vcc_lo
	s_delay_alu instid0(VALU_DEP_1) | instskip(NEXT) | instid1(VALU_DEP_3)
	v_add_nc_u32_e32 v7, 1, v3
	v_cndmask_b32_e32 v5, v5, v8, vcc_lo
	s_delay_alu instid0(VALU_DEP_1) | instskip(SKIP_1) | instid1(VALU_DEP_3)
	v_cmp_le_u32_e32 vcc_lo, s28, v5
	s_wait_alu 0xfffd
	v_cndmask_b32_e32 v8, v3, v7, vcc_lo
.LBB68_26:                              ;   in Loop: Header=BB68_22 Depth=2
	s_wait_alu 0xfffe
	s_or_b32 exec_lo, exec_lo, s2
	s_add_co_i32 s18, s26, 6
	s_add_nc_u64 s[34:35], s[0:1], s[34:35]
	s_wait_alu 0xfffe
	s_lshl_b64 s[36:37], s[18:19], 2
                                        ; implicit-def: $vgpr10_vgpr11
	s_mov_b32 s2, exec_lo
	s_wait_alu 0xfffe
	s_add_nc_u64 s[30:31], s[10:11], s[36:37]
	s_clause 0x1
	s_load_b32 s25, s[34:35], 0x6c
	s_load_b32 s30, s[30:31], 0x8
	s_wait_kmcnt 0x0
	s_ashr_i32 s31, s30, 31
	s_wait_alu 0xfffe
	v_or_b32_e32 v3, s31, v9
	s_delay_alu instid0(VALU_DEP_1)
	v_cmpx_ne_u64_e32 0, v[2:3]
	s_xor_b32 s27, exec_lo, s2
	s_cbranch_execz .LBB68_28
; %bb.27:                               ;   in Loop: Header=BB68_22 Depth=2
	s_ashr_i32 s34, s31, 31
	v_ashrrev_i32_e32 v3, 31, v9
	s_wait_alu 0xfffe
	s_mov_b32 s35, s34
	s_wait_alu 0xfffe
	s_add_nc_u64 s[38:39], s[30:31], s[34:35]
	v_add_co_u32 v5, vcc_lo, v8, v3
	s_wait_alu 0xfffe
	s_xor_b64 s[38:39], s[38:39], s[34:35]
	s_wait_alu 0xfffd
	v_add_co_ci_u32_e64 v7, null, v9, v3, vcc_lo
	s_wait_alu 0xfffe
	s_cvt_f32_u32 s2, s38
	s_cvt_f32_u32 s18, s39
	s_sub_nc_u64 s[42:43], 0, s[38:39]
	v_xor_b32_e32 v5, v5, v3
	v_xor_b32_e32 v7, v7, v3
	s_wait_alu 0xfffe
	s_fmamk_f32 s2, s18, 0x4f800000, s2
	v_xor_b32_e32 v3, s34, v3
	s_wait_alu 0xfffe
	s_delay_alu instid0(SALU_CYCLE_1) | instskip(NEXT) | instid1(TRANS32_DEP_1)
	v_s_rcp_f32 s2, s2
	s_mul_f32 s2, s2, 0x5f7ffffc
	s_wait_alu 0xfffe
	s_delay_alu instid0(SALU_CYCLE_2) | instskip(SKIP_1) | instid1(SALU_CYCLE_2)
	s_mul_f32 s18, s2, 0x2f800000
	s_wait_alu 0xfffe
	s_trunc_f32 s18, s18
	s_wait_alu 0xfffe
	s_delay_alu instid0(SALU_CYCLE_2) | instskip(SKIP_2) | instid1(SALU_CYCLE_1)
	s_fmamk_f32 s2, s18, 0xcf800000, s2
	s_cvt_u32_f32 s41, s18
	s_wait_alu 0xfffe
	s_cvt_u32_f32 s40, s2
	s_wait_alu 0xfffe
	s_delay_alu instid0(SALU_CYCLE_2)
	s_mul_u64 s[44:45], s[42:43], s[40:41]
	s_wait_alu 0xfffe
	s_mul_hi_u32 s47, s40, s45
	s_mul_i32 s46, s40, s45
	s_mul_hi_u32 s18, s40, s44
	s_mul_i32 s29, s41, s44
	s_wait_alu 0xfffe
	s_add_nc_u64 s[46:47], s[18:19], s[46:47]
	s_mul_hi_u32 s2, s41, s44
	s_mul_hi_u32 s31, s41, s45
	s_wait_alu 0xfffe
	s_add_co_u32 s18, s46, s29
	s_add_co_ci_u32 s18, s47, s2
	s_mul_i32 s44, s41, s45
	s_add_co_ci_u32 s45, s31, 0
	s_wait_alu 0xfffe
	s_add_nc_u64 s[44:45], s[18:19], s[44:45]
	s_wait_alu 0xfffe
	s_add_co_u32 s40, s40, s44
	s_cselect_b32 s2, -1, 0
	s_wait_alu 0xfffe
	s_cmp_lg_u32 s2, 0
	s_add_co_ci_u32 s41, s41, s45
	s_wait_alu 0xfffe
	s_mul_u64 s[42:43], s[42:43], s[40:41]
	s_wait_alu 0xfffe
	s_mul_hi_u32 s45, s40, s43
	s_mul_i32 s44, s40, s43
	s_mul_hi_u32 s18, s40, s42
	s_mul_i32 s29, s41, s42
	s_wait_alu 0xfffe
	s_add_nc_u64 s[44:45], s[18:19], s[44:45]
	s_mul_hi_u32 s2, s41, s42
	s_mul_hi_u32 s31, s41, s43
	s_wait_alu 0xfffe
	s_add_co_u32 s18, s44, s29
	s_add_co_ci_u32 s18, s45, s2
	s_mul_i32 s42, s41, s43
	s_add_co_ci_u32 s43, s31, 0
	s_wait_alu 0xfffe
	s_add_nc_u64 s[42:43], s[18:19], s[42:43]
	s_wait_alu 0xfffe
	s_add_co_u32 s2, s40, s42
	s_cselect_b32 s18, -1, 0
	s_wait_alu 0xfffe
	v_mul_hi_u32 v15, v5, s2
	s_cmp_lg_u32 s18, 0
	v_mad_co_u64_u32 v[11:12], null, v7, s2, 0
	s_add_co_ci_u32 s18, s41, s43
	s_wait_alu 0xfffe
	v_mad_co_u64_u32 v[9:10], null, v5, s18, 0
	v_mad_co_u64_u32 v[13:14], null, v7, s18, 0
	s_delay_alu instid0(VALU_DEP_2) | instskip(SKIP_1) | instid1(VALU_DEP_3)
	v_add_co_u32 v9, vcc_lo, v15, v9
	s_wait_alu 0xfffd
	v_add_co_ci_u32_e64 v10, null, 0, v10, vcc_lo
	s_delay_alu instid0(VALU_DEP_2) | instskip(SKIP_1) | instid1(VALU_DEP_2)
	v_add_co_u32 v9, vcc_lo, v9, v11
	s_wait_alu 0xfffd
	v_add_co_ci_u32_e32 v9, vcc_lo, v10, v12, vcc_lo
	s_wait_alu 0xfffd
	v_add_co_ci_u32_e32 v10, vcc_lo, 0, v14, vcc_lo
	s_delay_alu instid0(VALU_DEP_2) | instskip(SKIP_1) | instid1(VALU_DEP_2)
	v_add_co_u32 v11, vcc_lo, v9, v13
	s_wait_alu 0xfffd
	v_add_co_ci_u32_e64 v12, null, 0, v10, vcc_lo
	s_delay_alu instid0(VALU_DEP_2) | instskip(SKIP_1) | instid1(VALU_DEP_3)
	v_mul_lo_u32 v13, s39, v11
	v_mad_co_u64_u32 v[9:10], null, s38, v11, 0
	v_mul_lo_u32 v14, s38, v12
	s_delay_alu instid0(VALU_DEP_2) | instskip(NEXT) | instid1(VALU_DEP_2)
	v_sub_co_u32 v5, vcc_lo, v5, v9
	v_add3_u32 v10, v10, v14, v13
	s_delay_alu instid0(VALU_DEP_1) | instskip(SKIP_2) | instid1(VALU_DEP_2)
	v_sub_nc_u32_e32 v13, v7, v10
	s_wait_alu 0xfffd
	v_sub_co_ci_u32_e64 v7, null, v7, v10, vcc_lo
	v_subrev_co_ci_u32_e64 v9, null, s39, v13, vcc_lo
	v_add_co_u32 v13, s2, v11, 2
	s_wait_alu 0xf1ff
	v_add_co_ci_u32_e64 v14, null, 0, v12, s2
	v_sub_co_u32 v15, s2, v5, s38
	s_wait_alu 0xf1ff
	v_subrev_co_ci_u32_e64 v9, null, 0, v9, s2
	s_delay_alu instid0(VALU_DEP_2) | instskip(SKIP_2) | instid1(VALU_DEP_3)
	v_cmp_le_u32_e32 vcc_lo, s38, v15
	s_wait_alu 0xfffd
	v_cndmask_b32_e64 v10, 0, -1, vcc_lo
	v_cmp_le_u32_e32 vcc_lo, s39, v9
	s_wait_alu 0xfffd
	v_cndmask_b32_e64 v15, 0, -1, vcc_lo
	v_cmp_le_u32_e32 vcc_lo, s38, v5
	s_wait_alu 0xfffd
	v_cndmask_b32_e64 v5, 0, -1, vcc_lo
	v_cmp_le_u32_e32 vcc_lo, s39, v7
	s_wait_alu 0xfffd
	v_cndmask_b32_e64 v16, 0, -1, vcc_lo
	v_cmp_eq_u32_e32 vcc_lo, s39, v9
	s_wait_alu 0xfffd
	v_cndmask_b32_e32 v9, v15, v10, vcc_lo
	v_add_co_u32 v10, vcc_lo, v11, 1
	s_wait_alu 0xfffd
	v_add_co_ci_u32_e64 v15, null, 0, v12, vcc_lo
	v_cmp_eq_u32_e32 vcc_lo, s39, v7
	s_wait_alu 0xfffd
	v_cndmask_b32_e32 v5, v16, v5, vcc_lo
	v_cmp_ne_u32_e32 vcc_lo, 0, v9
	s_delay_alu instid0(VALU_DEP_2) | instskip(SKIP_4) | instid1(VALU_DEP_2)
	v_cmp_ne_u32_e64 s2, 0, v5
	s_wait_alu 0xfffd
	v_cndmask_b32_e32 v5, v10, v13, vcc_lo
	v_cndmask_b32_e32 v7, v15, v14, vcc_lo
	s_wait_alu 0xf1ff
	v_cndmask_b32_e64 v5, v11, v5, s2
	s_delay_alu instid0(VALU_DEP_2) | instskip(NEXT) | instid1(VALU_DEP_2)
	v_cndmask_b32_e64 v7, v12, v7, s2
	v_xor_b32_e32 v5, v5, v3
	s_delay_alu instid0(VALU_DEP_2) | instskip(NEXT) | instid1(VALU_DEP_2)
	v_xor_b32_e32 v7, v7, v3
	v_sub_co_u32 v10, vcc_lo, v5, v3
	s_wait_alu 0xfffd
	s_delay_alu instid0(VALU_DEP_2)
	v_sub_co_ci_u32_e64 v11, null, v7, v3, vcc_lo
.LBB68_28:                              ;   in Loop: Header=BB68_22 Depth=2
	s_wait_alu 0xfffe
	s_and_not1_saveexec_b32 s2, s27
	s_cbranch_execz .LBB68_30
; %bb.29:                               ;   in Loop: Header=BB68_22 Depth=2
	v_cvt_f32_u32_e32 v3, s30
	s_sub_co_i32 s18, 0, s30
	v_mov_b32_e32 v11, v2
	s_delay_alu instid0(VALU_DEP_2) | instskip(NEXT) | instid1(TRANS32_DEP_1)
	v_rcp_iflag_f32_e32 v3, v3
	v_mul_f32_e32 v3, 0x4f7ffffe, v3
	s_delay_alu instid0(VALU_DEP_1) | instskip(SKIP_1) | instid1(VALU_DEP_1)
	v_cvt_u32_f32_e32 v3, v3
	s_wait_alu 0xfffe
	v_mul_lo_u32 v5, s18, v3
	s_delay_alu instid0(VALU_DEP_1) | instskip(NEXT) | instid1(VALU_DEP_1)
	v_mul_hi_u32 v5, v3, v5
	v_add_nc_u32_e32 v3, v3, v5
	s_delay_alu instid0(VALU_DEP_1) | instskip(NEXT) | instid1(VALU_DEP_1)
	v_mul_hi_u32 v3, v8, v3
	v_mul_lo_u32 v5, v3, s30
	v_add_nc_u32_e32 v7, 1, v3
	s_delay_alu instid0(VALU_DEP_2) | instskip(NEXT) | instid1(VALU_DEP_1)
	v_sub_nc_u32_e32 v5, v8, v5
	v_cmp_le_u32_e32 vcc_lo, s30, v5
	v_subrev_nc_u32_e32 v9, s30, v5
	s_wait_alu 0xfffd
	v_cndmask_b32_e32 v3, v3, v7, vcc_lo
	s_delay_alu instid0(VALU_DEP_1) | instskip(NEXT) | instid1(VALU_DEP_3)
	v_add_nc_u32_e32 v7, 1, v3
	v_cndmask_b32_e32 v5, v5, v9, vcc_lo
	s_delay_alu instid0(VALU_DEP_1) | instskip(SKIP_1) | instid1(VALU_DEP_3)
	v_cmp_le_u32_e32 vcc_lo, s30, v5
	s_wait_alu 0xfffd
	v_cndmask_b32_e32 v10, v3, v7, vcc_lo
.LBB68_30:                              ;   in Loop: Header=BB68_22 Depth=2
	s_wait_alu 0xfffe
	s_or_b32 exec_lo, exec_lo, s2
	s_add_co_i32 s18, s26, 5
	s_add_nc_u64 s[36:37], s[0:1], s[36:37]
	s_wait_alu 0xfffe
	s_lshl_b64 s[38:39], s[18:19], 2
                                        ; implicit-def: $vgpr12_vgpr13
	s_mov_b32 s2, exec_lo
	s_wait_alu 0xfffe
	s_add_nc_u64 s[34:35], s[10:11], s[38:39]
	s_clause 0x1
	s_load_b32 s29, s[36:37], 0x6c
	s_load_b32 s34, s[34:35], 0x8
	s_wait_kmcnt 0x0
	s_ashr_i32 s35, s34, 31
	s_wait_alu 0xfffe
	v_or_b32_e32 v3, s35, v11
	s_delay_alu instid0(VALU_DEP_1)
	v_cmpx_ne_u64_e32 0, v[2:3]
	s_xor_b32 s27, exec_lo, s2
	s_cbranch_execz .LBB68_32
; %bb.31:                               ;   in Loop: Header=BB68_22 Depth=2
	s_ashr_i32 s36, s35, 31
	v_ashrrev_i32_e32 v3, 31, v11
	s_wait_alu 0xfffe
	s_mov_b32 s37, s36
	s_wait_alu 0xfffe
	s_add_nc_u64 s[40:41], s[34:35], s[36:37]
	v_add_co_u32 v5, vcc_lo, v10, v3
	s_wait_alu 0xfffe
	s_xor_b64 s[40:41], s[40:41], s[36:37]
	s_wait_alu 0xfffd
	v_add_co_ci_u32_e64 v7, null, v11, v3, vcc_lo
	s_wait_alu 0xfffe
	s_cvt_f32_u32 s2, s40
	s_cvt_f32_u32 s18, s41
	s_sub_nc_u64 s[44:45], 0, s[40:41]
	v_xor_b32_e32 v5, v5, v3
	v_xor_b32_e32 v7, v7, v3
	s_wait_alu 0xfffe
	s_fmamk_f32 s2, s18, 0x4f800000, s2
	v_xor_b32_e32 v3, s36, v3
	s_wait_alu 0xfffe
	s_delay_alu instid0(SALU_CYCLE_1) | instskip(NEXT) | instid1(TRANS32_DEP_1)
	v_s_rcp_f32 s2, s2
	s_mul_f32 s2, s2, 0x5f7ffffc
	s_wait_alu 0xfffe
	s_delay_alu instid0(SALU_CYCLE_2) | instskip(SKIP_1) | instid1(SALU_CYCLE_2)
	s_mul_f32 s18, s2, 0x2f800000
	s_wait_alu 0xfffe
	s_trunc_f32 s18, s18
	s_wait_alu 0xfffe
	s_delay_alu instid0(SALU_CYCLE_2) | instskip(SKIP_2) | instid1(SALU_CYCLE_1)
	s_fmamk_f32 s2, s18, 0xcf800000, s2
	s_cvt_u32_f32 s43, s18
	s_wait_alu 0xfffe
	s_cvt_u32_f32 s42, s2
	s_wait_alu 0xfffe
	s_delay_alu instid0(SALU_CYCLE_2)
	s_mul_u64 s[46:47], s[44:45], s[42:43]
	s_wait_alu 0xfffe
	s_mul_hi_u32 s49, s42, s47
	s_mul_i32 s48, s42, s47
	s_mul_hi_u32 s18, s42, s46
	s_mul_i32 s31, s43, s46
	s_wait_alu 0xfffe
	s_add_nc_u64 s[48:49], s[18:19], s[48:49]
	s_mul_hi_u32 s2, s43, s46
	s_mul_hi_u32 s35, s43, s47
	s_wait_alu 0xfffe
	s_add_co_u32 s18, s48, s31
	s_add_co_ci_u32 s18, s49, s2
	s_mul_i32 s46, s43, s47
	s_add_co_ci_u32 s47, s35, 0
	s_wait_alu 0xfffe
	s_add_nc_u64 s[46:47], s[18:19], s[46:47]
	s_wait_alu 0xfffe
	s_add_co_u32 s42, s42, s46
	s_cselect_b32 s2, -1, 0
	s_wait_alu 0xfffe
	s_cmp_lg_u32 s2, 0
	s_add_co_ci_u32 s43, s43, s47
	s_wait_alu 0xfffe
	s_mul_u64 s[44:45], s[44:45], s[42:43]
	s_wait_alu 0xfffe
	s_mul_hi_u32 s47, s42, s45
	s_mul_i32 s46, s42, s45
	s_mul_hi_u32 s18, s42, s44
	s_mul_i32 s31, s43, s44
	s_wait_alu 0xfffe
	s_add_nc_u64 s[46:47], s[18:19], s[46:47]
	s_mul_hi_u32 s2, s43, s44
	s_mul_hi_u32 s35, s43, s45
	s_wait_alu 0xfffe
	s_add_co_u32 s18, s46, s31
	s_add_co_ci_u32 s18, s47, s2
	s_mul_i32 s44, s43, s45
	s_add_co_ci_u32 s45, s35, 0
	s_wait_alu 0xfffe
	s_add_nc_u64 s[44:45], s[18:19], s[44:45]
	s_wait_alu 0xfffe
	s_add_co_u32 s2, s42, s44
	s_cselect_b32 s18, -1, 0
	s_wait_alu 0xfffe
	v_mul_hi_u32 v9, v5, s2
	s_cmp_lg_u32 s18, 0
	v_mad_co_u64_u32 v[13:14], null, v7, s2, 0
	s_add_co_ci_u32 s18, s43, s45
	s_wait_alu 0xfffe
	v_mad_co_u64_u32 v[11:12], null, v5, s18, 0
	v_mad_co_u64_u32 v[15:16], null, v7, s18, 0
	s_delay_alu instid0(VALU_DEP_2) | instskip(SKIP_1) | instid1(VALU_DEP_3)
	v_add_co_u32 v9, vcc_lo, v9, v11
	s_wait_alu 0xfffd
	v_add_co_ci_u32_e64 v11, null, 0, v12, vcc_lo
	s_delay_alu instid0(VALU_DEP_2) | instskip(SKIP_1) | instid1(VALU_DEP_2)
	v_add_co_u32 v9, vcc_lo, v9, v13
	s_wait_alu 0xfffd
	v_add_co_ci_u32_e32 v9, vcc_lo, v11, v14, vcc_lo
	s_wait_alu 0xfffd
	v_add_co_ci_u32_e32 v11, vcc_lo, 0, v16, vcc_lo
	s_delay_alu instid0(VALU_DEP_2) | instskip(SKIP_1) | instid1(VALU_DEP_2)
	v_add_co_u32 v9, vcc_lo, v9, v15
	s_wait_alu 0xfffd
	v_add_co_ci_u32_e64 v13, null, 0, v11, vcc_lo
	s_delay_alu instid0(VALU_DEP_2) | instskip(SKIP_1) | instid1(VALU_DEP_3)
	v_mul_lo_u32 v14, s41, v9
	v_mad_co_u64_u32 v[11:12], null, s40, v9, 0
	v_mul_lo_u32 v15, s40, v13
	s_delay_alu instid0(VALU_DEP_2) | instskip(NEXT) | instid1(VALU_DEP_2)
	v_sub_co_u32 v5, vcc_lo, v5, v11
	v_add3_u32 v12, v12, v15, v14
	s_delay_alu instid0(VALU_DEP_1) | instskip(SKIP_2) | instid1(VALU_DEP_2)
	v_sub_nc_u32_e32 v14, v7, v12
	s_wait_alu 0xfffd
	v_sub_co_ci_u32_e64 v7, null, v7, v12, vcc_lo
	v_subrev_co_ci_u32_e64 v11, null, s41, v14, vcc_lo
	v_add_co_u32 v14, s2, v9, 2
	s_wait_alu 0xf1ff
	v_add_co_ci_u32_e64 v15, null, 0, v13, s2
	v_sub_co_u32 v16, s2, v5, s40
	s_wait_alu 0xf1ff
	v_subrev_co_ci_u32_e64 v11, null, 0, v11, s2
	s_delay_alu instid0(VALU_DEP_2) | instskip(SKIP_2) | instid1(VALU_DEP_3)
	v_cmp_le_u32_e32 vcc_lo, s40, v16
	s_wait_alu 0xfffd
	v_cndmask_b32_e64 v12, 0, -1, vcc_lo
	v_cmp_le_u32_e32 vcc_lo, s41, v11
	s_wait_alu 0xfffd
	v_cndmask_b32_e64 v16, 0, -1, vcc_lo
	;; [unrolled: 3-line block ×4, first 2 shown]
	v_cmp_eq_u32_e32 vcc_lo, s41, v11
	s_wait_alu 0xfffd
	v_cndmask_b32_e32 v11, v16, v12, vcc_lo
	v_add_co_u32 v12, vcc_lo, v9, 1
	s_wait_alu 0xfffd
	v_add_co_ci_u32_e64 v16, null, 0, v13, vcc_lo
	v_cmp_eq_u32_e32 vcc_lo, s41, v7
	s_wait_alu 0xfffd
	v_cndmask_b32_e32 v5, v17, v5, vcc_lo
	v_cmp_ne_u32_e32 vcc_lo, 0, v11
	s_delay_alu instid0(VALU_DEP_2) | instskip(SKIP_4) | instid1(VALU_DEP_2)
	v_cmp_ne_u32_e64 s2, 0, v5
	s_wait_alu 0xfffd
	v_cndmask_b32_e32 v5, v12, v14, vcc_lo
	v_cndmask_b32_e32 v7, v16, v15, vcc_lo
	s_wait_alu 0xf1ff
	v_cndmask_b32_e64 v5, v9, v5, s2
	s_delay_alu instid0(VALU_DEP_2) | instskip(NEXT) | instid1(VALU_DEP_2)
	v_cndmask_b32_e64 v7, v13, v7, s2
	v_xor_b32_e32 v5, v5, v3
	s_delay_alu instid0(VALU_DEP_2) | instskip(NEXT) | instid1(VALU_DEP_2)
	v_xor_b32_e32 v7, v7, v3
	v_sub_co_u32 v12, vcc_lo, v5, v3
	s_wait_alu 0xfffd
	s_delay_alu instid0(VALU_DEP_2)
	v_sub_co_ci_u32_e64 v13, null, v7, v3, vcc_lo
.LBB68_32:                              ;   in Loop: Header=BB68_22 Depth=2
	s_wait_alu 0xfffe
	s_and_not1_saveexec_b32 s2, s27
	s_cbranch_execz .LBB68_34
; %bb.33:                               ;   in Loop: Header=BB68_22 Depth=2
	v_cvt_f32_u32_e32 v3, s34
	s_sub_co_i32 s18, 0, s34
	v_mov_b32_e32 v13, v2
	s_delay_alu instid0(VALU_DEP_2) | instskip(NEXT) | instid1(TRANS32_DEP_1)
	v_rcp_iflag_f32_e32 v3, v3
	v_mul_f32_e32 v3, 0x4f7ffffe, v3
	s_delay_alu instid0(VALU_DEP_1) | instskip(SKIP_1) | instid1(VALU_DEP_1)
	v_cvt_u32_f32_e32 v3, v3
	s_wait_alu 0xfffe
	v_mul_lo_u32 v5, s18, v3
	s_delay_alu instid0(VALU_DEP_1) | instskip(NEXT) | instid1(VALU_DEP_1)
	v_mul_hi_u32 v5, v3, v5
	v_add_nc_u32_e32 v3, v3, v5
	s_delay_alu instid0(VALU_DEP_1) | instskip(NEXT) | instid1(VALU_DEP_1)
	v_mul_hi_u32 v3, v10, v3
	v_mul_lo_u32 v5, v3, s34
	v_add_nc_u32_e32 v7, 1, v3
	s_delay_alu instid0(VALU_DEP_2) | instskip(NEXT) | instid1(VALU_DEP_1)
	v_sub_nc_u32_e32 v5, v10, v5
	v_cmp_le_u32_e32 vcc_lo, s34, v5
	v_subrev_nc_u32_e32 v9, s34, v5
	s_wait_alu 0xfffd
	v_cndmask_b32_e32 v3, v3, v7, vcc_lo
	s_delay_alu instid0(VALU_DEP_1) | instskip(NEXT) | instid1(VALU_DEP_3)
	v_add_nc_u32_e32 v7, 1, v3
	v_cndmask_b32_e32 v5, v5, v9, vcc_lo
	s_delay_alu instid0(VALU_DEP_1) | instskip(SKIP_1) | instid1(VALU_DEP_3)
	v_cmp_le_u32_e32 vcc_lo, s34, v5
	s_wait_alu 0xfffd
	v_cndmask_b32_e32 v12, v3, v7, vcc_lo
.LBB68_34:                              ;   in Loop: Header=BB68_22 Depth=2
	s_wait_alu 0xfffe
	s_or_b32 exec_lo, exec_lo, s2
	s_add_co_i32 s18, s26, 4
	s_add_nc_u64 s[38:39], s[0:1], s[38:39]
	s_wait_alu 0xfffe
	s_lshl_b64 s[40:41], s[18:19], 2
                                        ; implicit-def: $vgpr14_vgpr15
	s_mov_b32 s2, exec_lo
	s_wait_alu 0xfffe
	s_add_nc_u64 s[36:37], s[10:11], s[40:41]
	s_clause 0x1
	s_load_b32 s31, s[38:39], 0x6c
	s_load_b32 s36, s[36:37], 0x8
	s_wait_kmcnt 0x0
	s_ashr_i32 s37, s36, 31
	s_wait_alu 0xfffe
	v_or_b32_e32 v3, s37, v13
	s_delay_alu instid0(VALU_DEP_1)
	v_cmpx_ne_u64_e32 0, v[2:3]
	s_xor_b32 s27, exec_lo, s2
	s_cbranch_execz .LBB68_36
; %bb.35:                               ;   in Loop: Header=BB68_22 Depth=2
	s_ashr_i32 s38, s37, 31
	v_ashrrev_i32_e32 v3, 31, v13
	s_wait_alu 0xfffe
	s_mov_b32 s39, s38
	s_wait_alu 0xfffe
	s_add_nc_u64 s[42:43], s[36:37], s[38:39]
	v_add_co_u32 v5, vcc_lo, v12, v3
	s_wait_alu 0xfffe
	s_xor_b64 s[42:43], s[42:43], s[38:39]
	s_wait_alu 0xfffd
	v_add_co_ci_u32_e64 v7, null, v13, v3, vcc_lo
	s_wait_alu 0xfffe
	s_cvt_f32_u32 s2, s42
	s_cvt_f32_u32 s18, s43
	s_sub_nc_u64 s[46:47], 0, s[42:43]
	v_xor_b32_e32 v5, v5, v3
	v_xor_b32_e32 v7, v7, v3
	s_wait_alu 0xfffe
	s_fmamk_f32 s2, s18, 0x4f800000, s2
	v_xor_b32_e32 v3, s38, v3
	s_wait_alu 0xfffe
	s_delay_alu instid0(SALU_CYCLE_1) | instskip(NEXT) | instid1(TRANS32_DEP_1)
	v_s_rcp_f32 s2, s2
	s_mul_f32 s2, s2, 0x5f7ffffc
	s_wait_alu 0xfffe
	s_delay_alu instid0(SALU_CYCLE_2) | instskip(SKIP_1) | instid1(SALU_CYCLE_2)
	s_mul_f32 s18, s2, 0x2f800000
	s_wait_alu 0xfffe
	s_trunc_f32 s18, s18
	s_wait_alu 0xfffe
	s_delay_alu instid0(SALU_CYCLE_2) | instskip(SKIP_2) | instid1(SALU_CYCLE_1)
	s_fmamk_f32 s2, s18, 0xcf800000, s2
	s_cvt_u32_f32 s45, s18
	s_wait_alu 0xfffe
	s_cvt_u32_f32 s44, s2
	s_wait_alu 0xfffe
	s_delay_alu instid0(SALU_CYCLE_2)
	s_mul_u64 s[48:49], s[46:47], s[44:45]
	s_wait_alu 0xfffe
	s_mul_hi_u32 s51, s44, s49
	s_mul_i32 s50, s44, s49
	s_mul_hi_u32 s18, s44, s48
	s_mul_i32 s35, s45, s48
	s_wait_alu 0xfffe
	s_add_nc_u64 s[50:51], s[18:19], s[50:51]
	s_mul_hi_u32 s2, s45, s48
	s_mul_hi_u32 s37, s45, s49
	s_wait_alu 0xfffe
	s_add_co_u32 s18, s50, s35
	s_add_co_ci_u32 s18, s51, s2
	s_mul_i32 s48, s45, s49
	s_add_co_ci_u32 s49, s37, 0
	s_wait_alu 0xfffe
	s_add_nc_u64 s[48:49], s[18:19], s[48:49]
	s_wait_alu 0xfffe
	s_add_co_u32 s44, s44, s48
	s_cselect_b32 s2, -1, 0
	s_wait_alu 0xfffe
	s_cmp_lg_u32 s2, 0
	s_add_co_ci_u32 s45, s45, s49
	s_wait_alu 0xfffe
	s_mul_u64 s[46:47], s[46:47], s[44:45]
	s_wait_alu 0xfffe
	s_mul_hi_u32 s49, s44, s47
	s_mul_i32 s48, s44, s47
	s_mul_hi_u32 s18, s44, s46
	s_mul_i32 s35, s45, s46
	s_wait_alu 0xfffe
	s_add_nc_u64 s[48:49], s[18:19], s[48:49]
	s_mul_hi_u32 s2, s45, s46
	s_mul_hi_u32 s37, s45, s47
	s_wait_alu 0xfffe
	s_add_co_u32 s18, s48, s35
	s_add_co_ci_u32 s18, s49, s2
	s_mul_i32 s46, s45, s47
	s_add_co_ci_u32 s47, s37, 0
	s_wait_alu 0xfffe
	s_add_nc_u64 s[46:47], s[18:19], s[46:47]
	s_wait_alu 0xfffe
	s_add_co_u32 s2, s44, s46
	s_cselect_b32 s18, -1, 0
	s_wait_alu 0xfffe
	v_mul_hi_u32 v9, v5, s2
	s_cmp_lg_u32 s18, 0
	v_mad_co_u64_u32 v[15:16], null, v7, s2, 0
	s_add_co_ci_u32 s18, s45, s47
	s_wait_alu 0xfffe
	v_mad_co_u64_u32 v[13:14], null, v5, s18, 0
	v_mad_co_u64_u32 v[17:18], null, v7, s18, 0
	s_delay_alu instid0(VALU_DEP_2) | instskip(SKIP_1) | instid1(VALU_DEP_3)
	v_add_co_u32 v9, vcc_lo, v9, v13
	s_wait_alu 0xfffd
	v_add_co_ci_u32_e64 v11, null, 0, v14, vcc_lo
	s_delay_alu instid0(VALU_DEP_2) | instskip(SKIP_1) | instid1(VALU_DEP_2)
	v_add_co_u32 v9, vcc_lo, v9, v15
	s_wait_alu 0xfffd
	v_add_co_ci_u32_e32 v9, vcc_lo, v11, v16, vcc_lo
	s_wait_alu 0xfffd
	v_add_co_ci_u32_e32 v11, vcc_lo, 0, v18, vcc_lo
	s_delay_alu instid0(VALU_DEP_2) | instskip(SKIP_1) | instid1(VALU_DEP_2)
	v_add_co_u32 v9, vcc_lo, v9, v17
	s_wait_alu 0xfffd
	v_add_co_ci_u32_e64 v11, null, 0, v11, vcc_lo
	s_delay_alu instid0(VALU_DEP_2) | instskip(SKIP_1) | instid1(VALU_DEP_3)
	v_mul_lo_u32 v15, s43, v9
	v_mad_co_u64_u32 v[13:14], null, s42, v9, 0
	v_mul_lo_u32 v16, s42, v11
	s_delay_alu instid0(VALU_DEP_2) | instskip(NEXT) | instid1(VALU_DEP_2)
	v_sub_co_u32 v5, vcc_lo, v5, v13
	v_add3_u32 v14, v14, v16, v15
	s_delay_alu instid0(VALU_DEP_1) | instskip(SKIP_2) | instid1(VALU_DEP_2)
	v_sub_nc_u32_e32 v15, v7, v14
	s_wait_alu 0xfffd
	v_sub_co_ci_u32_e64 v7, null, v7, v14, vcc_lo
	v_subrev_co_ci_u32_e64 v13, null, s43, v15, vcc_lo
	v_add_co_u32 v15, s2, v9, 2
	s_wait_alu 0xf1ff
	v_add_co_ci_u32_e64 v16, null, 0, v11, s2
	v_sub_co_u32 v17, s2, v5, s42
	s_wait_alu 0xf1ff
	v_subrev_co_ci_u32_e64 v13, null, 0, v13, s2
	s_delay_alu instid0(VALU_DEP_2) | instskip(SKIP_2) | instid1(VALU_DEP_3)
	v_cmp_le_u32_e32 vcc_lo, s42, v17
	s_wait_alu 0xfffd
	v_cndmask_b32_e64 v14, 0, -1, vcc_lo
	v_cmp_le_u32_e32 vcc_lo, s43, v13
	s_wait_alu 0xfffd
	v_cndmask_b32_e64 v17, 0, -1, vcc_lo
	;; [unrolled: 3-line block ×4, first 2 shown]
	v_cmp_eq_u32_e32 vcc_lo, s43, v13
	s_wait_alu 0xfffd
	v_cndmask_b32_e32 v13, v17, v14, vcc_lo
	v_add_co_u32 v14, vcc_lo, v9, 1
	s_wait_alu 0xfffd
	v_add_co_ci_u32_e64 v17, null, 0, v11, vcc_lo
	v_cmp_eq_u32_e32 vcc_lo, s43, v7
	s_wait_alu 0xfffd
	v_cndmask_b32_e32 v5, v18, v5, vcc_lo
	v_cmp_ne_u32_e32 vcc_lo, 0, v13
	s_delay_alu instid0(VALU_DEP_2) | instskip(SKIP_4) | instid1(VALU_DEP_2)
	v_cmp_ne_u32_e64 s2, 0, v5
	s_wait_alu 0xfffd
	v_cndmask_b32_e32 v5, v14, v15, vcc_lo
	v_cndmask_b32_e32 v7, v17, v16, vcc_lo
	s_wait_alu 0xf1ff
	v_cndmask_b32_e64 v5, v9, v5, s2
	s_delay_alu instid0(VALU_DEP_2) | instskip(NEXT) | instid1(VALU_DEP_2)
	v_cndmask_b32_e64 v7, v11, v7, s2
	v_xor_b32_e32 v5, v5, v3
	s_delay_alu instid0(VALU_DEP_2) | instskip(NEXT) | instid1(VALU_DEP_2)
	v_xor_b32_e32 v7, v7, v3
	v_sub_co_u32 v14, vcc_lo, v5, v3
	s_wait_alu 0xfffd
	s_delay_alu instid0(VALU_DEP_2)
	v_sub_co_ci_u32_e64 v15, null, v7, v3, vcc_lo
.LBB68_36:                              ;   in Loop: Header=BB68_22 Depth=2
	s_wait_alu 0xfffe
	s_and_not1_saveexec_b32 s2, s27
	s_cbranch_execz .LBB68_38
; %bb.37:                               ;   in Loop: Header=BB68_22 Depth=2
	v_cvt_f32_u32_e32 v3, s36
	s_sub_co_i32 s18, 0, s36
	v_mov_b32_e32 v15, v2
	s_delay_alu instid0(VALU_DEP_2) | instskip(NEXT) | instid1(TRANS32_DEP_1)
	v_rcp_iflag_f32_e32 v3, v3
	v_mul_f32_e32 v3, 0x4f7ffffe, v3
	s_delay_alu instid0(VALU_DEP_1) | instskip(SKIP_1) | instid1(VALU_DEP_1)
	v_cvt_u32_f32_e32 v3, v3
	s_wait_alu 0xfffe
	v_mul_lo_u32 v5, s18, v3
	s_delay_alu instid0(VALU_DEP_1) | instskip(NEXT) | instid1(VALU_DEP_1)
	v_mul_hi_u32 v5, v3, v5
	v_add_nc_u32_e32 v3, v3, v5
	s_delay_alu instid0(VALU_DEP_1) | instskip(NEXT) | instid1(VALU_DEP_1)
	v_mul_hi_u32 v3, v12, v3
	v_mul_lo_u32 v5, v3, s36
	v_add_nc_u32_e32 v7, 1, v3
	s_delay_alu instid0(VALU_DEP_2) | instskip(NEXT) | instid1(VALU_DEP_1)
	v_sub_nc_u32_e32 v5, v12, v5
	v_cmp_le_u32_e32 vcc_lo, s36, v5
	v_subrev_nc_u32_e32 v9, s36, v5
	s_wait_alu 0xfffd
	v_cndmask_b32_e32 v3, v3, v7, vcc_lo
	s_delay_alu instid0(VALU_DEP_1) | instskip(NEXT) | instid1(VALU_DEP_3)
	v_add_nc_u32_e32 v7, 1, v3
	v_cndmask_b32_e32 v5, v5, v9, vcc_lo
	s_delay_alu instid0(VALU_DEP_1) | instskip(SKIP_1) | instid1(VALU_DEP_3)
	v_cmp_le_u32_e32 vcc_lo, s36, v5
	s_wait_alu 0xfffd
	v_cndmask_b32_e32 v14, v3, v7, vcc_lo
.LBB68_38:                              ;   in Loop: Header=BB68_22 Depth=2
	s_wait_alu 0xfffe
	s_or_b32 exec_lo, exec_lo, s2
	s_add_co_i32 s18, s26, 3
	s_add_nc_u64 s[40:41], s[0:1], s[40:41]
	s_wait_alu 0xfffe
	s_lshl_b64 s[42:43], s[18:19], 2
                                        ; implicit-def: $vgpr16_vgpr17
	s_mov_b32 s2, exec_lo
	s_wait_alu 0xfffe
	s_add_nc_u64 s[38:39], s[10:11], s[42:43]
	s_clause 0x1
	s_load_b32 s35, s[40:41], 0x6c
	s_load_b32 s38, s[38:39], 0x8
	s_wait_kmcnt 0x0
	s_ashr_i32 s39, s38, 31
	s_wait_alu 0xfffe
	v_or_b32_e32 v3, s39, v15
	s_delay_alu instid0(VALU_DEP_1)
	v_cmpx_ne_u64_e32 0, v[2:3]
	s_xor_b32 s27, exec_lo, s2
	s_cbranch_execz .LBB68_40
; %bb.39:                               ;   in Loop: Header=BB68_22 Depth=2
	s_ashr_i32 s40, s39, 31
	v_ashrrev_i32_e32 v3, 31, v15
	s_wait_alu 0xfffe
	s_mov_b32 s41, s40
	s_wait_alu 0xfffe
	s_add_nc_u64 s[44:45], s[38:39], s[40:41]
	v_add_co_u32 v5, vcc_lo, v14, v3
	s_wait_alu 0xfffe
	s_xor_b64 s[44:45], s[44:45], s[40:41]
	s_wait_alu 0xfffd
	v_add_co_ci_u32_e64 v7, null, v15, v3, vcc_lo
	s_wait_alu 0xfffe
	s_cvt_f32_u32 s2, s44
	s_cvt_f32_u32 s18, s45
	s_sub_nc_u64 s[48:49], 0, s[44:45]
	v_xor_b32_e32 v5, v5, v3
	v_xor_b32_e32 v7, v7, v3
	s_wait_alu 0xfffe
	s_fmamk_f32 s2, s18, 0x4f800000, s2
	v_xor_b32_e32 v3, s40, v3
	s_wait_alu 0xfffe
	s_delay_alu instid0(SALU_CYCLE_1) | instskip(NEXT) | instid1(TRANS32_DEP_1)
	v_s_rcp_f32 s2, s2
	s_mul_f32 s2, s2, 0x5f7ffffc
	s_wait_alu 0xfffe
	s_delay_alu instid0(SALU_CYCLE_2) | instskip(SKIP_1) | instid1(SALU_CYCLE_2)
	s_mul_f32 s18, s2, 0x2f800000
	s_wait_alu 0xfffe
	s_trunc_f32 s18, s18
	s_wait_alu 0xfffe
	s_delay_alu instid0(SALU_CYCLE_2) | instskip(SKIP_2) | instid1(SALU_CYCLE_1)
	s_fmamk_f32 s2, s18, 0xcf800000, s2
	s_cvt_u32_f32 s47, s18
	s_wait_alu 0xfffe
	s_cvt_u32_f32 s46, s2
	s_wait_alu 0xfffe
	s_delay_alu instid0(SALU_CYCLE_2)
	s_mul_u64 s[50:51], s[48:49], s[46:47]
	s_wait_alu 0xfffe
	s_mul_hi_u32 s59, s46, s51
	s_mul_i32 s58, s46, s51
	s_mul_hi_u32 s18, s46, s50
	s_mul_i32 s37, s47, s50
	s_wait_alu 0xfffe
	s_add_nc_u64 s[58:59], s[18:19], s[58:59]
	s_mul_hi_u32 s2, s47, s50
	s_mul_hi_u32 s39, s47, s51
	s_add_co_u32 s18, s58, s37
	s_wait_alu 0xfffe
	s_add_co_ci_u32 s18, s59, s2
	s_mul_i32 s50, s47, s51
	s_add_co_ci_u32 s51, s39, 0
	s_wait_alu 0xfffe
	s_add_nc_u64 s[50:51], s[18:19], s[50:51]
	s_wait_alu 0xfffe
	s_add_co_u32 s46, s46, s50
	s_cselect_b32 s2, -1, 0
	s_wait_alu 0xfffe
	s_cmp_lg_u32 s2, 0
	s_add_co_ci_u32 s47, s47, s51
	s_wait_alu 0xfffe
	s_mul_u64 s[48:49], s[48:49], s[46:47]
	s_wait_alu 0xfffe
	s_mul_hi_u32 s51, s46, s49
	s_mul_i32 s50, s46, s49
	s_mul_hi_u32 s18, s46, s48
	s_mul_i32 s37, s47, s48
	s_wait_alu 0xfffe
	s_add_nc_u64 s[50:51], s[18:19], s[50:51]
	s_mul_hi_u32 s2, s47, s48
	s_mul_hi_u32 s39, s47, s49
	s_wait_alu 0xfffe
	s_add_co_u32 s18, s50, s37
	s_add_co_ci_u32 s18, s51, s2
	s_mul_i32 s48, s47, s49
	s_add_co_ci_u32 s49, s39, 0
	s_wait_alu 0xfffe
	s_add_nc_u64 s[48:49], s[18:19], s[48:49]
	s_wait_alu 0xfffe
	s_add_co_u32 s2, s46, s48
	s_cselect_b32 s18, -1, 0
	s_wait_alu 0xfffe
	v_mul_hi_u32 v9, v5, s2
	s_cmp_lg_u32 s18, 0
	v_mad_co_u64_u32 v[17:18], null, v7, s2, 0
	s_add_co_ci_u32 s18, s47, s49
	s_wait_alu 0xfffe
	v_mad_co_u64_u32 v[15:16], null, v5, s18, 0
	v_mad_co_u64_u32 v[19:20], null, v7, s18, 0
	s_delay_alu instid0(VALU_DEP_2) | instskip(SKIP_1) | instid1(VALU_DEP_3)
	v_add_co_u32 v9, vcc_lo, v9, v15
	s_wait_alu 0xfffd
	v_add_co_ci_u32_e64 v11, null, 0, v16, vcc_lo
	s_delay_alu instid0(VALU_DEP_2) | instskip(SKIP_1) | instid1(VALU_DEP_2)
	v_add_co_u32 v9, vcc_lo, v9, v17
	s_wait_alu 0xfffd
	v_add_co_ci_u32_e32 v9, vcc_lo, v11, v18, vcc_lo
	s_wait_alu 0xfffd
	v_add_co_ci_u32_e32 v11, vcc_lo, 0, v20, vcc_lo
	s_delay_alu instid0(VALU_DEP_2) | instskip(SKIP_1) | instid1(VALU_DEP_2)
	v_add_co_u32 v9, vcc_lo, v9, v19
	s_wait_alu 0xfffd
	v_add_co_ci_u32_e64 v11, null, 0, v11, vcc_lo
	s_delay_alu instid0(VALU_DEP_2) | instskip(SKIP_1) | instid1(VALU_DEP_3)
	v_mul_lo_u32 v13, s45, v9
	v_mad_co_u64_u32 v[15:16], null, s44, v9, 0
	v_mul_lo_u32 v17, s44, v11
	s_delay_alu instid0(VALU_DEP_2) | instskip(NEXT) | instid1(VALU_DEP_2)
	v_sub_co_u32 v5, vcc_lo, v5, v15
	v_add3_u32 v13, v16, v17, v13
	s_delay_alu instid0(VALU_DEP_1) | instskip(SKIP_2) | instid1(VALU_DEP_2)
	v_sub_nc_u32_e32 v16, v7, v13
	s_wait_alu 0xfffd
	v_sub_co_ci_u32_e64 v7, null, v7, v13, vcc_lo
	v_subrev_co_ci_u32_e64 v15, null, s45, v16, vcc_lo
	v_add_co_u32 v16, s2, v9, 2
	s_wait_alu 0xf1ff
	v_add_co_ci_u32_e64 v17, null, 0, v11, s2
	v_sub_co_u32 v18, s2, v5, s44
	s_wait_alu 0xf1ff
	v_subrev_co_ci_u32_e64 v15, null, 0, v15, s2
	s_delay_alu instid0(VALU_DEP_2) | instskip(SKIP_2) | instid1(VALU_DEP_3)
	v_cmp_le_u32_e32 vcc_lo, s44, v18
	s_wait_alu 0xfffd
	v_cndmask_b32_e64 v13, 0, -1, vcc_lo
	v_cmp_le_u32_e32 vcc_lo, s45, v15
	s_wait_alu 0xfffd
	v_cndmask_b32_e64 v18, 0, -1, vcc_lo
	;; [unrolled: 3-line block ×4, first 2 shown]
	v_cmp_eq_u32_e32 vcc_lo, s45, v15
	s_wait_alu 0xfffd
	v_cndmask_b32_e32 v13, v18, v13, vcc_lo
	v_add_co_u32 v15, vcc_lo, v9, 1
	s_wait_alu 0xfffd
	v_add_co_ci_u32_e64 v18, null, 0, v11, vcc_lo
	v_cmp_eq_u32_e32 vcc_lo, s45, v7
	s_wait_alu 0xfffd
	v_cndmask_b32_e32 v5, v19, v5, vcc_lo
	v_cmp_ne_u32_e32 vcc_lo, 0, v13
	s_delay_alu instid0(VALU_DEP_2) | instskip(SKIP_4) | instid1(VALU_DEP_2)
	v_cmp_ne_u32_e64 s2, 0, v5
	s_wait_alu 0xfffd
	v_cndmask_b32_e32 v5, v15, v16, vcc_lo
	v_cndmask_b32_e32 v7, v18, v17, vcc_lo
	s_wait_alu 0xf1ff
	v_cndmask_b32_e64 v5, v9, v5, s2
	s_delay_alu instid0(VALU_DEP_2) | instskip(NEXT) | instid1(VALU_DEP_2)
	v_cndmask_b32_e64 v7, v11, v7, s2
	v_xor_b32_e32 v5, v5, v3
	s_delay_alu instid0(VALU_DEP_2) | instskip(NEXT) | instid1(VALU_DEP_2)
	v_xor_b32_e32 v7, v7, v3
	v_sub_co_u32 v16, vcc_lo, v5, v3
	s_wait_alu 0xfffd
	s_delay_alu instid0(VALU_DEP_2)
	v_sub_co_ci_u32_e64 v17, null, v7, v3, vcc_lo
.LBB68_40:                              ;   in Loop: Header=BB68_22 Depth=2
	s_wait_alu 0xfffe
	s_and_not1_saveexec_b32 s2, s27
	s_cbranch_execz .LBB68_42
; %bb.41:                               ;   in Loop: Header=BB68_22 Depth=2
	v_cvt_f32_u32_e32 v3, s38
	s_sub_co_i32 s18, 0, s38
	v_mov_b32_e32 v17, v2
	s_delay_alu instid0(VALU_DEP_2) | instskip(NEXT) | instid1(TRANS32_DEP_1)
	v_rcp_iflag_f32_e32 v3, v3
	v_mul_f32_e32 v3, 0x4f7ffffe, v3
	s_delay_alu instid0(VALU_DEP_1) | instskip(SKIP_1) | instid1(VALU_DEP_1)
	v_cvt_u32_f32_e32 v3, v3
	s_wait_alu 0xfffe
	v_mul_lo_u32 v5, s18, v3
	s_delay_alu instid0(VALU_DEP_1) | instskip(NEXT) | instid1(VALU_DEP_1)
	v_mul_hi_u32 v5, v3, v5
	v_add_nc_u32_e32 v3, v3, v5
	s_delay_alu instid0(VALU_DEP_1) | instskip(NEXT) | instid1(VALU_DEP_1)
	v_mul_hi_u32 v3, v14, v3
	v_mul_lo_u32 v5, v3, s38
	v_add_nc_u32_e32 v7, 1, v3
	s_delay_alu instid0(VALU_DEP_2) | instskip(NEXT) | instid1(VALU_DEP_1)
	v_sub_nc_u32_e32 v5, v14, v5
	v_cmp_le_u32_e32 vcc_lo, s38, v5
	v_subrev_nc_u32_e32 v9, s38, v5
	s_wait_alu 0xfffd
	v_cndmask_b32_e32 v3, v3, v7, vcc_lo
	s_delay_alu instid0(VALU_DEP_1) | instskip(NEXT) | instid1(VALU_DEP_3)
	v_add_nc_u32_e32 v7, 1, v3
	v_cndmask_b32_e32 v5, v5, v9, vcc_lo
	s_delay_alu instid0(VALU_DEP_1) | instskip(SKIP_1) | instid1(VALU_DEP_3)
	v_cmp_le_u32_e32 vcc_lo, s38, v5
	s_wait_alu 0xfffd
	v_cndmask_b32_e32 v16, v3, v7, vcc_lo
.LBB68_42:                              ;   in Loop: Header=BB68_22 Depth=2
	s_wait_alu 0xfffe
	s_or_b32 exec_lo, exec_lo, s2
	s_add_co_i32 s18, s26, 2
	s_add_nc_u64 s[42:43], s[0:1], s[42:43]
	s_wait_alu 0xfffe
	s_lshl_b64 s[44:45], s[18:19], 2
                                        ; implicit-def: $vgpr18_vgpr19
	s_mov_b32 s2, exec_lo
	s_wait_alu 0xfffe
	s_add_nc_u64 s[40:41], s[10:11], s[44:45]
	s_clause 0x1
	s_load_b32 s37, s[42:43], 0x6c
	s_load_b32 s40, s[40:41], 0x8
	s_wait_kmcnt 0x0
	s_ashr_i32 s41, s40, 31
	s_wait_alu 0xfffe
	v_or_b32_e32 v3, s41, v17
	s_delay_alu instid0(VALU_DEP_1)
	v_cmpx_ne_u64_e32 0, v[2:3]
	s_xor_b32 s27, exec_lo, s2
	s_cbranch_execz .LBB68_44
; %bb.43:                               ;   in Loop: Header=BB68_22 Depth=2
	s_ashr_i32 s42, s41, 31
	v_ashrrev_i32_e32 v3, 31, v17
	s_wait_alu 0xfffe
	s_mov_b32 s43, s42
	s_wait_alu 0xfffe
	s_add_nc_u64 s[46:47], s[40:41], s[42:43]
	v_add_co_u32 v5, vcc_lo, v16, v3
	s_wait_alu 0xfffe
	s_xor_b64 s[46:47], s[46:47], s[42:43]
	s_wait_alu 0xfffd
	v_add_co_ci_u32_e64 v7, null, v17, v3, vcc_lo
	s_wait_alu 0xfffe
	s_cvt_f32_u32 s2, s46
	s_cvt_f32_u32 s18, s47
	s_sub_nc_u64 s[50:51], 0, s[46:47]
	v_xor_b32_e32 v5, v5, v3
	v_xor_b32_e32 v7, v7, v3
	s_wait_alu 0xfffe
	s_fmamk_f32 s2, s18, 0x4f800000, s2
	v_xor_b32_e32 v3, s42, v3
	s_wait_alu 0xfffe
	s_delay_alu instid0(SALU_CYCLE_1) | instskip(NEXT) | instid1(TRANS32_DEP_1)
	v_s_rcp_f32 s2, s2
	s_mul_f32 s2, s2, 0x5f7ffffc
	s_wait_alu 0xfffe
	s_delay_alu instid0(SALU_CYCLE_2) | instskip(SKIP_1) | instid1(SALU_CYCLE_2)
	s_mul_f32 s18, s2, 0x2f800000
	s_wait_alu 0xfffe
	s_trunc_f32 s18, s18
	s_wait_alu 0xfffe
	s_delay_alu instid0(SALU_CYCLE_2) | instskip(SKIP_2) | instid1(SALU_CYCLE_1)
	s_fmamk_f32 s2, s18, 0xcf800000, s2
	s_cvt_u32_f32 s49, s18
	s_wait_alu 0xfffe
	s_cvt_u32_f32 s48, s2
	s_wait_alu 0xfffe
	s_delay_alu instid0(SALU_CYCLE_2) | instskip(NEXT) | instid1(SALU_CYCLE_1)
	s_mul_u64 s[58:59], s[50:51], s[48:49]
	s_mul_hi_u32 s61, s48, s59
	s_mul_i32 s60, s48, s59
	s_mul_hi_u32 s18, s48, s58
	s_mul_i32 s39, s49, s58
	s_wait_alu 0xfffe
	s_add_nc_u64 s[60:61], s[18:19], s[60:61]
	s_mul_hi_u32 s2, s49, s58
	s_mul_hi_u32 s41, s49, s59
	s_add_co_u32 s18, s60, s39
	s_wait_alu 0xfffe
	s_add_co_ci_u32 s18, s61, s2
	s_mul_i32 s58, s49, s59
	s_add_co_ci_u32 s59, s41, 0
	s_wait_alu 0xfffe
	s_add_nc_u64 s[58:59], s[18:19], s[58:59]
	s_delay_alu instid0(SALU_CYCLE_1)
	s_add_co_u32 s48, s48, s58
	s_cselect_b32 s2, -1, 0
	s_wait_alu 0xfffe
	s_cmp_lg_u32 s2, 0
	s_add_co_ci_u32 s49, s49, s59
	s_wait_alu 0xfffe
	s_mul_u64 s[50:51], s[50:51], s[48:49]
	s_wait_alu 0xfffe
	s_mul_hi_u32 s59, s48, s51
	s_mul_i32 s58, s48, s51
	s_mul_hi_u32 s18, s48, s50
	s_mul_i32 s39, s49, s50
	s_wait_alu 0xfffe
	s_add_nc_u64 s[58:59], s[18:19], s[58:59]
	s_mul_hi_u32 s2, s49, s50
	s_mul_hi_u32 s41, s49, s51
	s_add_co_u32 s18, s58, s39
	s_wait_alu 0xfffe
	s_add_co_ci_u32 s18, s59, s2
	s_mul_i32 s50, s49, s51
	s_add_co_ci_u32 s51, s41, 0
	s_wait_alu 0xfffe
	s_add_nc_u64 s[50:51], s[18:19], s[50:51]
	s_wait_alu 0xfffe
	s_add_co_u32 s2, s48, s50
	s_cselect_b32 s18, -1, 0
	s_wait_alu 0xfffe
	v_mul_hi_u32 v9, v5, s2
	s_cmp_lg_u32 s18, 0
	v_mad_co_u64_u32 v[19:20], null, v7, s2, 0
	s_add_co_ci_u32 s18, s49, s51
	s_wait_alu 0xfffe
	v_mad_co_u64_u32 v[17:18], null, v5, s18, 0
	v_mad_co_u64_u32 v[21:22], null, v7, s18, 0
	s_delay_alu instid0(VALU_DEP_2) | instskip(SKIP_1) | instid1(VALU_DEP_3)
	v_add_co_u32 v9, vcc_lo, v9, v17
	s_wait_alu 0xfffd
	v_add_co_ci_u32_e64 v11, null, 0, v18, vcc_lo
	s_delay_alu instid0(VALU_DEP_2) | instskip(SKIP_1) | instid1(VALU_DEP_2)
	v_add_co_u32 v9, vcc_lo, v9, v19
	s_wait_alu 0xfffd
	v_add_co_ci_u32_e32 v9, vcc_lo, v11, v20, vcc_lo
	s_wait_alu 0xfffd
	v_add_co_ci_u32_e32 v11, vcc_lo, 0, v22, vcc_lo
	s_delay_alu instid0(VALU_DEP_2) | instskip(SKIP_1) | instid1(VALU_DEP_2)
	v_add_co_u32 v9, vcc_lo, v9, v21
	s_wait_alu 0xfffd
	v_add_co_ci_u32_e64 v11, null, 0, v11, vcc_lo
	s_delay_alu instid0(VALU_DEP_2) | instskip(SKIP_1) | instid1(VALU_DEP_3)
	v_mul_lo_u32 v13, s47, v9
	v_mad_co_u64_u32 v[17:18], null, s46, v9, 0
	v_mul_lo_u32 v15, s46, v11
	s_delay_alu instid0(VALU_DEP_2) | instskip(NEXT) | instid1(VALU_DEP_2)
	v_sub_co_u32 v5, vcc_lo, v5, v17
	v_add3_u32 v13, v18, v15, v13
	v_add_co_u32 v17, s2, v9, 2
	s_wait_alu 0xf1ff
	v_add_co_ci_u32_e64 v18, null, 0, v11, s2
	s_delay_alu instid0(VALU_DEP_3) | instskip(SKIP_3) | instid1(VALU_DEP_3)
	v_sub_nc_u32_e32 v15, v7, v13
	v_sub_co_u32 v19, s2, v5, s46
	s_wait_alu 0xfffd
	v_sub_co_ci_u32_e64 v7, null, v7, v13, vcc_lo
	v_subrev_co_ci_u32_e64 v15, null, s47, v15, vcc_lo
	s_delay_alu instid0(VALU_DEP_3) | instskip(SKIP_1) | instid1(VALU_DEP_2)
	v_cmp_le_u32_e32 vcc_lo, s46, v19
	s_wait_alu 0xf1ff
	v_subrev_co_ci_u32_e64 v15, null, 0, v15, s2
	s_wait_alu 0xfffd
	v_cndmask_b32_e64 v13, 0, -1, vcc_lo
	s_delay_alu instid0(VALU_DEP_2)
	v_cmp_le_u32_e32 vcc_lo, s47, v15
	s_wait_alu 0xfffd
	v_cndmask_b32_e64 v19, 0, -1, vcc_lo
	v_cmp_le_u32_e32 vcc_lo, s46, v5
	s_wait_alu 0xfffd
	v_cndmask_b32_e64 v5, 0, -1, vcc_lo
	;; [unrolled: 3-line block ×3, first 2 shown]
	v_cmp_eq_u32_e32 vcc_lo, s47, v15
	s_wait_alu 0xfffd
	v_cndmask_b32_e32 v13, v19, v13, vcc_lo
	v_add_co_u32 v15, vcc_lo, v9, 1
	s_wait_alu 0xfffd
	v_add_co_ci_u32_e64 v19, null, 0, v11, vcc_lo
	v_cmp_eq_u32_e32 vcc_lo, s47, v7
	s_wait_alu 0xfffd
	v_cndmask_b32_e32 v5, v20, v5, vcc_lo
	v_cmp_ne_u32_e32 vcc_lo, 0, v13
	s_delay_alu instid0(VALU_DEP_2) | instskip(SKIP_4) | instid1(VALU_DEP_2)
	v_cmp_ne_u32_e64 s2, 0, v5
	s_wait_alu 0xfffd
	v_cndmask_b32_e32 v5, v15, v17, vcc_lo
	v_cndmask_b32_e32 v7, v19, v18, vcc_lo
	s_wait_alu 0xf1ff
	v_cndmask_b32_e64 v5, v9, v5, s2
	s_delay_alu instid0(VALU_DEP_2) | instskip(NEXT) | instid1(VALU_DEP_2)
	v_cndmask_b32_e64 v7, v11, v7, s2
	v_xor_b32_e32 v5, v5, v3
	s_delay_alu instid0(VALU_DEP_2) | instskip(NEXT) | instid1(VALU_DEP_2)
	v_xor_b32_e32 v7, v7, v3
	v_sub_co_u32 v18, vcc_lo, v5, v3
	s_wait_alu 0xfffd
	s_delay_alu instid0(VALU_DEP_2)
	v_sub_co_ci_u32_e64 v19, null, v7, v3, vcc_lo
.LBB68_44:                              ;   in Loop: Header=BB68_22 Depth=2
	s_wait_alu 0xfffe
	s_and_not1_saveexec_b32 s2, s27
	s_cbranch_execz .LBB68_46
; %bb.45:                               ;   in Loop: Header=BB68_22 Depth=2
	v_cvt_f32_u32_e32 v3, s40
	s_sub_co_i32 s18, 0, s40
	v_mov_b32_e32 v19, v2
	s_delay_alu instid0(VALU_DEP_2) | instskip(NEXT) | instid1(TRANS32_DEP_1)
	v_rcp_iflag_f32_e32 v3, v3
	v_mul_f32_e32 v3, 0x4f7ffffe, v3
	s_delay_alu instid0(VALU_DEP_1) | instskip(SKIP_1) | instid1(VALU_DEP_1)
	v_cvt_u32_f32_e32 v3, v3
	s_wait_alu 0xfffe
	v_mul_lo_u32 v5, s18, v3
	s_delay_alu instid0(VALU_DEP_1) | instskip(NEXT) | instid1(VALU_DEP_1)
	v_mul_hi_u32 v5, v3, v5
	v_add_nc_u32_e32 v3, v3, v5
	s_delay_alu instid0(VALU_DEP_1) | instskip(NEXT) | instid1(VALU_DEP_1)
	v_mul_hi_u32 v3, v16, v3
	v_mul_lo_u32 v5, v3, s40
	v_add_nc_u32_e32 v7, 1, v3
	s_delay_alu instid0(VALU_DEP_2) | instskip(NEXT) | instid1(VALU_DEP_1)
	v_sub_nc_u32_e32 v5, v16, v5
	v_cmp_le_u32_e32 vcc_lo, s40, v5
	v_subrev_nc_u32_e32 v9, s40, v5
	s_wait_alu 0xfffd
	v_cndmask_b32_e32 v3, v3, v7, vcc_lo
	s_delay_alu instid0(VALU_DEP_1) | instskip(NEXT) | instid1(VALU_DEP_3)
	v_add_nc_u32_e32 v7, 1, v3
	v_cndmask_b32_e32 v5, v5, v9, vcc_lo
	s_delay_alu instid0(VALU_DEP_1) | instskip(SKIP_1) | instid1(VALU_DEP_3)
	v_cmp_le_u32_e32 vcc_lo, s40, v5
	s_wait_alu 0xfffd
	v_cndmask_b32_e32 v18, v3, v7, vcc_lo
.LBB68_46:                              ;   in Loop: Header=BB68_22 Depth=2
	s_wait_alu 0xfffe
	s_or_b32 exec_lo, exec_lo, s2
	s_add_co_i32 s18, s26, 1
	s_add_nc_u64 s[44:45], s[0:1], s[44:45]
	s_wait_alu 0xfffe
	s_lshl_b64 s[48:49], s[18:19], 2
                                        ; implicit-def: $vgpr20_vgpr21
	s_mov_b32 s2, exec_lo
	s_wait_alu 0xfffe
	s_add_nc_u64 s[42:43], s[10:11], s[48:49]
	s_clause 0x1
	s_load_b32 s39, s[44:45], 0x6c
	s_load_b32 s42, s[42:43], 0x8
	s_wait_kmcnt 0x0
	s_ashr_i32 s43, s42, 31
	s_wait_alu 0xfffe
	v_or_b32_e32 v3, s43, v19
	s_delay_alu instid0(VALU_DEP_1)
	v_cmpx_ne_u64_e32 0, v[2:3]
	s_xor_b32 s27, exec_lo, s2
	s_cbranch_execz .LBB68_48
; %bb.47:                               ;   in Loop: Header=BB68_22 Depth=2
	s_ashr_i32 s44, s43, 31
	v_ashrrev_i32_e32 v3, 31, v19
	s_wait_alu 0xfffe
	s_mov_b32 s45, s44
	s_wait_alu 0xfffe
	s_add_nc_u64 s[46:47], s[42:43], s[44:45]
	v_add_co_u32 v5, vcc_lo, v18, v3
	s_wait_alu 0xfffe
	s_xor_b64 s[46:47], s[46:47], s[44:45]
	s_wait_alu 0xfffd
	v_add_co_ci_u32_e64 v7, null, v19, v3, vcc_lo
	s_wait_alu 0xfffe
	s_cvt_f32_u32 s2, s46
	s_cvt_f32_u32 s18, s47
	s_sub_nc_u64 s[58:59], 0, s[46:47]
	v_xor_b32_e32 v5, v5, v3
	v_xor_b32_e32 v7, v7, v3
	s_wait_alu 0xfffe
	s_fmamk_f32 s2, s18, 0x4f800000, s2
	v_xor_b32_e32 v3, s44, v3
	s_wait_alu 0xfffe
	s_delay_alu instid0(SALU_CYCLE_1) | instskip(NEXT) | instid1(TRANS32_DEP_1)
	v_s_rcp_f32 s2, s2
	s_mul_f32 s2, s2, 0x5f7ffffc
	s_wait_alu 0xfffe
	s_delay_alu instid0(SALU_CYCLE_2) | instskip(SKIP_1) | instid1(SALU_CYCLE_2)
	s_mul_f32 s18, s2, 0x2f800000
	s_wait_alu 0xfffe
	s_trunc_f32 s18, s18
	s_wait_alu 0xfffe
	s_delay_alu instid0(SALU_CYCLE_2) | instskip(SKIP_2) | instid1(SALU_CYCLE_1)
	s_fmamk_f32 s2, s18, 0xcf800000, s2
	s_cvt_u32_f32 s51, s18
	s_wait_alu 0xfffe
	s_cvt_u32_f32 s50, s2
	s_wait_alu 0xfffe
	s_delay_alu instid0(SALU_CYCLE_2) | instskip(NEXT) | instid1(SALU_CYCLE_1)
	s_mul_u64 s[60:61], s[58:59], s[50:51]
	s_mul_hi_u32 s63, s50, s61
	s_mul_i32 s62, s50, s61
	s_mul_hi_u32 s18, s50, s60
	s_mul_i32 s41, s51, s60
	s_wait_alu 0xfffe
	s_add_nc_u64 s[62:63], s[18:19], s[62:63]
	s_mul_hi_u32 s2, s51, s60
	s_mul_hi_u32 s43, s51, s61
	s_add_co_u32 s18, s62, s41
	s_wait_alu 0xfffe
	s_add_co_ci_u32 s18, s63, s2
	s_mul_i32 s60, s51, s61
	s_add_co_ci_u32 s61, s43, 0
	s_wait_alu 0xfffe
	s_add_nc_u64 s[60:61], s[18:19], s[60:61]
	s_delay_alu instid0(SALU_CYCLE_1)
	s_add_co_u32 s50, s50, s60
	s_cselect_b32 s2, -1, 0
	s_wait_alu 0xfffe
	s_cmp_lg_u32 s2, 0
	s_add_co_ci_u32 s51, s51, s61
	s_wait_alu 0xfffe
	s_mul_u64 s[58:59], s[58:59], s[50:51]
	s_delay_alu instid0(SALU_CYCLE_1)
	s_mul_hi_u32 s61, s50, s59
	s_mul_i32 s60, s50, s59
	s_mul_hi_u32 s18, s50, s58
	s_mul_i32 s41, s51, s58
	s_wait_alu 0xfffe
	s_add_nc_u64 s[60:61], s[18:19], s[60:61]
	s_mul_hi_u32 s2, s51, s58
	s_mul_hi_u32 s43, s51, s59
	s_add_co_u32 s18, s60, s41
	s_wait_alu 0xfffe
	s_add_co_ci_u32 s18, s61, s2
	s_mul_i32 s58, s51, s59
	s_add_co_ci_u32 s59, s43, 0
	s_wait_alu 0xfffe
	s_add_nc_u64 s[58:59], s[18:19], s[58:59]
	s_delay_alu instid0(SALU_CYCLE_1)
	s_add_co_u32 s2, s50, s58
	s_cselect_b32 s18, -1, 0
	s_wait_alu 0xfffe
	v_mul_hi_u32 v9, v5, s2
	s_cmp_lg_u32 s18, 0
	v_mad_co_u64_u32 v[21:22], null, v7, s2, 0
	s_add_co_ci_u32 s18, s51, s59
	s_wait_alu 0xfffe
	v_mad_co_u64_u32 v[19:20], null, v5, s18, 0
	v_mad_co_u64_u32 v[28:29], null, v7, s18, 0
	s_delay_alu instid0(VALU_DEP_2) | instskip(SKIP_1) | instid1(VALU_DEP_3)
	v_add_co_u32 v9, vcc_lo, v9, v19
	s_wait_alu 0xfffd
	v_add_co_ci_u32_e64 v11, null, 0, v20, vcc_lo
	s_delay_alu instid0(VALU_DEP_2) | instskip(SKIP_1) | instid1(VALU_DEP_2)
	v_add_co_u32 v9, vcc_lo, v9, v21
	s_wait_alu 0xfffd
	v_add_co_ci_u32_e32 v9, vcc_lo, v11, v22, vcc_lo
	s_wait_alu 0xfffd
	v_add_co_ci_u32_e32 v11, vcc_lo, 0, v29, vcc_lo
	s_delay_alu instid0(VALU_DEP_2) | instskip(SKIP_1) | instid1(VALU_DEP_2)
	v_add_co_u32 v9, vcc_lo, v9, v28
	s_wait_alu 0xfffd
	v_add_co_ci_u32_e64 v11, null, 0, v11, vcc_lo
	s_delay_alu instid0(VALU_DEP_2) | instskip(SKIP_1) | instid1(VALU_DEP_3)
	v_mul_lo_u32 v13, s47, v9
	v_mad_co_u64_u32 v[19:20], null, s46, v9, 0
	v_mul_lo_u32 v15, s46, v11
	v_add_co_u32 v17, s2, v9, 2
	s_delay_alu instid0(VALU_DEP_3) | instskip(NEXT) | instid1(VALU_DEP_3)
	v_sub_co_u32 v5, vcc_lo, v5, v19
	v_add3_u32 v13, v20, v15, v13
	s_wait_alu 0xf1ff
	v_add_co_ci_u32_e64 v19, null, 0, v11, s2
	s_delay_alu instid0(VALU_DEP_3) | instskip(NEXT) | instid1(VALU_DEP_3)
	v_sub_co_u32 v20, s2, v5, s46
	v_sub_nc_u32_e32 v15, v7, v13
	s_wait_alu 0xfffd
	v_sub_co_ci_u32_e64 v7, null, v7, v13, vcc_lo
	s_delay_alu instid0(VALU_DEP_2) | instskip(SKIP_2) | instid1(VALU_DEP_2)
	v_subrev_co_ci_u32_e64 v15, null, s47, v15, vcc_lo
	v_cmp_le_u32_e32 vcc_lo, s46, v20
	s_wait_alu 0xf1ff
	v_subrev_co_ci_u32_e64 v15, null, 0, v15, s2
	s_wait_alu 0xfffd
	v_cndmask_b32_e64 v13, 0, -1, vcc_lo
	s_delay_alu instid0(VALU_DEP_2)
	v_cmp_le_u32_e32 vcc_lo, s47, v15
	s_wait_alu 0xfffd
	v_cndmask_b32_e64 v20, 0, -1, vcc_lo
	v_cmp_le_u32_e32 vcc_lo, s46, v5
	s_wait_alu 0xfffd
	v_cndmask_b32_e64 v5, 0, -1, vcc_lo
	;; [unrolled: 3-line block ×3, first 2 shown]
	v_cmp_eq_u32_e32 vcc_lo, s47, v15
	s_wait_alu 0xfffd
	v_cndmask_b32_e32 v13, v20, v13, vcc_lo
	v_add_co_u32 v15, vcc_lo, v9, 1
	s_wait_alu 0xfffd
	v_add_co_ci_u32_e64 v20, null, 0, v11, vcc_lo
	v_cmp_eq_u32_e32 vcc_lo, s47, v7
	s_wait_alu 0xfffd
	v_cndmask_b32_e32 v5, v21, v5, vcc_lo
	v_cmp_ne_u32_e32 vcc_lo, 0, v13
	s_delay_alu instid0(VALU_DEP_2) | instskip(SKIP_4) | instid1(VALU_DEP_2)
	v_cmp_ne_u32_e64 s2, 0, v5
	s_wait_alu 0xfffd
	v_cndmask_b32_e32 v5, v15, v17, vcc_lo
	v_cndmask_b32_e32 v7, v20, v19, vcc_lo
	s_wait_alu 0xf1ff
	v_cndmask_b32_e64 v5, v9, v5, s2
	s_delay_alu instid0(VALU_DEP_2) | instskip(NEXT) | instid1(VALU_DEP_2)
	v_cndmask_b32_e64 v7, v11, v7, s2
	v_xor_b32_e32 v5, v5, v3
	s_delay_alu instid0(VALU_DEP_2) | instskip(NEXT) | instid1(VALU_DEP_2)
	v_xor_b32_e32 v7, v7, v3
	v_sub_co_u32 v20, vcc_lo, v5, v3
	s_wait_alu 0xfffd
	s_delay_alu instid0(VALU_DEP_2)
	v_sub_co_ci_u32_e64 v21, null, v7, v3, vcc_lo
.LBB68_48:                              ;   in Loop: Header=BB68_22 Depth=2
	s_wait_alu 0xfffe
	s_and_not1_saveexec_b32 s2, s27
	s_cbranch_execz .LBB68_50
; %bb.49:                               ;   in Loop: Header=BB68_22 Depth=2
	v_cvt_f32_u32_e32 v3, s42
	s_sub_co_i32 s18, 0, s42
	v_mov_b32_e32 v21, v2
	s_delay_alu instid0(VALU_DEP_2) | instskip(NEXT) | instid1(TRANS32_DEP_1)
	v_rcp_iflag_f32_e32 v3, v3
	v_mul_f32_e32 v3, 0x4f7ffffe, v3
	s_delay_alu instid0(VALU_DEP_1) | instskip(SKIP_1) | instid1(VALU_DEP_1)
	v_cvt_u32_f32_e32 v3, v3
	s_wait_alu 0xfffe
	v_mul_lo_u32 v5, s18, v3
	s_delay_alu instid0(VALU_DEP_1) | instskip(NEXT) | instid1(VALU_DEP_1)
	v_mul_hi_u32 v5, v3, v5
	v_add_nc_u32_e32 v3, v3, v5
	s_delay_alu instid0(VALU_DEP_1) | instskip(NEXT) | instid1(VALU_DEP_1)
	v_mul_hi_u32 v3, v18, v3
	v_mul_lo_u32 v5, v3, s42
	v_add_nc_u32_e32 v7, 1, v3
	s_delay_alu instid0(VALU_DEP_2) | instskip(NEXT) | instid1(VALU_DEP_1)
	v_sub_nc_u32_e32 v5, v18, v5
	v_cmp_le_u32_e32 vcc_lo, s42, v5
	v_subrev_nc_u32_e32 v9, s42, v5
	s_wait_alu 0xfffd
	v_cndmask_b32_e32 v3, v3, v7, vcc_lo
	s_delay_alu instid0(VALU_DEP_1) | instskip(NEXT) | instid1(VALU_DEP_3)
	v_add_nc_u32_e32 v7, 1, v3
	v_cndmask_b32_e32 v5, v5, v9, vcc_lo
	s_delay_alu instid0(VALU_DEP_1) | instskip(SKIP_1) | instid1(VALU_DEP_3)
	v_cmp_le_u32_e32 vcc_lo, s42, v5
	s_wait_alu 0xfffd
	v_cndmask_b32_e32 v20, v3, v7, vcc_lo
.LBB68_50:                              ;   in Loop: Header=BB68_22 Depth=2
	s_wait_alu 0xfffe
	s_or_b32 exec_lo, exec_lo, s2
	s_mov_b32 s27, s19
	s_add_nc_u64 s[48:49], s[0:1], s[48:49]
	s_wait_alu 0xfffe
	s_lshl_b64 s[46:47], s[26:27], 2
                                        ; implicit-def: $vgpr22_vgpr23
	s_mov_b32 s2, exec_lo
	s_wait_alu 0xfffe
	s_add_nc_u64 s[44:45], s[10:11], s[46:47]
	s_clause 0x1
	s_load_b32 s27, s[48:49], 0x6c
	s_load_b32 s44, s[44:45], 0x8
	s_wait_kmcnt 0x0
	s_ashr_i32 s45, s44, 31
	s_wait_alu 0xfffe
	v_or_b32_e32 v3, s45, v21
	s_delay_alu instid0(VALU_DEP_1)
	v_cmpx_ne_u64_e32 0, v[2:3]
	s_xor_b32 s41, exec_lo, s2
	s_cbranch_execz .LBB68_52
; %bb.51:                               ;   in Loop: Header=BB68_22 Depth=2
	s_ashr_i32 s48, s45, 31
	v_ashrrev_i32_e32 v3, 31, v21
	s_wait_alu 0xfffe
	s_mov_b32 s49, s48
	s_wait_alu 0xfffe
	s_add_nc_u64 s[50:51], s[44:45], s[48:49]
	v_add_co_u32 v5, vcc_lo, v20, v3
	s_wait_alu 0xfffe
	s_xor_b64 s[50:51], s[50:51], s[48:49]
	s_wait_alu 0xfffd
	v_add_co_ci_u32_e64 v7, null, v21, v3, vcc_lo
	s_wait_alu 0xfffe
	s_cvt_f32_u32 s2, s50
	s_cvt_f32_u32 s18, s51
	s_sub_nc_u64 s[60:61], 0, s[50:51]
	v_xor_b32_e32 v5, v5, v3
	v_xor_b32_e32 v7, v7, v3
	s_wait_alu 0xfffe
	s_fmamk_f32 s2, s18, 0x4f800000, s2
	v_xor_b32_e32 v3, s48, v3
	s_wait_alu 0xfffe
	s_delay_alu instid0(SALU_CYCLE_1) | instskip(NEXT) | instid1(TRANS32_DEP_1)
	v_s_rcp_f32 s2, s2
	s_mul_f32 s2, s2, 0x5f7ffffc
	s_wait_alu 0xfffe
	s_delay_alu instid0(SALU_CYCLE_2) | instskip(SKIP_1) | instid1(SALU_CYCLE_2)
	s_mul_f32 s18, s2, 0x2f800000
	s_wait_alu 0xfffe
	s_trunc_f32 s18, s18
	s_wait_alu 0xfffe
	s_delay_alu instid0(SALU_CYCLE_2) | instskip(SKIP_2) | instid1(SALU_CYCLE_1)
	s_fmamk_f32 s2, s18, 0xcf800000, s2
	s_cvt_u32_f32 s59, s18
	s_wait_alu 0xfffe
	s_cvt_u32_f32 s58, s2
	s_delay_alu instid0(SALU_CYCLE_3) | instskip(NEXT) | instid1(SALU_CYCLE_1)
	s_mul_u64 s[62:63], s[60:61], s[58:59]
	s_mul_hi_u32 s65, s58, s63
	s_mul_i32 s64, s58, s63
	s_mul_hi_u32 s18, s58, s62
	s_mul_i32 s43, s59, s62
	s_wait_alu 0xfffe
	s_add_nc_u64 s[64:65], s[18:19], s[64:65]
	s_mul_hi_u32 s2, s59, s62
	s_mul_hi_u32 s45, s59, s63
	s_add_co_u32 s18, s64, s43
	s_wait_alu 0xfffe
	s_add_co_ci_u32 s18, s65, s2
	s_mul_i32 s62, s59, s63
	s_add_co_ci_u32 s63, s45, 0
	s_wait_alu 0xfffe
	s_add_nc_u64 s[62:63], s[18:19], s[62:63]
	s_delay_alu instid0(SALU_CYCLE_1) | instskip(SKIP_4) | instid1(SALU_CYCLE_1)
	s_add_co_u32 s58, s58, s62
	s_cselect_b32 s2, -1, 0
	s_wait_alu 0xfffe
	s_cmp_lg_u32 s2, 0
	s_add_co_ci_u32 s59, s59, s63
	s_mul_u64 s[60:61], s[60:61], s[58:59]
	s_delay_alu instid0(SALU_CYCLE_1)
	s_mul_hi_u32 s63, s58, s61
	s_mul_i32 s62, s58, s61
	s_mul_hi_u32 s18, s58, s60
	s_mul_i32 s43, s59, s60
	s_wait_alu 0xfffe
	s_add_nc_u64 s[62:63], s[18:19], s[62:63]
	s_mul_hi_u32 s2, s59, s60
	s_mul_hi_u32 s45, s59, s61
	s_add_co_u32 s18, s62, s43
	s_wait_alu 0xfffe
	s_add_co_ci_u32 s18, s63, s2
	s_mul_i32 s60, s59, s61
	s_add_co_ci_u32 s61, s45, 0
	s_wait_alu 0xfffe
	s_add_nc_u64 s[60:61], s[18:19], s[60:61]
	s_delay_alu instid0(SALU_CYCLE_1)
	s_add_co_u32 s2, s58, s60
	s_cselect_b32 s18, -1, 0
	s_wait_alu 0xfffe
	v_mul_hi_u32 v9, v5, s2
	s_cmp_lg_u32 s18, 0
	v_mad_co_u64_u32 v[28:29], null, v7, s2, 0
	s_add_co_ci_u32 s18, s59, s61
	s_wait_alu 0xfffe
	v_mad_co_u64_u32 v[21:22], null, v5, s18, 0
	v_mad_co_u64_u32 v[30:31], null, v7, s18, 0
	s_delay_alu instid0(VALU_DEP_2) | instskip(SKIP_1) | instid1(VALU_DEP_3)
	v_add_co_u32 v9, vcc_lo, v9, v21
	s_wait_alu 0xfffd
	v_add_co_ci_u32_e64 v11, null, 0, v22, vcc_lo
	s_delay_alu instid0(VALU_DEP_2) | instskip(SKIP_1) | instid1(VALU_DEP_2)
	v_add_co_u32 v9, vcc_lo, v9, v28
	s_wait_alu 0xfffd
	v_add_co_ci_u32_e32 v9, vcc_lo, v11, v29, vcc_lo
	s_wait_alu 0xfffd
	v_add_co_ci_u32_e32 v11, vcc_lo, 0, v31, vcc_lo
	s_delay_alu instid0(VALU_DEP_2) | instskip(SKIP_1) | instid1(VALU_DEP_2)
	v_add_co_u32 v9, vcc_lo, v9, v30
	s_wait_alu 0xfffd
	v_add_co_ci_u32_e64 v11, null, 0, v11, vcc_lo
	s_delay_alu instid0(VALU_DEP_2) | instskip(SKIP_1) | instid1(VALU_DEP_3)
	v_mul_lo_u32 v13, s51, v9
	v_mad_co_u64_u32 v[21:22], null, s50, v9, 0
	v_mul_lo_u32 v15, s50, v11
	v_add_co_u32 v17, s2, v9, 2
	s_wait_alu 0xf1ff
	v_add_co_ci_u32_e64 v19, null, 0, v11, s2
	s_delay_alu instid0(VALU_DEP_4) | instskip(NEXT) | instid1(VALU_DEP_4)
	v_sub_co_u32 v5, vcc_lo, v5, v21
	v_add3_u32 v13, v22, v15, v13
	s_delay_alu instid0(VALU_DEP_2) | instskip(NEXT) | instid1(VALU_DEP_2)
	v_sub_co_u32 v21, s2, v5, s50
	v_sub_nc_u32_e32 v15, v7, v13
	s_wait_alu 0xfffd
	v_sub_co_ci_u32_e64 v7, null, v7, v13, vcc_lo
	s_delay_alu instid0(VALU_DEP_2) | instskip(SKIP_2) | instid1(VALU_DEP_2)
	v_subrev_co_ci_u32_e64 v15, null, s51, v15, vcc_lo
	v_cmp_le_u32_e32 vcc_lo, s50, v21
	s_wait_alu 0xf1ff
	v_subrev_co_ci_u32_e64 v15, null, 0, v15, s2
	s_wait_alu 0xfffd
	v_cndmask_b32_e64 v13, 0, -1, vcc_lo
	s_delay_alu instid0(VALU_DEP_2)
	v_cmp_le_u32_e32 vcc_lo, s51, v15
	s_wait_alu 0xfffd
	v_cndmask_b32_e64 v21, 0, -1, vcc_lo
	v_cmp_le_u32_e32 vcc_lo, s50, v5
	s_wait_alu 0xfffd
	v_cndmask_b32_e64 v5, 0, -1, vcc_lo
	;; [unrolled: 3-line block ×3, first 2 shown]
	v_cmp_eq_u32_e32 vcc_lo, s51, v15
	s_wait_alu 0xfffd
	v_cndmask_b32_e32 v13, v21, v13, vcc_lo
	v_add_co_u32 v15, vcc_lo, v9, 1
	s_wait_alu 0xfffd
	v_add_co_ci_u32_e64 v21, null, 0, v11, vcc_lo
	v_cmp_eq_u32_e32 vcc_lo, s51, v7
	s_wait_alu 0xfffd
	v_cndmask_b32_e32 v5, v22, v5, vcc_lo
	v_cmp_ne_u32_e32 vcc_lo, 0, v13
	s_delay_alu instid0(VALU_DEP_2) | instskip(SKIP_4) | instid1(VALU_DEP_2)
	v_cmp_ne_u32_e64 s2, 0, v5
	s_wait_alu 0xfffd
	v_cndmask_b32_e32 v5, v15, v17, vcc_lo
	v_cndmask_b32_e32 v7, v21, v19, vcc_lo
	s_wait_alu 0xf1ff
	v_cndmask_b32_e64 v5, v9, v5, s2
	s_delay_alu instid0(VALU_DEP_2) | instskip(NEXT) | instid1(VALU_DEP_2)
	v_cndmask_b32_e64 v7, v11, v7, s2
	v_xor_b32_e32 v5, v5, v3
	s_delay_alu instid0(VALU_DEP_2) | instskip(NEXT) | instid1(VALU_DEP_2)
	v_xor_b32_e32 v7, v7, v3
	v_sub_co_u32 v22, vcc_lo, v5, v3
	s_wait_alu 0xfffd
	s_delay_alu instid0(VALU_DEP_2)
	v_sub_co_ci_u32_e64 v23, null, v7, v3, vcc_lo
.LBB68_52:                              ;   in Loop: Header=BB68_22 Depth=2
	s_wait_alu 0xfffe
	s_and_not1_saveexec_b32 s2, s41
	s_cbranch_execz .LBB68_54
; %bb.53:                               ;   in Loop: Header=BB68_22 Depth=2
	v_cvt_f32_u32_e32 v3, s44
	s_sub_co_i32 s18, 0, s44
	v_mov_b32_e32 v23, v2
	s_delay_alu instid0(VALU_DEP_2) | instskip(NEXT) | instid1(TRANS32_DEP_1)
	v_rcp_iflag_f32_e32 v3, v3
	v_mul_f32_e32 v3, 0x4f7ffffe, v3
	s_delay_alu instid0(VALU_DEP_1) | instskip(SKIP_1) | instid1(VALU_DEP_1)
	v_cvt_u32_f32_e32 v3, v3
	s_wait_alu 0xfffe
	v_mul_lo_u32 v5, s18, v3
	s_delay_alu instid0(VALU_DEP_1) | instskip(NEXT) | instid1(VALU_DEP_1)
	v_mul_hi_u32 v5, v3, v5
	v_add_nc_u32_e32 v3, v3, v5
	s_delay_alu instid0(VALU_DEP_1) | instskip(NEXT) | instid1(VALU_DEP_1)
	v_mul_hi_u32 v3, v20, v3
	v_mul_lo_u32 v5, v3, s44
	v_add_nc_u32_e32 v7, 1, v3
	s_delay_alu instid0(VALU_DEP_2) | instskip(NEXT) | instid1(VALU_DEP_1)
	v_sub_nc_u32_e32 v5, v20, v5
	v_cmp_le_u32_e32 vcc_lo, s44, v5
	v_subrev_nc_u32_e32 v9, s44, v5
	s_wait_alu 0xfffd
	v_cndmask_b32_e32 v3, v3, v7, vcc_lo
	s_delay_alu instid0(VALU_DEP_1) | instskip(NEXT) | instid1(VALU_DEP_3)
	v_add_nc_u32_e32 v7, 1, v3
	v_cndmask_b32_e32 v5, v5, v9, vcc_lo
	s_delay_alu instid0(VALU_DEP_1) | instskip(SKIP_1) | instid1(VALU_DEP_3)
	v_cmp_le_u32_e32 vcc_lo, s44, v5
	s_wait_alu 0xfffd
	v_cndmask_b32_e32 v22, v3, v7, vcc_lo
.LBB68_54:                              ;   in Loop: Header=BB68_22 Depth=2
	s_wait_alu 0xfffe
	s_or_b32 exec_lo, exec_lo, s2
	v_mul_lo_u32 v3, v8, s28
	v_mul_lo_u32 v5, v10, s30
	;; [unrolled: 1-line block ×5, first 2 shown]
	s_add_nc_u64 s[40:41], s[0:1], s[46:47]
	v_mul_lo_u32 v11, v16, s38
	s_load_b32 s2, s[40:41], 0x6c
	v_sub_nc_u32_e32 v3, v6, v3
	v_sub_nc_u32_e32 v5, v8, v5
	;; [unrolled: 1-line block ×4, first 2 shown]
	v_mul_lo_u32 v8, v20, s42
	v_mul_lo_u32 v3, s25, v3
	;; [unrolled: 1-line block ×4, first 2 shown]
	v_sub_nc_u32_e32 v10, v14, v11
	v_sub_nc_u32_e32 v11, v16, v13
	v_mul_lo_u32 v6, s31, v6
	v_mul_lo_u32 v7, s35, v7
	s_add_co_i32 s26, s26, -8
	v_mul_lo_u32 v10, s37, v10
	v_add3_u32 v3, v3, v4, v5
	v_sub_nc_u32_e32 v4, v18, v8
	v_sub_nc_u32_e32 v5, v20, v9
	v_mul_lo_u32 v8, s39, v11
	s_wait_alu 0xfffe
	s_cmp_eq_u32 s26, -8
	v_add3_u32 v3, v6, v3, v7
	v_mul_lo_u32 v4, s27, v4
	s_wait_kmcnt 0x0
	v_mul_lo_u32 v5, s2, v5
	s_delay_alu instid0(VALU_DEP_3) | instskip(NEXT) | instid1(VALU_DEP_1)
	v_add3_u32 v3, v10, v3, v8
	v_add3_u32 v4, v4, v3, v5
	s_cbranch_scc1 .LBB68_56
; %bb.55:                               ;   in Loop: Header=BB68_22 Depth=2
	v_dual_mov_b32 v6, v22 :: v_dual_mov_b32 v7, v23
	s_branch .LBB68_22
.LBB68_56:                              ;   in Loop: Header=BB68_3 Depth=1
	s_load_b32 s2, s[12:13], 0x4
	s_wait_kmcnt 0x0
	v_cmp_gt_i32_e32 vcc_lo, s2, v27
	s_and_b32 exec_lo, exec_lo, vcc_lo
	s_cbranch_execz .LBB68_2
; %bb.57:                               ;   in Loop: Header=BB68_3 Depth=1
	v_ashrrev_i32_e32 v5, 31, v4
	v_add_nc_u32_e32 v3, 1, v27
	s_delay_alu instid0(VALU_DEP_2) | instskip(NEXT) | instid1(VALU_DEP_1)
	v_lshlrev_b64_e32 v[5:6], 1, v[4:5]
	v_add_co_u32 v5, vcc_lo, s16, v5
	s_wait_alu 0xfffd
	s_delay_alu instid0(VALU_DEP_2)
	v_add_co_ci_u32_e64 v6, null, s17, v6, vcc_lo
	v_cmp_gt_i32_e32 vcc_lo, s2, v3
	global_store_b16 v[5:6], v2, off
	s_and_b32 exec_lo, exec_lo, vcc_lo
	s_cbranch_execz .LBB68_2
; %bb.58:                               ;   in Loop: Header=BB68_3 Depth=1
	v_sub_nc_u32_e32 v5, v3, v26
	s_mov_b32 s18, exec_lo
	s_delay_alu instid0(VALU_DEP_1) | instskip(NEXT) | instid1(VALU_DEP_1)
	v_ashrrev_i32_e32 v6, 31, v5
	v_cmpx_gt_i64_e64 s[4:5], v[5:6]
	s_cbranch_execz .LBB68_60
; %bb.59:                               ;   in Loop: Header=BB68_3 Depth=1
	v_add_nc_u32_e32 v5, s3, v4
	s_delay_alu instid0(VALU_DEP_1) | instskip(NEXT) | instid1(VALU_DEP_1)
	v_ashrrev_i32_e32 v6, 31, v5
	v_lshlrev_b64_e32 v[5:6], 1, v[5:6]
	s_delay_alu instid0(VALU_DEP_1) | instskip(SKIP_1) | instid1(VALU_DEP_2)
	v_add_co_u32 v5, vcc_lo, s16, v5
	s_wait_alu 0xfffd
	v_add_co_ci_u32_e64 v6, null, s17, v6, vcc_lo
	global_store_b16 v[5:6], v2, off
.LBB68_60:                              ;   in Loop: Header=BB68_3 Depth=1
	s_wait_alu 0xfffe
	s_or_b32 exec_lo, exec_lo, s18
	v_add_nc_u32_e32 v3, 2, v27
	s_delay_alu instid0(VALU_DEP_1)
	v_cmp_gt_i32_e32 vcc_lo, s2, v3
	s_and_b32 exec_lo, exec_lo, vcc_lo
	s_cbranch_execz .LBB68_2
; %bb.61:                               ;   in Loop: Header=BB68_3 Depth=1
	v_sub_nc_u32_e32 v5, v3, v26
	s_mov_b32 s18, exec_lo
	s_delay_alu instid0(VALU_DEP_1) | instskip(NEXT) | instid1(VALU_DEP_1)
	v_ashrrev_i32_e32 v6, 31, v5
	v_cmpx_gt_i64_e64 s[4:5], v[5:6]
	s_cbranch_execz .LBB68_63
; %bb.62:                               ;   in Loop: Header=BB68_3 Depth=1
	v_lshl_add_u32 v5, s3, 1, v4
	s_delay_alu instid0(VALU_DEP_1) | instskip(NEXT) | instid1(VALU_DEP_1)
	v_ashrrev_i32_e32 v6, 31, v5
	v_lshlrev_b64_e32 v[5:6], 1, v[5:6]
	s_delay_alu instid0(VALU_DEP_1) | instskip(SKIP_1) | instid1(VALU_DEP_2)
	v_add_co_u32 v5, vcc_lo, s16, v5
	s_wait_alu 0xfffd
	v_add_co_ci_u32_e64 v6, null, s17, v6, vcc_lo
	global_store_b16 v[5:6], v2, off
.LBB68_63:                              ;   in Loop: Header=BB68_3 Depth=1
	s_wait_alu 0xfffe
	s_or_b32 exec_lo, exec_lo, s18
	v_add_nc_u32_e32 v3, 3, v27
	s_delay_alu instid0(VALU_DEP_1)
	v_cmp_gt_i32_e32 vcc_lo, s2, v3
	s_and_b32 exec_lo, exec_lo, vcc_lo
	s_cbranch_execz .LBB68_2
; %bb.64:                               ;   in Loop: Header=BB68_3 Depth=1
	v_sub_nc_u32_e32 v5, v3, v26
	s_delay_alu instid0(VALU_DEP_1) | instskip(NEXT) | instid1(VALU_DEP_1)
	v_ashrrev_i32_e32 v6, 31, v5
	v_cmp_gt_i64_e32 vcc_lo, s[4:5], v[5:6]
	s_and_b32 exec_lo, exec_lo, vcc_lo
	s_cbranch_execz .LBB68_2
; %bb.65:                               ;   in Loop: Header=BB68_3 Depth=1
	v_mad_co_u64_u32 v[3:4], null, s3, 3, v[4:5]
	s_delay_alu instid0(VALU_DEP_1) | instskip(NEXT) | instid1(VALU_DEP_1)
	v_ashrrev_i32_e32 v4, 31, v3
	v_lshlrev_b64_e32 v[3:4], 1, v[3:4]
	s_delay_alu instid0(VALU_DEP_1) | instskip(SKIP_1) | instid1(VALU_DEP_2)
	v_add_co_u32 v3, vcc_lo, s16, v3
	s_wait_alu 0xfffd
	v_add_co_ci_u32_e64 v4, null, s17, v4, vcc_lo
	global_store_b16 v[3:4], v2, off
	s_branch .LBB68_2
.LBB68_66:
	s_endpgm
	.section	.rodata,"a",@progbits
	.p2align	6, 0x0
	.amdhsa_kernel _ZN2at6native16triu_tril_kernelIsiLb1ELi4ELb1EEEvNS_4cuda6detail10TensorInfoIT_T0_EENS4_IKS5_S6_EEllS6_
		.amdhsa_group_segment_fixed_size 0
		.amdhsa_private_segment_fixed_size 0
		.amdhsa_kernarg_size 712
		.amdhsa_user_sgpr_count 2
		.amdhsa_user_sgpr_dispatch_ptr 0
		.amdhsa_user_sgpr_queue_ptr 0
		.amdhsa_user_sgpr_kernarg_segment_ptr 1
		.amdhsa_user_sgpr_dispatch_id 0
		.amdhsa_user_sgpr_private_segment_size 0
		.amdhsa_wavefront_size32 1
		.amdhsa_uses_dynamic_stack 0
		.amdhsa_enable_private_segment 0
		.amdhsa_system_sgpr_workgroup_id_x 1
		.amdhsa_system_sgpr_workgroup_id_y 0
		.amdhsa_system_sgpr_workgroup_id_z 0
		.amdhsa_system_sgpr_workgroup_info 0
		.amdhsa_system_vgpr_workitem_id 0
		.amdhsa_next_free_vgpr 32
		.amdhsa_next_free_sgpr 66
		.amdhsa_reserve_vcc 1
		.amdhsa_float_round_mode_32 0
		.amdhsa_float_round_mode_16_64 0
		.amdhsa_float_denorm_mode_32 3
		.amdhsa_float_denorm_mode_16_64 3
		.amdhsa_fp16_overflow 0
		.amdhsa_workgroup_processor_mode 1
		.amdhsa_memory_ordered 1
		.amdhsa_forward_progress 1
		.amdhsa_inst_pref_size 97
		.amdhsa_round_robin_scheduling 0
		.amdhsa_exception_fp_ieee_invalid_op 0
		.amdhsa_exception_fp_denorm_src 0
		.amdhsa_exception_fp_ieee_div_zero 0
		.amdhsa_exception_fp_ieee_overflow 0
		.amdhsa_exception_fp_ieee_underflow 0
		.amdhsa_exception_fp_ieee_inexact 0
		.amdhsa_exception_int_div_zero 0
	.end_amdhsa_kernel
	.section	.text._ZN2at6native16triu_tril_kernelIsiLb1ELi4ELb1EEEvNS_4cuda6detail10TensorInfoIT_T0_EENS4_IKS5_S6_EEllS6_,"axG",@progbits,_ZN2at6native16triu_tril_kernelIsiLb1ELi4ELb1EEEvNS_4cuda6detail10TensorInfoIT_T0_EENS4_IKS5_S6_EEllS6_,comdat
.Lfunc_end68:
	.size	_ZN2at6native16triu_tril_kernelIsiLb1ELi4ELb1EEEvNS_4cuda6detail10TensorInfoIT_T0_EENS4_IKS5_S6_EEllS6_, .Lfunc_end68-_ZN2at6native16triu_tril_kernelIsiLb1ELi4ELb1EEEvNS_4cuda6detail10TensorInfoIT_T0_EENS4_IKS5_S6_EEllS6_
                                        ; -- End function
	.set _ZN2at6native16triu_tril_kernelIsiLb1ELi4ELb1EEEvNS_4cuda6detail10TensorInfoIT_T0_EENS4_IKS5_S6_EEllS6_.num_vgpr, 32
	.set _ZN2at6native16triu_tril_kernelIsiLb1ELi4ELb1EEEvNS_4cuda6detail10TensorInfoIT_T0_EENS4_IKS5_S6_EEllS6_.num_agpr, 0
	.set _ZN2at6native16triu_tril_kernelIsiLb1ELi4ELb1EEEvNS_4cuda6detail10TensorInfoIT_T0_EENS4_IKS5_S6_EEllS6_.numbered_sgpr, 66
	.set _ZN2at6native16triu_tril_kernelIsiLb1ELi4ELb1EEEvNS_4cuda6detail10TensorInfoIT_T0_EENS4_IKS5_S6_EEllS6_.num_named_barrier, 0
	.set _ZN2at6native16triu_tril_kernelIsiLb1ELi4ELb1EEEvNS_4cuda6detail10TensorInfoIT_T0_EENS4_IKS5_S6_EEllS6_.private_seg_size, 0
	.set _ZN2at6native16triu_tril_kernelIsiLb1ELi4ELb1EEEvNS_4cuda6detail10TensorInfoIT_T0_EENS4_IKS5_S6_EEllS6_.uses_vcc, 1
	.set _ZN2at6native16triu_tril_kernelIsiLb1ELi4ELb1EEEvNS_4cuda6detail10TensorInfoIT_T0_EENS4_IKS5_S6_EEllS6_.uses_flat_scratch, 0
	.set _ZN2at6native16triu_tril_kernelIsiLb1ELi4ELb1EEEvNS_4cuda6detail10TensorInfoIT_T0_EENS4_IKS5_S6_EEllS6_.has_dyn_sized_stack, 0
	.set _ZN2at6native16triu_tril_kernelIsiLb1ELi4ELb1EEEvNS_4cuda6detail10TensorInfoIT_T0_EENS4_IKS5_S6_EEllS6_.has_recursion, 0
	.set _ZN2at6native16triu_tril_kernelIsiLb1ELi4ELb1EEEvNS_4cuda6detail10TensorInfoIT_T0_EENS4_IKS5_S6_EEllS6_.has_indirect_call, 0
	.section	.AMDGPU.csdata,"",@progbits
; Kernel info:
; codeLenInByte = 12372
; TotalNumSgprs: 68
; NumVgprs: 32
; ScratchSize: 0
; MemoryBound: 0
; FloatMode: 240
; IeeeMode: 1
; LDSByteSize: 0 bytes/workgroup (compile time only)
; SGPRBlocks: 0
; VGPRBlocks: 3
; NumSGPRsForWavesPerEU: 68
; NumVGPRsForWavesPerEU: 32
; Occupancy: 16
; WaveLimiterHint : 0
; COMPUTE_PGM_RSRC2:SCRATCH_EN: 0
; COMPUTE_PGM_RSRC2:USER_SGPR: 2
; COMPUTE_PGM_RSRC2:TRAP_HANDLER: 0
; COMPUTE_PGM_RSRC2:TGID_X_EN: 1
; COMPUTE_PGM_RSRC2:TGID_Y_EN: 0
; COMPUTE_PGM_RSRC2:TGID_Z_EN: 0
; COMPUTE_PGM_RSRC2:TIDIG_COMP_CNT: 0
	.section	.text._ZN2at6native16triu_tril_kernelIsiLb1ELi4ELb0EEEvNS_4cuda6detail10TensorInfoIT_T0_EENS4_IKS5_S6_EEllS6_,"axG",@progbits,_ZN2at6native16triu_tril_kernelIsiLb1ELi4ELb0EEEvNS_4cuda6detail10TensorInfoIT_T0_EENS4_IKS5_S6_EEllS6_,comdat
	.protected	_ZN2at6native16triu_tril_kernelIsiLb1ELi4ELb0EEEvNS_4cuda6detail10TensorInfoIT_T0_EENS4_IKS5_S6_EEllS6_ ; -- Begin function _ZN2at6native16triu_tril_kernelIsiLb1ELi4ELb0EEEvNS_4cuda6detail10TensorInfoIT_T0_EENS4_IKS5_S6_EEllS6_
	.globl	_ZN2at6native16triu_tril_kernelIsiLb1ELi4ELb0EEEvNS_4cuda6detail10TensorInfoIT_T0_EENS4_IKS5_S6_EEllS6_
	.p2align	8
	.type	_ZN2at6native16triu_tril_kernelIsiLb1ELi4ELb0EEEvNS_4cuda6detail10TensorInfoIT_T0_EENS4_IKS5_S6_EEllS6_,@function
_ZN2at6native16triu_tril_kernelIsiLb1ELi4ELb0EEEvNS_4cuda6detail10TensorInfoIT_T0_EENS4_IKS5_S6_EEllS6_: ; @_ZN2at6native16triu_tril_kernelIsiLb1ELi4ELb0EEEvNS_4cuda6detail10TensorInfoIT_T0_EENS4_IKS5_S6_EEllS6_
; %bb.0:
	s_clause 0x1
	s_load_b32 s2, s[0:1], 0x1d4
	s_load_b128 s[4:7], s[0:1], 0x1b0
	v_mov_b32_e32 v2, 0
	s_delay_alu instid0(VALU_DEP_1) | instskip(SKIP_3) | instid1(VALU_DEP_1)
	v_mov_b32_e32 v1, v2
	s_wait_kmcnt 0x0
	s_and_b32 s16, s2, 0xffff
	s_mov_b32 s2, exec_lo
	v_mad_co_u64_u32 v[0:1], null, s16, ttmp9, v[0:1]
	s_delay_alu instid0(VALU_DEP_1) | instskip(NEXT) | instid1(VALU_DEP_1)
	v_lshlrev_b64_e32 v[0:1], 2, v[0:1]
	v_cmpx_gt_i64_e64 s[6:7], v[0:1]
	s_cbranch_execz .LBB69_53
; %bb.1:
	s_clause 0x2
	s_load_b32 s34, s[0:1], 0x1a8
	s_load_b32 s8, s[0:1], 0x1c0
	s_load_b64 s[10:11], s[0:1], 0xd8
	s_add_nc_u64 s[12:13], s[0:1], 0xd8
	s_add_nc_u64 s[18:19], s[0:1], 0x1c8
	s_mov_b32 s17, 0
	s_mov_b32 s20, s4
	;; [unrolled: 1-line block ×6, first 2 shown]
	s_wait_kmcnt 0x0
	s_ashr_i32 s35, s34, 31
	v_cvt_f32_u32_e32 v3, s8
	s_lshl_b64 s[22:23], s[34:35], 2
	s_and_b32 s56, s34, 3
	s_add_nc_u64 s[24:25], s[12:13], s[22:23]
	s_add_nc_u64 s[26:27], s[0:1], s[22:23]
	s_clause 0x1
	s_load_b64 s[2:3], s[24:25], 0x0
	s_load_b64 s[14:15], s[0:1], 0x0
	s_load_b32 s31, s[18:19], 0x0
	v_rcp_iflag_f32_e32 v3, v3
	s_clause 0x1
	s_load_b64 s[22:23], s[24:25], 0x64
	s_load_b64 s[26:27], s[26:27], 0x64
	s_ashr_i32 s9, s8, 31
	s_add_co_i32 s33, s34, -3
	v_cmp_gt_i64_e64 s57, s[34:35], 2
	s_mov_b32 s18, s4
	s_mov_b32 s19, s5
	;; [unrolled: 1-line block ×4, first 2 shown]
	v_mul_f32_e32 v3, 0x4f7ffffe, v3
	s_delay_alu instid0(VALU_DEP_1)
	v_cvt_u32_f32_e32 v18, v3
	s_wait_kmcnt 0x0
	s_mov_b32 s30, s2
	s_mul_i32 s31, s31, s16
	v_cvt_f32_u32_e32 v4, s30
	s_lshl_b32 s58, s31, 2
	s_ashr_i32 s31, s2, 31
	s_cmp_lg_u32 s56, 2
	s_mov_b32 s34, s23
	v_rcp_iflag_f32_e32 v4, v4
	s_cselect_b32 s59, -1, 0
	s_cmp_gt_u32 s33, 2
	s_mov_b32 s36, s27
	s_cselect_b32 s60, -1, 0
	s_ashr_i32 s35, s23, 31
	s_add_co_i32 s23, s23, s23
	s_ashr_i32 s37, s27, 31
	s_add_co_i32 s27, s27, s27
	s_wait_alu 0xfffe
	s_ashr_i32 s38, s9, 31
	v_mul_f32_e32 v3, 0x4f7ffffe, v4
	s_delay_alu instid0(VALU_DEP_1)
	v_cvt_u32_f32_e32 v19, v3
	s_branch .LBB69_3
.LBB69_2:                               ;   in Loop: Header=BB69_3 Depth=1
	s_wait_alu 0xfffe
	s_or_b32 exec_lo, exec_lo, s2
	v_add_co_u32 v0, vcc_lo, v0, s58
	s_wait_alu 0xfffd
	v_add_co_ci_u32_e64 v1, null, 0, v1, vcc_lo
	s_delay_alu instid0(VALU_DEP_1) | instskip(SKIP_1) | instid1(SALU_CYCLE_1)
	v_cmp_le_i64_e32 vcc_lo, s[6:7], v[0:1]
	s_or_b32 s61, vcc_lo, s61
	s_and_not1_b32 exec_lo, exec_lo, s61
	s_cbranch_execz .LBB69_53
.LBB69_3:                               ; =>This Loop Header: Depth=1
                                        ;     Child Loop BB69_15 Depth 2
                                        ;     Child Loop BB69_20 Depth 2
	v_or_b32_e32 v3, s9, v1
                                        ; implicit-def: $vgpr4_vgpr5
	s_mov_b32 s2, exec_lo
	s_delay_alu instid0(VALU_DEP_1)
	v_cmpx_ne_u64_e32 0, v[2:3]
	s_wait_alu 0xfffe
	s_xor_b32 s42, exec_lo, s2
	s_cbranch_execz .LBB69_5
; %bb.4:                                ;   in Loop: Header=BB69_3 Depth=1
	s_mov_b32 s39, s38
	v_ashrrev_i32_e32 v9, 31, v1
	s_wait_alu 0xfffe
	s_add_nc_u64 s[40:41], s[8:9], s[38:39]
	s_wait_alu 0xfffe
	s_xor_b64 s[40:41], s[40:41], s[38:39]
	v_add_co_u32 v3, vcc_lo, v0, v9
	s_wait_alu 0xfffe
	s_cvt_f32_u32 s2, s40
	s_cvt_f32_u32 s16, s41
	s_sub_nc_u64 s[46:47], 0, s[40:41]
	s_wait_alu 0xfffd
	v_add_co_ci_u32_e64 v4, null, v1, v9, vcc_lo
	s_wait_alu 0xfffe
	s_fmamk_f32 s2, s16, 0x4f800000, s2
	v_xor_b32_e32 v10, v3, v9
	s_delay_alu instid0(VALU_DEP_2) | instskip(SKIP_2) | instid1(TRANS32_DEP_1)
	v_xor_b32_e32 v11, v4, v9
	s_wait_alu 0xfffe
	v_s_rcp_f32 s2, s2
	s_mul_f32 s2, s2, 0x5f7ffffc
	s_wait_alu 0xfffe
	s_delay_alu instid0(SALU_CYCLE_2) | instskip(SKIP_1) | instid1(SALU_CYCLE_2)
	s_mul_f32 s16, s2, 0x2f800000
	s_wait_alu 0xfffe
	s_trunc_f32 s16, s16
	s_wait_alu 0xfffe
	s_delay_alu instid0(SALU_CYCLE_2) | instskip(SKIP_2) | instid1(SALU_CYCLE_1)
	s_fmamk_f32 s2, s16, 0xcf800000, s2
	s_cvt_u32_f32 s45, s16
	s_wait_alu 0xfffe
	s_cvt_u32_f32 s44, s2
	s_wait_alu 0xfffe
	s_delay_alu instid0(SALU_CYCLE_2)
	s_mul_u64 s[48:49], s[46:47], s[44:45]
	s_wait_alu 0xfffe
	s_mul_hi_u32 s51, s44, s49
	s_mul_i32 s50, s44, s49
	s_mul_hi_u32 s16, s44, s48
	s_mul_i32 s39, s45, s48
	s_wait_alu 0xfffe
	s_add_nc_u64 s[50:51], s[16:17], s[50:51]
	s_mul_hi_u32 s2, s45, s48
	s_mul_hi_u32 s43, s45, s49
	s_wait_alu 0xfffe
	s_add_co_u32 s16, s50, s39
	s_add_co_ci_u32 s16, s51, s2
	s_mul_i32 s48, s45, s49
	s_add_co_ci_u32 s49, s43, 0
	s_wait_alu 0xfffe
	s_add_nc_u64 s[48:49], s[16:17], s[48:49]
	s_wait_alu 0xfffe
	s_add_co_u32 s44, s44, s48
	s_cselect_b32 s2, -1, 0
	s_wait_alu 0xfffe
	s_cmp_lg_u32 s2, 0
	s_add_co_ci_u32 s45, s45, s49
	s_wait_alu 0xfffe
	s_mul_u64 s[46:47], s[46:47], s[44:45]
	s_wait_alu 0xfffe
	s_mul_hi_u32 s49, s44, s47
	s_mul_i32 s48, s44, s47
	s_mul_hi_u32 s16, s44, s46
	s_mul_i32 s39, s45, s46
	s_wait_alu 0xfffe
	s_add_nc_u64 s[48:49], s[16:17], s[48:49]
	s_mul_hi_u32 s2, s45, s46
	s_mul_hi_u32 s43, s45, s47
	s_wait_alu 0xfffe
	s_add_co_u32 s16, s48, s39
	s_add_co_ci_u32 s16, s49, s2
	s_mul_i32 s46, s45, s47
	s_add_co_ci_u32 s47, s43, 0
	s_wait_alu 0xfffe
	s_add_nc_u64 s[46:47], s[16:17], s[46:47]
	s_wait_alu 0xfffe
	s_add_co_u32 s2, s44, s46
	s_cselect_b32 s16, -1, 0
	s_wait_alu 0xfffe
	v_mul_hi_u32 v12, v10, s2
	s_cmp_lg_u32 s16, 0
	v_mad_co_u64_u32 v[5:6], null, v11, s2, 0
	s_add_co_ci_u32 s16, s45, s47
	s_wait_alu 0xfffe
	v_mad_co_u64_u32 v[3:4], null, v10, s16, 0
	v_mad_co_u64_u32 v[7:8], null, v11, s16, 0
	s_delay_alu instid0(VALU_DEP_2) | instskip(SKIP_1) | instid1(VALU_DEP_3)
	v_add_co_u32 v3, vcc_lo, v12, v3
	s_wait_alu 0xfffd
	v_add_co_ci_u32_e64 v4, null, 0, v4, vcc_lo
	s_delay_alu instid0(VALU_DEP_2) | instskip(SKIP_1) | instid1(VALU_DEP_2)
	v_add_co_u32 v3, vcc_lo, v3, v5
	s_wait_alu 0xfffd
	v_add_co_ci_u32_e32 v3, vcc_lo, v4, v6, vcc_lo
	s_wait_alu 0xfffd
	v_add_co_ci_u32_e32 v4, vcc_lo, 0, v8, vcc_lo
	s_delay_alu instid0(VALU_DEP_2) | instskip(SKIP_1) | instid1(VALU_DEP_2)
	v_add_co_u32 v5, vcc_lo, v3, v7
	s_wait_alu 0xfffd
	v_add_co_ci_u32_e64 v6, null, 0, v4, vcc_lo
	s_delay_alu instid0(VALU_DEP_2) | instskip(SKIP_1) | instid1(VALU_DEP_3)
	v_mul_lo_u32 v7, s41, v5
	v_mad_co_u64_u32 v[3:4], null, s40, v5, 0
	v_mul_lo_u32 v8, s40, v6
	s_delay_alu instid0(VALU_DEP_2) | instskip(NEXT) | instid1(VALU_DEP_2)
	v_sub_co_u32 v3, vcc_lo, v10, v3
	v_add3_u32 v4, v4, v8, v7
	v_add_co_u32 v8, s2, v5, 2
	s_wait_alu 0xf1ff
	v_add_co_ci_u32_e64 v10, null, 0, v6, s2
	s_delay_alu instid0(VALU_DEP_3) | instskip(SKIP_3) | instid1(VALU_DEP_3)
	v_sub_nc_u32_e32 v7, v11, v4
	v_sub_co_u32 v12, s2, v3, s40
	s_wait_alu 0xfffd
	v_sub_co_ci_u32_e64 v4, null, v11, v4, vcc_lo
	v_subrev_co_ci_u32_e64 v7, null, s41, v7, vcc_lo
	s_delay_alu instid0(VALU_DEP_3) | instskip(SKIP_1) | instid1(VALU_DEP_2)
	v_cmp_le_u32_e32 vcc_lo, s40, v12
	s_wait_alu 0xf1ff
	v_subrev_co_ci_u32_e64 v7, null, 0, v7, s2
	s_wait_alu 0xfffd
	v_cndmask_b32_e64 v11, 0, -1, vcc_lo
	s_delay_alu instid0(VALU_DEP_2)
	v_cmp_le_u32_e32 vcc_lo, s41, v7
	s_wait_alu 0xfffd
	v_cndmask_b32_e64 v12, 0, -1, vcc_lo
	v_cmp_le_u32_e32 vcc_lo, s40, v3
	s_wait_alu 0xfffd
	v_cndmask_b32_e64 v3, 0, -1, vcc_lo
	;; [unrolled: 3-line block ×3, first 2 shown]
	v_cmp_eq_u32_e32 vcc_lo, s41, v7
	s_wait_alu 0xfffd
	v_cndmask_b32_e32 v7, v12, v11, vcc_lo
	v_add_co_u32 v11, vcc_lo, v5, 1
	s_wait_alu 0xfffd
	v_add_co_ci_u32_e64 v12, null, 0, v6, vcc_lo
	v_cmp_eq_u32_e32 vcc_lo, s41, v4
	s_wait_alu 0xfffd
	v_cndmask_b32_e32 v3, v13, v3, vcc_lo
	v_cmp_ne_u32_e32 vcc_lo, 0, v7
	v_xor_b32_e32 v7, s38, v9
	s_wait_alu 0xfffd
	v_cndmask_b32_e32 v4, v12, v10, vcc_lo
	v_cmp_ne_u32_e64 s2, 0, v3
	v_cndmask_b32_e32 v3, v11, v8, vcc_lo
	s_wait_alu 0xf1ff
	s_delay_alu instid0(VALU_DEP_2) | instskip(NEXT) | instid1(VALU_DEP_2)
	v_cndmask_b32_e64 v4, v6, v4, s2
	v_cndmask_b32_e64 v3, v5, v3, s2
	s_delay_alu instid0(VALU_DEP_2) | instskip(NEXT) | instid1(VALU_DEP_2)
	v_xor_b32_e32 v5, v4, v7
	v_xor_b32_e32 v3, v3, v7
	s_delay_alu instid0(VALU_DEP_1) | instskip(SKIP_1) | instid1(VALU_DEP_3)
	v_sub_co_u32 v4, vcc_lo, v3, v7
	s_wait_alu 0xfffd
	v_sub_co_ci_u32_e64 v5, null, v5, v7, vcc_lo
.LBB69_5:                               ;   in Loop: Header=BB69_3 Depth=1
	s_wait_alu 0xfffe
	s_and_not1_saveexec_b32 s2, s42
	s_cbranch_execz .LBB69_7
; %bb.6:                                ;   in Loop: Header=BB69_3 Depth=1
	s_sub_co_i32 s16, 0, s8
	s_wait_alu 0xfffe
	v_mul_lo_u32 v3, s16, v18
	s_delay_alu instid0(VALU_DEP_1) | instskip(NEXT) | instid1(VALU_DEP_1)
	v_mul_hi_u32 v3, v18, v3
	v_add_nc_u32_e32 v3, v18, v3
	s_delay_alu instid0(VALU_DEP_1) | instskip(NEXT) | instid1(VALU_DEP_1)
	v_mul_hi_u32 v3, v0, v3
	v_mul_lo_u32 v4, v3, s8
	v_add_nc_u32_e32 v5, 1, v3
	s_delay_alu instid0(VALU_DEP_2) | instskip(NEXT) | instid1(VALU_DEP_1)
	v_sub_nc_u32_e32 v4, v0, v4
	v_subrev_nc_u32_e32 v6, s8, v4
	v_cmp_le_u32_e32 vcc_lo, s8, v4
	s_wait_alu 0xfffd
	s_delay_alu instid0(VALU_DEP_2) | instskip(NEXT) | instid1(VALU_DEP_1)
	v_dual_cndmask_b32 v4, v4, v6 :: v_dual_cndmask_b32 v3, v3, v5
	v_cmp_le_u32_e32 vcc_lo, s8, v4
	s_delay_alu instid0(VALU_DEP_2) | instskip(SKIP_1) | instid1(VALU_DEP_1)
	v_add_nc_u32_e32 v5, 1, v3
	s_wait_alu 0xfffd
	v_dual_cndmask_b32 v4, v3, v5 :: v_dual_mov_b32 v5, v2
.LBB69_7:                               ;   in Loop: Header=BB69_3 Depth=1
	s_wait_alu 0xfffe
	s_or_b32 exec_lo, exec_lo, s2
	s_delay_alu instid0(VALU_DEP_1) | instskip(SKIP_1) | instid1(VALU_DEP_1)
	v_or_b32_e32 v3, s31, v5
                                        ; implicit-def: $vgpr8_vgpr9
	s_mov_b32 s2, exec_lo
	v_cmpx_ne_u64_e32 0, v[2:3]
	s_wait_alu 0xfffe
	s_xor_b32 s39, exec_lo, s2
	s_cbranch_execz .LBB69_9
; %bb.8:                                ;   in Loop: Header=BB69_3 Depth=1
	s_ashr_i32 s40, s31, 31
	v_ashrrev_i32_e32 v3, 31, v5
	s_wait_alu 0xfffe
	s_mov_b32 s41, s40
	s_wait_alu 0xfffe
	s_add_nc_u64 s[42:43], s[30:31], s[40:41]
	v_add_co_u32 v6, vcc_lo, v4, v3
	s_wait_alu 0xfffe
	s_xor_b64 s[42:43], s[42:43], s[40:41]
	s_wait_alu 0xfffd
	v_add_co_ci_u32_e64 v5, null, v5, v3, vcc_lo
	s_wait_alu 0xfffe
	s_cvt_f32_u32 s2, s42
	s_cvt_f32_u32 s16, s43
	s_sub_nc_u64 s[46:47], 0, s[42:43]
	v_xor_b32_e32 v11, v6, v3
	v_xor_b32_e32 v12, v5, v3
	s_wait_alu 0xfffe
	s_fmamk_f32 s2, s16, 0x4f800000, s2
	v_xor_b32_e32 v3, s40, v3
	s_wait_alu 0xfffe
	s_delay_alu instid0(SALU_CYCLE_1) | instskip(NEXT) | instid1(TRANS32_DEP_1)
	v_s_rcp_f32 s2, s2
	s_mul_f32 s2, s2, 0x5f7ffffc
	s_wait_alu 0xfffe
	s_delay_alu instid0(SALU_CYCLE_2) | instskip(SKIP_1) | instid1(SALU_CYCLE_2)
	s_mul_f32 s16, s2, 0x2f800000
	s_wait_alu 0xfffe
	s_trunc_f32 s16, s16
	s_wait_alu 0xfffe
	s_delay_alu instid0(SALU_CYCLE_2) | instskip(SKIP_2) | instid1(SALU_CYCLE_1)
	s_fmamk_f32 s2, s16, 0xcf800000, s2
	s_cvt_u32_f32 s45, s16
	s_wait_alu 0xfffe
	s_cvt_u32_f32 s44, s2
	s_wait_alu 0xfffe
	s_delay_alu instid0(SALU_CYCLE_2)
	s_mul_u64 s[48:49], s[46:47], s[44:45]
	s_wait_alu 0xfffe
	s_mul_hi_u32 s51, s44, s49
	s_mul_i32 s50, s44, s49
	s_mul_hi_u32 s16, s44, s48
	s_mul_i32 s41, s45, s48
	s_wait_alu 0xfffe
	s_add_nc_u64 s[50:51], s[16:17], s[50:51]
	s_mul_hi_u32 s2, s45, s48
	s_mul_hi_u32 s52, s45, s49
	s_wait_alu 0xfffe
	s_add_co_u32 s16, s50, s41
	s_add_co_ci_u32 s16, s51, s2
	s_mul_i32 s48, s45, s49
	s_add_co_ci_u32 s49, s52, 0
	s_wait_alu 0xfffe
	s_add_nc_u64 s[48:49], s[16:17], s[48:49]
	s_wait_alu 0xfffe
	s_add_co_u32 s44, s44, s48
	s_cselect_b32 s2, -1, 0
	s_wait_alu 0xfffe
	s_cmp_lg_u32 s2, 0
	s_add_co_ci_u32 s45, s45, s49
	s_wait_alu 0xfffe
	s_mul_u64 s[46:47], s[46:47], s[44:45]
	s_wait_alu 0xfffe
	s_mul_hi_u32 s49, s44, s47
	s_mul_i32 s48, s44, s47
	s_mul_hi_u32 s16, s44, s46
	s_mul_i32 s41, s45, s46
	s_wait_alu 0xfffe
	s_add_nc_u64 s[48:49], s[16:17], s[48:49]
	s_mul_hi_u32 s2, s45, s46
	s_mul_hi_u32 s50, s45, s47
	s_wait_alu 0xfffe
	s_add_co_u32 s16, s48, s41
	s_add_co_ci_u32 s16, s49, s2
	s_mul_i32 s46, s45, s47
	s_add_co_ci_u32 s47, s50, 0
	s_wait_alu 0xfffe
	s_add_nc_u64 s[46:47], s[16:17], s[46:47]
	s_wait_alu 0xfffe
	s_add_co_u32 s2, s44, s46
	s_cselect_b32 s16, -1, 0
	s_wait_alu 0xfffe
	v_mul_hi_u32 v13, v11, s2
	s_cmp_lg_u32 s16, 0
	v_mad_co_u64_u32 v[7:8], null, v12, s2, 0
	s_add_co_ci_u32 s16, s45, s47
	s_wait_alu 0xfffe
	v_mad_co_u64_u32 v[5:6], null, v11, s16, 0
	v_mad_co_u64_u32 v[9:10], null, v12, s16, 0
	s_delay_alu instid0(VALU_DEP_2) | instskip(SKIP_1) | instid1(VALU_DEP_3)
	v_add_co_u32 v5, vcc_lo, v13, v5
	s_wait_alu 0xfffd
	v_add_co_ci_u32_e64 v6, null, 0, v6, vcc_lo
	s_delay_alu instid0(VALU_DEP_2) | instskip(SKIP_1) | instid1(VALU_DEP_2)
	v_add_co_u32 v5, vcc_lo, v5, v7
	s_wait_alu 0xfffd
	v_add_co_ci_u32_e32 v5, vcc_lo, v6, v8, vcc_lo
	s_wait_alu 0xfffd
	v_add_co_ci_u32_e32 v6, vcc_lo, 0, v10, vcc_lo
	s_delay_alu instid0(VALU_DEP_2) | instskip(SKIP_1) | instid1(VALU_DEP_2)
	v_add_co_u32 v7, vcc_lo, v5, v9
	s_wait_alu 0xfffd
	v_add_co_ci_u32_e64 v8, null, 0, v6, vcc_lo
	s_delay_alu instid0(VALU_DEP_2) | instskip(SKIP_1) | instid1(VALU_DEP_3)
	v_mul_lo_u32 v9, s43, v7
	v_mad_co_u64_u32 v[5:6], null, s42, v7, 0
	v_mul_lo_u32 v10, s42, v8
	s_delay_alu instid0(VALU_DEP_2) | instskip(NEXT) | instid1(VALU_DEP_2)
	v_sub_co_u32 v5, vcc_lo, v11, v5
	v_add3_u32 v6, v6, v10, v9
	v_add_co_u32 v10, s2, v7, 2
	s_wait_alu 0xf1ff
	v_add_co_ci_u32_e64 v11, null, 0, v8, s2
	s_delay_alu instid0(VALU_DEP_3) | instskip(SKIP_3) | instid1(VALU_DEP_3)
	v_sub_nc_u32_e32 v9, v12, v6
	v_sub_co_u32 v13, s2, v5, s42
	s_wait_alu 0xfffd
	v_sub_co_ci_u32_e64 v6, null, v12, v6, vcc_lo
	v_subrev_co_ci_u32_e64 v9, null, s43, v9, vcc_lo
	s_delay_alu instid0(VALU_DEP_3) | instskip(SKIP_1) | instid1(VALU_DEP_2)
	v_cmp_le_u32_e32 vcc_lo, s42, v13
	s_wait_alu 0xf1ff
	v_subrev_co_ci_u32_e64 v9, null, 0, v9, s2
	s_wait_alu 0xfffd
	v_cndmask_b32_e64 v12, 0, -1, vcc_lo
	s_delay_alu instid0(VALU_DEP_2)
	v_cmp_le_u32_e32 vcc_lo, s43, v9
	s_wait_alu 0xfffd
	v_cndmask_b32_e64 v13, 0, -1, vcc_lo
	v_cmp_le_u32_e32 vcc_lo, s42, v5
	s_wait_alu 0xfffd
	v_cndmask_b32_e64 v5, 0, -1, vcc_lo
	;; [unrolled: 3-line block ×3, first 2 shown]
	v_cmp_eq_u32_e32 vcc_lo, s43, v9
	s_wait_alu 0xfffd
	v_cndmask_b32_e32 v9, v13, v12, vcc_lo
	v_add_co_u32 v12, vcc_lo, v7, 1
	s_wait_alu 0xfffd
	v_add_co_ci_u32_e64 v13, null, 0, v8, vcc_lo
	v_cmp_eq_u32_e32 vcc_lo, s43, v6
	s_wait_alu 0xfffd
	v_cndmask_b32_e32 v5, v14, v5, vcc_lo
	v_cmp_ne_u32_e32 vcc_lo, 0, v9
	s_wait_alu 0xfffd
	v_cndmask_b32_e32 v6, v13, v11, vcc_lo
	s_delay_alu instid0(VALU_DEP_3) | instskip(SKIP_2) | instid1(VALU_DEP_2)
	v_cmp_ne_u32_e64 s2, 0, v5
	v_cndmask_b32_e32 v5, v12, v10, vcc_lo
	s_wait_alu 0xf1ff
	v_cndmask_b32_e64 v6, v8, v6, s2
	s_delay_alu instid0(VALU_DEP_2) | instskip(NEXT) | instid1(VALU_DEP_2)
	v_cndmask_b32_e64 v5, v7, v5, s2
	v_xor_b32_e32 v6, v6, v3
	s_delay_alu instid0(VALU_DEP_2) | instskip(NEXT) | instid1(VALU_DEP_1)
	v_xor_b32_e32 v5, v5, v3
	v_sub_co_u32 v8, vcc_lo, v5, v3
	s_wait_alu 0xfffd
	s_delay_alu instid0(VALU_DEP_3)
	v_sub_co_ci_u32_e64 v9, null, v6, v3, vcc_lo
.LBB69_9:                               ;   in Loop: Header=BB69_3 Depth=1
	s_wait_alu 0xfffe
	s_and_not1_saveexec_b32 s2, s39
	s_cbranch_execz .LBB69_11
; %bb.10:                               ;   in Loop: Header=BB69_3 Depth=1
	s_sub_co_i32 s16, 0, s30
	v_mov_b32_e32 v9, v2
	s_wait_alu 0xfffe
	v_mul_lo_u32 v3, s16, v19
	s_delay_alu instid0(VALU_DEP_1) | instskip(NEXT) | instid1(VALU_DEP_1)
	v_mul_hi_u32 v3, v19, v3
	v_add_nc_u32_e32 v3, v19, v3
	s_delay_alu instid0(VALU_DEP_1) | instskip(NEXT) | instid1(VALU_DEP_1)
	v_mul_hi_u32 v3, v4, v3
	v_mul_lo_u32 v5, v3, s30
	v_add_nc_u32_e32 v6, 1, v3
	s_delay_alu instid0(VALU_DEP_2) | instskip(NEXT) | instid1(VALU_DEP_1)
	v_sub_nc_u32_e32 v5, v4, v5
	v_cmp_le_u32_e32 vcc_lo, s30, v5
	v_subrev_nc_u32_e32 v7, s30, v5
	s_wait_alu 0xfffd
	v_cndmask_b32_e32 v3, v3, v6, vcc_lo
	s_delay_alu instid0(VALU_DEP_1) | instskip(NEXT) | instid1(VALU_DEP_3)
	v_add_nc_u32_e32 v6, 1, v3
	v_cndmask_b32_e32 v5, v5, v7, vcc_lo
	s_delay_alu instid0(VALU_DEP_1) | instskip(SKIP_1) | instid1(VALU_DEP_3)
	v_cmp_le_u32_e32 vcc_lo, s30, v5
	s_wait_alu 0xfffd
	v_cndmask_b32_e32 v8, v3, v6, vcc_lo
.LBB69_11:                              ;   in Loop: Header=BB69_3 Depth=1
	s_wait_alu 0xfffe
	s_or_b32 exec_lo, exec_lo, s2
	v_mad_co_u64_u32 v[5:6], null, v4, s8, 0
	s_delay_alu instid0(VALU_DEP_2) | instskip(SKIP_3) | instid1(VALU_DEP_2)
	v_mad_co_u64_u32 v[6:7], null, v8, s30, 0
	s_and_not1_b32 vcc_lo, exec_lo, s57
	v_sub_co_u32 v20, null, v0, v5
	v_sub_co_u32 v21, null, v4, v6
	v_mul_lo_u32 v3, s34, v20
	v_mul_lo_u32 v5, s36, v20
	s_delay_alu instid0(VALU_DEP_2) | instskip(NEXT) | instid1(VALU_DEP_1)
	v_mad_co_u64_u32 v[6:7], null, s22, v21, v[3:4]
	v_mad_co_u64_u32 v[4:5], null, s26, v21, v[5:6]
	s_wait_alu 0xfffe
	s_cbranch_vccnz .LBB69_38
; %bb.12:                               ;   in Loop: Header=BB69_3 Depth=1
	s_mov_b32 s39, 1
	s_and_not1_b32 vcc_lo, exec_lo, s59
	s_mov_b32 s16, s33
	s_mov_b32 s2, s33
	s_wait_alu 0xfffe
	s_cbranch_vccz .LBB69_15
; %bb.13:                               ;   in Loop: Header=BB69_3 Depth=1
	s_and_b32 vcc_lo, exec_lo, s60
	s_mov_b32 s16, s2
	s_wait_alu 0xfffe
	s_cbranch_vccnz .LBB69_20
	s_branch .LBB69_38
.LBB69_14:                              ;   in Loop: Header=BB69_15 Depth=2
	s_wait_alu 0xfffe
	s_or_b32 exec_lo, exec_lo, s2
	s_add_nc_u64 s[44:45], s[0:1], s[44:45]
	s_clause 0x1
	s_load_b32 s2, s[42:43], 0x6c
	s_load_b32 s41, s[44:45], 0x6c
	v_mul_lo_u32 v3, v10, s40
	s_add_co_i32 s16, s16, -1
	s_delay_alu instid0(VALU_DEP_1) | instskip(SKIP_2) | instid1(VALU_DEP_2)
	v_sub_nc_u32_e32 v3, v8, v3
	v_dual_mov_b32 v8, v10 :: v_dual_mov_b32 v9, v11
	s_wait_kmcnt 0x0
	v_mad_co_u64_u32 v[6:7], null, s2, v3, v[6:7]
	v_mad_co_u64_u32 v[4:5], null, s41, v3, v[4:5]
	s_xor_b32 s2, s56, s39
	s_add_co_i32 s39, s39, 1
	s_wait_alu 0xfffe
	s_cmp_lg_u32 s2, 2
	s_cbranch_scc0 .LBB69_19
.LBB69_15:                              ;   Parent Loop BB69_3 Depth=1
                                        ; =>  This Inner Loop Header: Depth=2
	s_lshl_b64 s[44:45], s[16:17], 2
                                        ; implicit-def: $vgpr10_vgpr11
	s_mov_b32 s2, exec_lo
	s_wait_alu 0xfffe
	s_add_nc_u64 s[42:43], s[12:13], s[44:45]
	s_load_b32 s40, s[42:43], 0x8
	s_wait_kmcnt 0x0
	s_ashr_i32 s41, s40, 31
	s_wait_alu 0xfffe
	v_or_b32_e32 v3, s41, v9
	s_delay_alu instid0(VALU_DEP_1)
	v_cmpx_ne_u64_e32 0, v[2:3]
	s_xor_b32 s50, exec_lo, s2
	s_cbranch_execz .LBB69_17
; %bb.16:                               ;   in Loop: Header=BB69_15 Depth=2
	s_ashr_i32 s46, s41, 31
	s_mov_b32 s63, s17
	s_wait_alu 0xfffe
	s_mov_b32 s47, s46
	s_mov_b32 s67, s17
	s_wait_alu 0xfffe
	s_add_nc_u64 s[48:49], s[40:41], s[46:47]
	v_ashrrev_i32_e32 v3, 31, v9
	s_wait_alu 0xfffe
	s_xor_b64 s[48:49], s[48:49], s[46:47]
	s_wait_alu 0xfffe
	s_cvt_f32_u32 s2, s48
	s_cvt_f32_u32 s41, s49
	s_sub_nc_u64 s[54:55], 0, s[48:49]
	v_add_co_u32 v5, vcc_lo, v8, v3
	s_wait_alu 0xfffe
	s_fmamk_f32 s2, s41, 0x4f800000, s2
	s_wait_alu 0xfffd
	v_add_co_ci_u32_e64 v7, null, v9, v3, vcc_lo
	v_xor_b32_e32 v5, v5, v3
	s_wait_alu 0xfffe
	v_s_rcp_f32 s2, s2
	s_delay_alu instid0(VALU_DEP_2) | instskip(SKIP_1) | instid1(TRANS32_DEP_1)
	v_xor_b32_e32 v7, v7, v3
	v_xor_b32_e32 v3, s46, v3
	s_mul_f32 s2, s2, 0x5f7ffffc
	s_wait_alu 0xfffe
	s_delay_alu instid0(SALU_CYCLE_2) | instskip(SKIP_1) | instid1(SALU_CYCLE_2)
	s_mul_f32 s41, s2, 0x2f800000
	s_wait_alu 0xfffe
	s_trunc_f32 s41, s41
	s_wait_alu 0xfffe
	s_delay_alu instid0(SALU_CYCLE_2) | instskip(SKIP_2) | instid1(SALU_CYCLE_1)
	s_fmamk_f32 s2, s41, 0xcf800000, s2
	s_cvt_u32_f32 s53, s41
	s_wait_alu 0xfffe
	s_cvt_u32_f32 s52, s2
	s_wait_alu 0xfffe
	s_delay_alu instid0(SALU_CYCLE_2) | instskip(NEXT) | instid1(SALU_CYCLE_1)
	s_mul_u64 s[64:65], s[54:55], s[52:53]
	s_mul_hi_u32 s69, s52, s65
	s_mul_i32 s68, s52, s65
	s_mul_hi_u32 s62, s52, s64
	s_mul_i32 s41, s53, s64
	s_wait_alu 0xfffe
	s_add_nc_u64 s[62:63], s[62:63], s[68:69]
	s_mul_hi_u32 s2, s53, s64
	s_mul_hi_u32 s47, s53, s65
	s_wait_alu 0xfffe
	s_add_co_u32 s41, s62, s41
	s_add_co_ci_u32 s66, s63, s2
	s_mul_i32 s64, s53, s65
	s_add_co_ci_u32 s65, s47, 0
	s_delay_alu instid0(SALU_CYCLE_1)
	s_add_nc_u64 s[62:63], s[66:67], s[64:65]
	s_mov_b32 s65, s17
	s_wait_alu 0xfffe
	s_add_co_u32 s52, s52, s62
	s_cselect_b32 s2, -1, 0
	s_wait_alu 0xfffe
	s_cmp_lg_u32 s2, 0
	s_add_co_ci_u32 s53, s53, s63
	s_mov_b32 s63, s17
	s_wait_alu 0xfffe
	s_mul_u64 s[54:55], s[54:55], s[52:53]
	s_wait_alu 0xfffe
	s_mul_hi_u32 s67, s52, s55
	s_mul_i32 s66, s52, s55
	s_mul_hi_u32 s64, s52, s54
	s_mul_i32 s41, s53, s54
	s_add_nc_u64 s[64:65], s[64:65], s[66:67]
	s_mul_hi_u32 s2, s53, s54
	s_mul_hi_u32 s47, s53, s55
	s_wait_alu 0xfffe
	s_add_co_u32 s41, s64, s41
	s_add_co_ci_u32 s62, s65, s2
	s_mul_i32 s54, s53, s55
	s_add_co_ci_u32 s55, s47, 0
	s_wait_alu 0xfffe
	s_add_nc_u64 s[54:55], s[62:63], s[54:55]
	s_wait_alu 0xfffe
	s_add_co_u32 s2, s52, s54
	s_cselect_b32 s41, -1, 0
	s_wait_alu 0xfffe
	v_mul_hi_u32 v15, v5, s2
	s_cmp_lg_u32 s41, 0
	v_mad_co_u64_u32 v[11:12], null, v7, s2, 0
	s_add_co_ci_u32 s41, s53, s55
	s_wait_alu 0xfffe
	v_mad_co_u64_u32 v[9:10], null, v5, s41, 0
	v_mad_co_u64_u32 v[13:14], null, v7, s41, 0
	s_delay_alu instid0(VALU_DEP_2) | instskip(SKIP_1) | instid1(VALU_DEP_3)
	v_add_co_u32 v9, vcc_lo, v15, v9
	s_wait_alu 0xfffd
	v_add_co_ci_u32_e64 v10, null, 0, v10, vcc_lo
	s_delay_alu instid0(VALU_DEP_2) | instskip(SKIP_1) | instid1(VALU_DEP_2)
	v_add_co_u32 v9, vcc_lo, v9, v11
	s_wait_alu 0xfffd
	v_add_co_ci_u32_e32 v9, vcc_lo, v10, v12, vcc_lo
	s_wait_alu 0xfffd
	v_add_co_ci_u32_e32 v10, vcc_lo, 0, v14, vcc_lo
	s_delay_alu instid0(VALU_DEP_2) | instskip(SKIP_1) | instid1(VALU_DEP_2)
	v_add_co_u32 v11, vcc_lo, v9, v13
	s_wait_alu 0xfffd
	v_add_co_ci_u32_e64 v12, null, 0, v10, vcc_lo
	s_delay_alu instid0(VALU_DEP_2) | instskip(SKIP_1) | instid1(VALU_DEP_3)
	v_mul_lo_u32 v13, s49, v11
	v_mad_co_u64_u32 v[9:10], null, s48, v11, 0
	v_mul_lo_u32 v14, s48, v12
	s_delay_alu instid0(VALU_DEP_2) | instskip(NEXT) | instid1(VALU_DEP_2)
	v_sub_co_u32 v5, vcc_lo, v5, v9
	v_add3_u32 v10, v10, v14, v13
	s_delay_alu instid0(VALU_DEP_1) | instskip(SKIP_2) | instid1(VALU_DEP_2)
	v_sub_nc_u32_e32 v13, v7, v10
	s_wait_alu 0xfffd
	v_sub_co_ci_u32_e64 v7, null, v7, v10, vcc_lo
	v_subrev_co_ci_u32_e64 v9, null, s49, v13, vcc_lo
	v_add_co_u32 v13, s2, v11, 2
	s_wait_alu 0xf1ff
	v_add_co_ci_u32_e64 v14, null, 0, v12, s2
	v_sub_co_u32 v15, s2, v5, s48
	s_wait_alu 0xf1ff
	v_subrev_co_ci_u32_e64 v9, null, 0, v9, s2
	s_delay_alu instid0(VALU_DEP_2) | instskip(SKIP_2) | instid1(VALU_DEP_3)
	v_cmp_le_u32_e32 vcc_lo, s48, v15
	s_wait_alu 0xfffd
	v_cndmask_b32_e64 v10, 0, -1, vcc_lo
	v_cmp_le_u32_e32 vcc_lo, s49, v9
	s_wait_alu 0xfffd
	v_cndmask_b32_e64 v15, 0, -1, vcc_lo
	;; [unrolled: 3-line block ×4, first 2 shown]
	v_cmp_eq_u32_e32 vcc_lo, s49, v9
	s_wait_alu 0xfffd
	v_cndmask_b32_e32 v9, v15, v10, vcc_lo
	v_add_co_u32 v10, vcc_lo, v11, 1
	s_wait_alu 0xfffd
	v_add_co_ci_u32_e64 v15, null, 0, v12, vcc_lo
	v_cmp_eq_u32_e32 vcc_lo, s49, v7
	s_wait_alu 0xfffd
	v_cndmask_b32_e32 v5, v16, v5, vcc_lo
	v_cmp_ne_u32_e32 vcc_lo, 0, v9
	s_delay_alu instid0(VALU_DEP_2) | instskip(SKIP_4) | instid1(VALU_DEP_2)
	v_cmp_ne_u32_e64 s2, 0, v5
	s_wait_alu 0xfffd
	v_cndmask_b32_e32 v5, v10, v13, vcc_lo
	v_cndmask_b32_e32 v7, v15, v14, vcc_lo
	s_wait_alu 0xf1ff
	v_cndmask_b32_e64 v5, v11, v5, s2
	s_delay_alu instid0(VALU_DEP_2) | instskip(NEXT) | instid1(VALU_DEP_2)
	v_cndmask_b32_e64 v7, v12, v7, s2
	v_xor_b32_e32 v5, v5, v3
	s_delay_alu instid0(VALU_DEP_2) | instskip(NEXT) | instid1(VALU_DEP_2)
	v_xor_b32_e32 v7, v7, v3
	v_sub_co_u32 v10, vcc_lo, v5, v3
	s_wait_alu 0xfffd
	s_delay_alu instid0(VALU_DEP_2)
	v_sub_co_ci_u32_e64 v11, null, v7, v3, vcc_lo
.LBB69_17:                              ;   in Loop: Header=BB69_15 Depth=2
	s_wait_alu 0xfffe
	s_and_not1_saveexec_b32 s2, s50
	s_cbranch_execz .LBB69_14
; %bb.18:                               ;   in Loop: Header=BB69_15 Depth=2
	v_cvt_f32_u32_e32 v3, s40
	s_sub_co_i32 s41, 0, s40
	v_mov_b32_e32 v11, v2
	s_delay_alu instid0(VALU_DEP_2) | instskip(NEXT) | instid1(TRANS32_DEP_1)
	v_rcp_iflag_f32_e32 v3, v3
	v_mul_f32_e32 v3, 0x4f7ffffe, v3
	s_delay_alu instid0(VALU_DEP_1) | instskip(SKIP_1) | instid1(VALU_DEP_1)
	v_cvt_u32_f32_e32 v3, v3
	s_wait_alu 0xfffe
	v_mul_lo_u32 v5, s41, v3
	s_delay_alu instid0(VALU_DEP_1) | instskip(NEXT) | instid1(VALU_DEP_1)
	v_mul_hi_u32 v5, v3, v5
	v_add_nc_u32_e32 v3, v3, v5
	s_delay_alu instid0(VALU_DEP_1) | instskip(NEXT) | instid1(VALU_DEP_1)
	v_mul_hi_u32 v3, v8, v3
	v_mul_lo_u32 v5, v3, s40
	v_add_nc_u32_e32 v7, 1, v3
	s_delay_alu instid0(VALU_DEP_2) | instskip(NEXT) | instid1(VALU_DEP_1)
	v_sub_nc_u32_e32 v5, v8, v5
	v_cmp_le_u32_e32 vcc_lo, s40, v5
	v_subrev_nc_u32_e32 v9, s40, v5
	s_wait_alu 0xfffd
	v_cndmask_b32_e32 v3, v3, v7, vcc_lo
	s_delay_alu instid0(VALU_DEP_1) | instskip(NEXT) | instid1(VALU_DEP_3)
	v_add_nc_u32_e32 v7, 1, v3
	v_cndmask_b32_e32 v5, v5, v9, vcc_lo
	s_delay_alu instid0(VALU_DEP_1) | instskip(SKIP_1) | instid1(VALU_DEP_3)
	v_cmp_le_u32_e32 vcc_lo, s40, v5
	s_wait_alu 0xfffd
	v_cndmask_b32_e32 v10, v3, v7, vcc_lo
	s_branch .LBB69_14
.LBB69_19:                              ;   in Loop: Header=BB69_3 Depth=1
	s_mov_b32 s2, s16
	s_and_b32 vcc_lo, exec_lo, s60
	s_wait_alu 0xfffe
	s_mov_b32 s16, s2
	s_cbranch_vccz .LBB69_38
.LBB69_20:                              ;   Parent Loop BB69_3 Depth=1
                                        ; =>  This Inner Loop Header: Depth=2
	s_wait_alu 0xfffe
	s_lshl_b64 s[50:51], s[16:17], 2
                                        ; implicit-def: $vgpr10_vgpr11
	s_mov_b32 s2, exec_lo
	s_wait_alu 0xfffe
	s_add_nc_u64 s[44:45], s[12:13], s[50:51]
	s_load_b32 s40, s[44:45], 0x8
	s_wait_kmcnt 0x0
	s_ashr_i32 s41, s40, 31
	s_wait_alu 0xfffe
	v_or_b32_e32 v3, s41, v9
	s_delay_alu instid0(VALU_DEP_1)
	v_cmpx_ne_u64_e32 0, v[2:3]
	s_xor_b32 s39, exec_lo, s2
	s_cbranch_execz .LBB69_22
; %bb.21:                               ;   in Loop: Header=BB69_20 Depth=2
	s_ashr_i32 s42, s41, 31
	s_mov_b32 s55, s17
	s_wait_alu 0xfffe
	s_mov_b32 s43, s42
	s_mov_b32 s65, s17
	s_wait_alu 0xfffe
	s_add_nc_u64 s[46:47], s[40:41], s[42:43]
	v_ashrrev_i32_e32 v3, 31, v9
	s_wait_alu 0xfffe
	s_xor_b64 s[46:47], s[46:47], s[42:43]
	s_wait_alu 0xfffe
	s_cvt_f32_u32 s2, s46
	s_cvt_f32_u32 s41, s47
	s_sub_nc_u64 s[52:53], 0, s[46:47]
	v_add_co_u32 v5, vcc_lo, v8, v3
	s_wait_alu 0xfffe
	s_fmamk_f32 s2, s41, 0x4f800000, s2
	s_wait_alu 0xfffd
	v_add_co_ci_u32_e64 v7, null, v9, v3, vcc_lo
	v_xor_b32_e32 v5, v5, v3
	s_wait_alu 0xfffe
	v_s_rcp_f32 s2, s2
	s_delay_alu instid0(VALU_DEP_2) | instskip(SKIP_1) | instid1(TRANS32_DEP_1)
	v_xor_b32_e32 v7, v7, v3
	v_xor_b32_e32 v3, s42, v3
	s_mul_f32 s2, s2, 0x5f7ffffc
	s_wait_alu 0xfffe
	s_delay_alu instid0(SALU_CYCLE_2) | instskip(SKIP_1) | instid1(SALU_CYCLE_2)
	s_mul_f32 s41, s2, 0x2f800000
	s_wait_alu 0xfffe
	s_trunc_f32 s41, s41
	s_wait_alu 0xfffe
	s_delay_alu instid0(SALU_CYCLE_2) | instskip(SKIP_2) | instid1(SALU_CYCLE_1)
	s_fmamk_f32 s2, s41, 0xcf800000, s2
	s_cvt_u32_f32 s49, s41
	s_wait_alu 0xfffe
	s_cvt_u32_f32 s48, s2
	s_wait_alu 0xfffe
	s_delay_alu instid0(SALU_CYCLE_2)
	s_mul_u64 s[62:63], s[52:53], s[48:49]
	s_wait_alu 0xfffe
	s_mul_hi_u32 s67, s48, s63
	s_mul_i32 s66, s48, s63
	s_mul_hi_u32 s54, s48, s62
	s_mul_i32 s41, s49, s62
	s_wait_alu 0xfffe
	s_add_nc_u64 s[54:55], s[54:55], s[66:67]
	s_mul_hi_u32 s2, s49, s62
	s_mul_hi_u32 s43, s49, s63
	s_wait_alu 0xfffe
	s_add_co_u32 s41, s54, s41
	s_add_co_ci_u32 s64, s55, s2
	s_mul_i32 s62, s49, s63
	s_add_co_ci_u32 s63, s43, 0
	s_wait_alu 0xfffe
	s_add_nc_u64 s[54:55], s[64:65], s[62:63]
	s_mov_b32 s63, s17
	s_wait_alu 0xfffe
	s_add_co_u32 s48, s48, s54
	s_cselect_b32 s2, -1, 0
	s_wait_alu 0xfffe
	s_cmp_lg_u32 s2, 0
	s_add_co_ci_u32 s49, s49, s55
	s_mov_b32 s55, s17
	s_wait_alu 0xfffe
	s_mul_u64 s[52:53], s[52:53], s[48:49]
	s_wait_alu 0xfffe
	s_mul_hi_u32 s65, s48, s53
	s_mul_i32 s64, s48, s53
	s_mul_hi_u32 s62, s48, s52
	s_mul_i32 s41, s49, s52
	s_wait_alu 0xfffe
	s_add_nc_u64 s[62:63], s[62:63], s[64:65]
	s_mul_hi_u32 s2, s49, s52
	s_mul_hi_u32 s43, s49, s53
	s_wait_alu 0xfffe
	s_add_co_u32 s41, s62, s41
	s_add_co_ci_u32 s54, s63, s2
	s_mul_i32 s52, s49, s53
	s_add_co_ci_u32 s53, s43, 0
	s_wait_alu 0xfffe
	s_add_nc_u64 s[52:53], s[54:55], s[52:53]
	s_wait_alu 0xfffe
	s_add_co_u32 s2, s48, s52
	s_cselect_b32 s41, -1, 0
	s_wait_alu 0xfffe
	v_mul_hi_u32 v15, v5, s2
	s_cmp_lg_u32 s41, 0
	v_mad_co_u64_u32 v[11:12], null, v7, s2, 0
	s_add_co_ci_u32 s41, s49, s53
	s_wait_alu 0xfffe
	v_mad_co_u64_u32 v[9:10], null, v5, s41, 0
	v_mad_co_u64_u32 v[13:14], null, v7, s41, 0
	s_delay_alu instid0(VALU_DEP_2) | instskip(SKIP_1) | instid1(VALU_DEP_3)
	v_add_co_u32 v9, vcc_lo, v15, v9
	s_wait_alu 0xfffd
	v_add_co_ci_u32_e64 v10, null, 0, v10, vcc_lo
	s_delay_alu instid0(VALU_DEP_2) | instskip(SKIP_1) | instid1(VALU_DEP_2)
	v_add_co_u32 v9, vcc_lo, v9, v11
	s_wait_alu 0xfffd
	v_add_co_ci_u32_e32 v9, vcc_lo, v10, v12, vcc_lo
	s_wait_alu 0xfffd
	v_add_co_ci_u32_e32 v10, vcc_lo, 0, v14, vcc_lo
	s_delay_alu instid0(VALU_DEP_2) | instskip(SKIP_1) | instid1(VALU_DEP_2)
	v_add_co_u32 v11, vcc_lo, v9, v13
	s_wait_alu 0xfffd
	v_add_co_ci_u32_e64 v12, null, 0, v10, vcc_lo
	s_delay_alu instid0(VALU_DEP_2) | instskip(SKIP_1) | instid1(VALU_DEP_3)
	v_mul_lo_u32 v13, s47, v11
	v_mad_co_u64_u32 v[9:10], null, s46, v11, 0
	v_mul_lo_u32 v14, s46, v12
	s_delay_alu instid0(VALU_DEP_2) | instskip(NEXT) | instid1(VALU_DEP_2)
	v_sub_co_u32 v5, vcc_lo, v5, v9
	v_add3_u32 v10, v10, v14, v13
	s_delay_alu instid0(VALU_DEP_1) | instskip(SKIP_2) | instid1(VALU_DEP_2)
	v_sub_nc_u32_e32 v13, v7, v10
	s_wait_alu 0xfffd
	v_sub_co_ci_u32_e64 v7, null, v7, v10, vcc_lo
	v_subrev_co_ci_u32_e64 v9, null, s47, v13, vcc_lo
	v_add_co_u32 v13, s2, v11, 2
	s_wait_alu 0xf1ff
	v_add_co_ci_u32_e64 v14, null, 0, v12, s2
	v_sub_co_u32 v15, s2, v5, s46
	s_wait_alu 0xf1ff
	v_subrev_co_ci_u32_e64 v9, null, 0, v9, s2
	s_delay_alu instid0(VALU_DEP_2) | instskip(SKIP_2) | instid1(VALU_DEP_3)
	v_cmp_le_u32_e32 vcc_lo, s46, v15
	s_wait_alu 0xfffd
	v_cndmask_b32_e64 v10, 0, -1, vcc_lo
	v_cmp_le_u32_e32 vcc_lo, s47, v9
	s_wait_alu 0xfffd
	v_cndmask_b32_e64 v15, 0, -1, vcc_lo
	;; [unrolled: 3-line block ×4, first 2 shown]
	v_cmp_eq_u32_e32 vcc_lo, s47, v9
	s_wait_alu 0xfffd
	v_cndmask_b32_e32 v9, v15, v10, vcc_lo
	v_add_co_u32 v10, vcc_lo, v11, 1
	s_wait_alu 0xfffd
	v_add_co_ci_u32_e64 v15, null, 0, v12, vcc_lo
	v_cmp_eq_u32_e32 vcc_lo, s47, v7
	s_wait_alu 0xfffd
	v_cndmask_b32_e32 v5, v16, v5, vcc_lo
	v_cmp_ne_u32_e32 vcc_lo, 0, v9
	s_delay_alu instid0(VALU_DEP_2) | instskip(SKIP_4) | instid1(VALU_DEP_2)
	v_cmp_ne_u32_e64 s2, 0, v5
	s_wait_alu 0xfffd
	v_cndmask_b32_e32 v5, v10, v13, vcc_lo
	v_cndmask_b32_e32 v7, v15, v14, vcc_lo
	s_wait_alu 0xf1ff
	v_cndmask_b32_e64 v5, v11, v5, s2
	s_delay_alu instid0(VALU_DEP_2) | instskip(NEXT) | instid1(VALU_DEP_2)
	v_cndmask_b32_e64 v7, v12, v7, s2
	v_xor_b32_e32 v5, v5, v3
	s_delay_alu instid0(VALU_DEP_2) | instskip(NEXT) | instid1(VALU_DEP_2)
	v_xor_b32_e32 v7, v7, v3
	v_sub_co_u32 v10, vcc_lo, v5, v3
	s_wait_alu 0xfffd
	s_delay_alu instid0(VALU_DEP_2)
	v_sub_co_ci_u32_e64 v11, null, v7, v3, vcc_lo
.LBB69_22:                              ;   in Loop: Header=BB69_20 Depth=2
	s_wait_alu 0xfffe
	s_and_not1_saveexec_b32 s2, s39
	s_cbranch_execz .LBB69_24
; %bb.23:                               ;   in Loop: Header=BB69_20 Depth=2
	v_cvt_f32_u32_e32 v3, s40
	s_sub_co_i32 s39, 0, s40
	v_mov_b32_e32 v11, v2
	s_delay_alu instid0(VALU_DEP_2) | instskip(NEXT) | instid1(TRANS32_DEP_1)
	v_rcp_iflag_f32_e32 v3, v3
	v_mul_f32_e32 v3, 0x4f7ffffe, v3
	s_delay_alu instid0(VALU_DEP_1) | instskip(SKIP_1) | instid1(VALU_DEP_1)
	v_cvt_u32_f32_e32 v3, v3
	s_wait_alu 0xfffe
	v_mul_lo_u32 v5, s39, v3
	s_delay_alu instid0(VALU_DEP_1) | instskip(NEXT) | instid1(VALU_DEP_1)
	v_mul_hi_u32 v5, v3, v5
	v_add_nc_u32_e32 v3, v3, v5
	s_delay_alu instid0(VALU_DEP_1) | instskip(NEXT) | instid1(VALU_DEP_1)
	v_mul_hi_u32 v3, v8, v3
	v_mul_lo_u32 v5, v3, s40
	v_add_nc_u32_e32 v7, 1, v3
	s_delay_alu instid0(VALU_DEP_2) | instskip(NEXT) | instid1(VALU_DEP_1)
	v_sub_nc_u32_e32 v5, v8, v5
	v_cmp_le_u32_e32 vcc_lo, s40, v5
	v_subrev_nc_u32_e32 v9, s40, v5
	s_wait_alu 0xfffd
	v_cndmask_b32_e32 v3, v3, v7, vcc_lo
	s_delay_alu instid0(VALU_DEP_1) | instskip(NEXT) | instid1(VALU_DEP_3)
	v_add_nc_u32_e32 v7, 1, v3
	v_cndmask_b32_e32 v5, v5, v9, vcc_lo
	s_delay_alu instid0(VALU_DEP_1) | instskip(SKIP_1) | instid1(VALU_DEP_3)
	v_cmp_le_u32_e32 vcc_lo, s40, v5
	s_wait_alu 0xfffd
	v_cndmask_b32_e32 v10, v3, v7, vcc_lo
.LBB69_24:                              ;   in Loop: Header=BB69_20 Depth=2
	s_wait_alu 0xfffe
	s_or_b32 exec_lo, exec_lo, s2
	s_add_co_i32 s42, s16, -1
	s_mov_b32 s43, s17
	s_add_nc_u64 s[50:51], s[0:1], s[50:51]
	s_wait_alu 0xfffe
	s_lshl_b64 s[48:49], s[42:43], 2
                                        ; implicit-def: $vgpr12_vgpr13
	s_mov_b32 s2, exec_lo
	s_wait_alu 0xfffe
	s_add_nc_u64 s[46:47], s[12:13], s[48:49]
	s_clause 0x2
	s_load_b32 s42, s[46:47], 0x8
	s_load_b32 s39, s[44:45], 0x6c
	;; [unrolled: 1-line block ×3, first 2 shown]
	s_wait_kmcnt 0x0
	s_ashr_i32 s43, s42, 31
	s_wait_alu 0xfffe
	v_or_b32_e32 v3, s43, v11
	s_delay_alu instid0(VALU_DEP_1)
	v_cmpx_ne_u64_e32 0, v[2:3]
	s_xor_b32 s52, exec_lo, s2
	s_cbranch_execz .LBB69_26
; %bb.25:                               ;   in Loop: Header=BB69_20 Depth=2
	s_ashr_i32 s44, s43, 31
	s_mov_b32 s65, s17
	s_wait_alu 0xfffe
	s_mov_b32 s45, s44
	s_mov_b32 s69, s17
	s_wait_alu 0xfffe
	s_add_nc_u64 s[50:51], s[42:43], s[44:45]
	v_ashrrev_i32_e32 v3, 31, v11
	s_wait_alu 0xfffe
	s_xor_b64 s[50:51], s[50:51], s[44:45]
	s_wait_alu 0xfffe
	s_cvt_f32_u32 s2, s50
	s_cvt_f32_u32 s43, s51
	s_sub_nc_u64 s[62:63], 0, s[50:51]
	v_add_co_u32 v5, vcc_lo, v10, v3
	s_wait_alu 0xfffe
	s_fmamk_f32 s2, s43, 0x4f800000, s2
	s_wait_alu 0xfffd
	v_add_co_ci_u32_e64 v7, null, v11, v3, vcc_lo
	v_xor_b32_e32 v5, v5, v3
	s_wait_alu 0xfffe
	v_s_rcp_f32 s2, s2
	s_delay_alu instid0(VALU_DEP_2) | instskip(SKIP_1) | instid1(TRANS32_DEP_1)
	v_xor_b32_e32 v7, v7, v3
	v_xor_b32_e32 v3, s44, v3
	s_mul_f32 s2, s2, 0x5f7ffffc
	s_wait_alu 0xfffe
	s_delay_alu instid0(SALU_CYCLE_2) | instskip(SKIP_1) | instid1(SALU_CYCLE_2)
	s_mul_f32 s43, s2, 0x2f800000
	s_wait_alu 0xfffe
	s_trunc_f32 s43, s43
	s_wait_alu 0xfffe
	s_delay_alu instid0(SALU_CYCLE_2) | instskip(SKIP_2) | instid1(SALU_CYCLE_1)
	s_fmamk_f32 s2, s43, 0xcf800000, s2
	s_cvt_u32_f32 s55, s43
	s_wait_alu 0xfffe
	s_cvt_u32_f32 s54, s2
	s_wait_alu 0xfffe
	s_delay_alu instid0(SALU_CYCLE_2) | instskip(NEXT) | instid1(SALU_CYCLE_1)
	s_mul_u64 s[66:67], s[62:63], s[54:55]
	s_mul_hi_u32 s71, s54, s67
	s_mul_i32 s70, s54, s67
	s_mul_hi_u32 s64, s54, s66
	s_mul_i32 s43, s55, s66
	s_add_nc_u64 s[64:65], s[64:65], s[70:71]
	s_mul_hi_u32 s2, s55, s66
	s_mul_hi_u32 s45, s55, s67
	s_wait_alu 0xfffe
	s_add_co_u32 s43, s64, s43
	s_add_co_ci_u32 s68, s65, s2
	s_mul_i32 s66, s55, s67
	s_add_co_ci_u32 s67, s45, 0
	s_delay_alu instid0(SALU_CYCLE_1)
	s_add_nc_u64 s[64:65], s[68:69], s[66:67]
	s_mov_b32 s67, s17
	s_add_co_u32 s54, s54, s64
	s_cselect_b32 s2, -1, 0
	s_wait_alu 0xfffe
	s_cmp_lg_u32 s2, 0
	s_add_co_ci_u32 s55, s55, s65
	s_mov_b32 s65, s17
	s_wait_alu 0xfffe
	s_mul_u64 s[62:63], s[62:63], s[54:55]
	s_wait_alu 0xfffe
	s_mul_hi_u32 s69, s54, s63
	s_mul_i32 s68, s54, s63
	s_mul_hi_u32 s66, s54, s62
	s_mul_i32 s43, s55, s62
	s_add_nc_u64 s[66:67], s[66:67], s[68:69]
	s_mul_hi_u32 s2, s55, s62
	s_mul_hi_u32 s45, s55, s63
	s_wait_alu 0xfffe
	s_add_co_u32 s43, s66, s43
	s_add_co_ci_u32 s64, s67, s2
	s_mul_i32 s62, s55, s63
	s_add_co_ci_u32 s63, s45, 0
	s_wait_alu 0xfffe
	s_add_nc_u64 s[62:63], s[64:65], s[62:63]
	s_wait_alu 0xfffe
	s_add_co_u32 s2, s54, s62
	s_cselect_b32 s43, -1, 0
	s_wait_alu 0xfffe
	v_mul_hi_u32 v9, v5, s2
	s_cmp_lg_u32 s43, 0
	v_mad_co_u64_u32 v[13:14], null, v7, s2, 0
	s_add_co_ci_u32 s43, s55, s63
	s_wait_alu 0xfffe
	v_mad_co_u64_u32 v[11:12], null, v5, s43, 0
	v_mad_co_u64_u32 v[15:16], null, v7, s43, 0
	s_delay_alu instid0(VALU_DEP_2) | instskip(SKIP_1) | instid1(VALU_DEP_3)
	v_add_co_u32 v9, vcc_lo, v9, v11
	s_wait_alu 0xfffd
	v_add_co_ci_u32_e64 v11, null, 0, v12, vcc_lo
	s_delay_alu instid0(VALU_DEP_2) | instskip(SKIP_1) | instid1(VALU_DEP_2)
	v_add_co_u32 v9, vcc_lo, v9, v13
	s_wait_alu 0xfffd
	v_add_co_ci_u32_e32 v9, vcc_lo, v11, v14, vcc_lo
	s_wait_alu 0xfffd
	v_add_co_ci_u32_e32 v11, vcc_lo, 0, v16, vcc_lo
	s_delay_alu instid0(VALU_DEP_2) | instskip(SKIP_1) | instid1(VALU_DEP_2)
	v_add_co_u32 v9, vcc_lo, v9, v15
	s_wait_alu 0xfffd
	v_add_co_ci_u32_e64 v13, null, 0, v11, vcc_lo
	s_delay_alu instid0(VALU_DEP_2) | instskip(SKIP_1) | instid1(VALU_DEP_3)
	v_mul_lo_u32 v14, s51, v9
	v_mad_co_u64_u32 v[11:12], null, s50, v9, 0
	v_mul_lo_u32 v15, s50, v13
	s_delay_alu instid0(VALU_DEP_2) | instskip(NEXT) | instid1(VALU_DEP_2)
	v_sub_co_u32 v5, vcc_lo, v5, v11
	v_add3_u32 v12, v12, v15, v14
	s_delay_alu instid0(VALU_DEP_1) | instskip(SKIP_2) | instid1(VALU_DEP_2)
	v_sub_nc_u32_e32 v14, v7, v12
	s_wait_alu 0xfffd
	v_sub_co_ci_u32_e64 v7, null, v7, v12, vcc_lo
	v_subrev_co_ci_u32_e64 v11, null, s51, v14, vcc_lo
	v_add_co_u32 v14, s2, v9, 2
	s_wait_alu 0xf1ff
	v_add_co_ci_u32_e64 v15, null, 0, v13, s2
	v_sub_co_u32 v16, s2, v5, s50
	s_wait_alu 0xf1ff
	v_subrev_co_ci_u32_e64 v11, null, 0, v11, s2
	s_delay_alu instid0(VALU_DEP_2) | instskip(SKIP_2) | instid1(VALU_DEP_3)
	v_cmp_le_u32_e32 vcc_lo, s50, v16
	s_wait_alu 0xfffd
	v_cndmask_b32_e64 v12, 0, -1, vcc_lo
	v_cmp_le_u32_e32 vcc_lo, s51, v11
	s_wait_alu 0xfffd
	v_cndmask_b32_e64 v16, 0, -1, vcc_lo
	;; [unrolled: 3-line block ×4, first 2 shown]
	v_cmp_eq_u32_e32 vcc_lo, s51, v11
	s_wait_alu 0xfffd
	v_cndmask_b32_e32 v11, v16, v12, vcc_lo
	v_add_co_u32 v12, vcc_lo, v9, 1
	s_wait_alu 0xfffd
	v_add_co_ci_u32_e64 v16, null, 0, v13, vcc_lo
	v_cmp_eq_u32_e32 vcc_lo, s51, v7
	s_wait_alu 0xfffd
	v_cndmask_b32_e32 v5, v17, v5, vcc_lo
	v_cmp_ne_u32_e32 vcc_lo, 0, v11
	s_delay_alu instid0(VALU_DEP_2) | instskip(SKIP_4) | instid1(VALU_DEP_2)
	v_cmp_ne_u32_e64 s2, 0, v5
	s_wait_alu 0xfffd
	v_cndmask_b32_e32 v5, v12, v14, vcc_lo
	v_cndmask_b32_e32 v7, v16, v15, vcc_lo
	s_wait_alu 0xf1ff
	v_cndmask_b32_e64 v5, v9, v5, s2
	s_delay_alu instid0(VALU_DEP_2) | instskip(NEXT) | instid1(VALU_DEP_2)
	v_cndmask_b32_e64 v7, v13, v7, s2
	v_xor_b32_e32 v5, v5, v3
	s_delay_alu instid0(VALU_DEP_2) | instskip(NEXT) | instid1(VALU_DEP_2)
	v_xor_b32_e32 v7, v7, v3
	v_sub_co_u32 v12, vcc_lo, v5, v3
	s_wait_alu 0xfffd
	s_delay_alu instid0(VALU_DEP_2)
	v_sub_co_ci_u32_e64 v13, null, v7, v3, vcc_lo
.LBB69_26:                              ;   in Loop: Header=BB69_20 Depth=2
	s_wait_alu 0xfffe
	s_and_not1_saveexec_b32 s2, s52
	s_cbranch_execz .LBB69_28
; %bb.27:                               ;   in Loop: Header=BB69_20 Depth=2
	v_cvt_f32_u32_e32 v3, s42
	s_sub_co_i32 s43, 0, s42
	v_mov_b32_e32 v13, v2
	s_delay_alu instid0(VALU_DEP_2) | instskip(NEXT) | instid1(TRANS32_DEP_1)
	v_rcp_iflag_f32_e32 v3, v3
	v_mul_f32_e32 v3, 0x4f7ffffe, v3
	s_delay_alu instid0(VALU_DEP_1) | instskip(SKIP_1) | instid1(VALU_DEP_1)
	v_cvt_u32_f32_e32 v3, v3
	s_wait_alu 0xfffe
	v_mul_lo_u32 v5, s43, v3
	s_delay_alu instid0(VALU_DEP_1) | instskip(NEXT) | instid1(VALU_DEP_1)
	v_mul_hi_u32 v5, v3, v5
	v_add_nc_u32_e32 v3, v3, v5
	s_delay_alu instid0(VALU_DEP_1) | instskip(NEXT) | instid1(VALU_DEP_1)
	v_mul_hi_u32 v3, v10, v3
	v_mul_lo_u32 v5, v3, s42
	v_add_nc_u32_e32 v7, 1, v3
	s_delay_alu instid0(VALU_DEP_2) | instskip(NEXT) | instid1(VALU_DEP_1)
	v_sub_nc_u32_e32 v5, v10, v5
	v_cmp_le_u32_e32 vcc_lo, s42, v5
	v_subrev_nc_u32_e32 v9, s42, v5
	s_wait_alu 0xfffd
	v_cndmask_b32_e32 v3, v3, v7, vcc_lo
	s_delay_alu instid0(VALU_DEP_1) | instskip(NEXT) | instid1(VALU_DEP_3)
	v_add_nc_u32_e32 v7, 1, v3
	v_cndmask_b32_e32 v5, v5, v9, vcc_lo
	s_delay_alu instid0(VALU_DEP_1) | instskip(SKIP_1) | instid1(VALU_DEP_3)
	v_cmp_le_u32_e32 vcc_lo, s42, v5
	s_wait_alu 0xfffd
	v_cndmask_b32_e32 v12, v3, v7, vcc_lo
.LBB69_28:                              ;   in Loop: Header=BB69_20 Depth=2
	s_wait_alu 0xfffe
	s_or_b32 exec_lo, exec_lo, s2
	s_add_co_i32 s44, s16, -2
	s_mov_b32 s45, s17
	s_add_nc_u64 s[48:49], s[0:1], s[48:49]
	s_wait_alu 0xfffe
	s_lshl_b64 s[54:55], s[44:45], 2
                                        ; implicit-def: $vgpr14_vgpr15
	s_mov_b32 s2, exec_lo
	s_wait_alu 0xfffe
	s_add_nc_u64 s[52:53], s[12:13], s[54:55]
	s_clause 0x2
	s_load_b32 s44, s[52:53], 0x8
	s_load_b32 s43, s[46:47], 0x6c
	;; [unrolled: 1-line block ×3, first 2 shown]
	s_wait_kmcnt 0x0
	s_ashr_i32 s45, s44, 31
	s_wait_alu 0xfffe
	v_or_b32_e32 v3, s45, v13
	s_delay_alu instid0(VALU_DEP_1)
	v_cmpx_ne_u64_e32 0, v[2:3]
	s_xor_b32 s50, exec_lo, s2
	s_cbranch_execz .LBB69_30
; %bb.29:                               ;   in Loop: Header=BB69_20 Depth=2
	s_ashr_i32 s46, s45, 31
	s_mov_b32 s69, s17
	s_wait_alu 0xfffe
	s_mov_b32 s47, s46
	s_mov_b32 s73, s17
	s_wait_alu 0xfffe
	s_add_nc_u64 s[48:49], s[44:45], s[46:47]
	v_ashrrev_i32_e32 v3, 31, v13
	s_wait_alu 0xfffe
	s_xor_b64 s[48:49], s[48:49], s[46:47]
	s_wait_alu 0xfffe
	s_cvt_f32_u32 s2, s48
	s_cvt_f32_u32 s45, s49
	s_sub_nc_u64 s[66:67], 0, s[48:49]
	v_add_co_u32 v5, vcc_lo, v12, v3
	s_wait_alu 0xfffe
	s_fmamk_f32 s2, s45, 0x4f800000, s2
	s_wait_alu 0xfffd
	v_add_co_ci_u32_e64 v7, null, v13, v3, vcc_lo
	v_xor_b32_e32 v5, v5, v3
	s_wait_alu 0xfffe
	v_s_rcp_f32 s2, s2
	s_delay_alu instid0(VALU_DEP_2) | instskip(SKIP_1) | instid1(TRANS32_DEP_1)
	v_xor_b32_e32 v7, v7, v3
	v_xor_b32_e32 v3, s46, v3
	s_mul_f32 s2, s2, 0x5f7ffffc
	s_wait_alu 0xfffe
	s_delay_alu instid0(SALU_CYCLE_2) | instskip(SKIP_1) | instid1(SALU_CYCLE_2)
	s_mul_f32 s45, s2, 0x2f800000
	s_wait_alu 0xfffe
	s_trunc_f32 s45, s45
	s_wait_alu 0xfffe
	s_delay_alu instid0(SALU_CYCLE_2) | instskip(SKIP_2) | instid1(SALU_CYCLE_1)
	s_fmamk_f32 s2, s45, 0xcf800000, s2
	s_cvt_u32_f32 s65, s45
	s_wait_alu 0xfffe
	s_cvt_u32_f32 s64, s2
	s_delay_alu instid0(SALU_CYCLE_3) | instskip(NEXT) | instid1(SALU_CYCLE_1)
	s_mul_u64 s[70:71], s[66:67], s[64:65]
	s_mul_hi_u32 s75, s64, s71
	s_mul_i32 s74, s64, s71
	s_mul_hi_u32 s68, s64, s70
	s_mul_i32 s45, s65, s70
	s_add_nc_u64 s[68:69], s[68:69], s[74:75]
	s_mul_hi_u32 s2, s65, s70
	s_mul_hi_u32 s47, s65, s71
	s_wait_alu 0xfffe
	s_add_co_u32 s45, s68, s45
	s_add_co_ci_u32 s72, s69, s2
	s_mul_i32 s70, s65, s71
	s_add_co_ci_u32 s71, s47, 0
	s_delay_alu instid0(SALU_CYCLE_1)
	s_add_nc_u64 s[68:69], s[72:73], s[70:71]
	s_mov_b32 s71, s17
	s_add_co_u32 s64, s64, s68
	s_cselect_b32 s2, -1, 0
	s_wait_alu 0xfffe
	s_cmp_lg_u32 s2, 0
	s_add_co_ci_u32 s65, s65, s69
	s_mov_b32 s69, s17
	s_mul_u64 s[66:67], s[66:67], s[64:65]
	s_delay_alu instid0(SALU_CYCLE_1)
	s_mul_hi_u32 s73, s64, s67
	s_mul_i32 s72, s64, s67
	s_mul_hi_u32 s70, s64, s66
	s_mul_i32 s45, s65, s66
	s_add_nc_u64 s[70:71], s[70:71], s[72:73]
	s_mul_hi_u32 s2, s65, s66
	s_mul_hi_u32 s47, s65, s67
	s_wait_alu 0xfffe
	s_add_co_u32 s45, s70, s45
	s_add_co_ci_u32 s68, s71, s2
	s_mul_i32 s66, s65, s67
	s_add_co_ci_u32 s67, s47, 0
	s_delay_alu instid0(SALU_CYCLE_1) | instskip(NEXT) | instid1(SALU_CYCLE_1)
	s_add_nc_u64 s[66:67], s[68:69], s[66:67]
	s_add_co_u32 s2, s64, s66
	s_cselect_b32 s45, -1, 0
	s_wait_alu 0xfffe
	v_mul_hi_u32 v9, v5, s2
	s_cmp_lg_u32 s45, 0
	v_mad_co_u64_u32 v[15:16], null, v7, s2, 0
	s_add_co_ci_u32 s45, s65, s67
	s_wait_alu 0xfffe
	v_mad_co_u64_u32 v[13:14], null, v5, s45, 0
	v_mad_co_u64_u32 v[22:23], null, v7, s45, 0
	s_delay_alu instid0(VALU_DEP_2) | instskip(SKIP_1) | instid1(VALU_DEP_3)
	v_add_co_u32 v9, vcc_lo, v9, v13
	s_wait_alu 0xfffd
	v_add_co_ci_u32_e64 v11, null, 0, v14, vcc_lo
	s_delay_alu instid0(VALU_DEP_2) | instskip(SKIP_1) | instid1(VALU_DEP_2)
	v_add_co_u32 v9, vcc_lo, v9, v15
	s_wait_alu 0xfffd
	v_add_co_ci_u32_e32 v9, vcc_lo, v11, v16, vcc_lo
	s_wait_alu 0xfffd
	v_add_co_ci_u32_e32 v11, vcc_lo, 0, v23, vcc_lo
	s_delay_alu instid0(VALU_DEP_2) | instskip(SKIP_1) | instid1(VALU_DEP_2)
	v_add_co_u32 v9, vcc_lo, v9, v22
	s_wait_alu 0xfffd
	v_add_co_ci_u32_e64 v11, null, 0, v11, vcc_lo
	s_delay_alu instid0(VALU_DEP_2) | instskip(SKIP_1) | instid1(VALU_DEP_3)
	v_mul_lo_u32 v15, s49, v9
	v_mad_co_u64_u32 v[13:14], null, s48, v9, 0
	v_mul_lo_u32 v16, s48, v11
	s_delay_alu instid0(VALU_DEP_2) | instskip(NEXT) | instid1(VALU_DEP_2)
	v_sub_co_u32 v5, vcc_lo, v5, v13
	v_add3_u32 v14, v14, v16, v15
	s_delay_alu instid0(VALU_DEP_1) | instskip(SKIP_2) | instid1(VALU_DEP_2)
	v_sub_nc_u32_e32 v15, v7, v14
	s_wait_alu 0xfffd
	v_sub_co_ci_u32_e64 v7, null, v7, v14, vcc_lo
	v_subrev_co_ci_u32_e64 v13, null, s49, v15, vcc_lo
	v_add_co_u32 v15, s2, v9, 2
	s_wait_alu 0xf1ff
	v_add_co_ci_u32_e64 v16, null, 0, v11, s2
	v_sub_co_u32 v17, s2, v5, s48
	s_wait_alu 0xf1ff
	v_subrev_co_ci_u32_e64 v13, null, 0, v13, s2
	s_delay_alu instid0(VALU_DEP_2) | instskip(SKIP_2) | instid1(VALU_DEP_3)
	v_cmp_le_u32_e32 vcc_lo, s48, v17
	s_wait_alu 0xfffd
	v_cndmask_b32_e64 v14, 0, -1, vcc_lo
	v_cmp_le_u32_e32 vcc_lo, s49, v13
	s_wait_alu 0xfffd
	v_cndmask_b32_e64 v17, 0, -1, vcc_lo
	;; [unrolled: 3-line block ×4, first 2 shown]
	v_cmp_eq_u32_e32 vcc_lo, s49, v13
	s_wait_alu 0xfffd
	v_cndmask_b32_e32 v13, v17, v14, vcc_lo
	v_add_co_u32 v14, vcc_lo, v9, 1
	s_wait_alu 0xfffd
	v_add_co_ci_u32_e64 v17, null, 0, v11, vcc_lo
	v_cmp_eq_u32_e32 vcc_lo, s49, v7
	s_wait_alu 0xfffd
	v_cndmask_b32_e32 v5, v22, v5, vcc_lo
	v_cmp_ne_u32_e32 vcc_lo, 0, v13
	s_delay_alu instid0(VALU_DEP_2) | instskip(SKIP_4) | instid1(VALU_DEP_2)
	v_cmp_ne_u32_e64 s2, 0, v5
	s_wait_alu 0xfffd
	v_cndmask_b32_e32 v5, v14, v15, vcc_lo
	v_cndmask_b32_e32 v7, v17, v16, vcc_lo
	s_wait_alu 0xf1ff
	v_cndmask_b32_e64 v5, v9, v5, s2
	s_delay_alu instid0(VALU_DEP_2) | instskip(NEXT) | instid1(VALU_DEP_2)
	v_cndmask_b32_e64 v7, v11, v7, s2
	v_xor_b32_e32 v5, v5, v3
	s_delay_alu instid0(VALU_DEP_2) | instskip(NEXT) | instid1(VALU_DEP_2)
	v_xor_b32_e32 v7, v7, v3
	v_sub_co_u32 v14, vcc_lo, v5, v3
	s_wait_alu 0xfffd
	s_delay_alu instid0(VALU_DEP_2)
	v_sub_co_ci_u32_e64 v15, null, v7, v3, vcc_lo
.LBB69_30:                              ;   in Loop: Header=BB69_20 Depth=2
	s_wait_alu 0xfffe
	s_and_not1_saveexec_b32 s2, s50
	s_cbranch_execz .LBB69_32
; %bb.31:                               ;   in Loop: Header=BB69_20 Depth=2
	v_cvt_f32_u32_e32 v3, s44
	s_sub_co_i32 s45, 0, s44
	v_mov_b32_e32 v15, v2
	s_delay_alu instid0(VALU_DEP_2) | instskip(NEXT) | instid1(TRANS32_DEP_1)
	v_rcp_iflag_f32_e32 v3, v3
	v_mul_f32_e32 v3, 0x4f7ffffe, v3
	s_delay_alu instid0(VALU_DEP_1) | instskip(SKIP_1) | instid1(VALU_DEP_1)
	v_cvt_u32_f32_e32 v3, v3
	s_wait_alu 0xfffe
	v_mul_lo_u32 v5, s45, v3
	s_delay_alu instid0(VALU_DEP_1) | instskip(NEXT) | instid1(VALU_DEP_1)
	v_mul_hi_u32 v5, v3, v5
	v_add_nc_u32_e32 v3, v3, v5
	s_delay_alu instid0(VALU_DEP_1) | instskip(NEXT) | instid1(VALU_DEP_1)
	v_mul_hi_u32 v3, v12, v3
	v_mul_lo_u32 v5, v3, s44
	v_add_nc_u32_e32 v7, 1, v3
	s_delay_alu instid0(VALU_DEP_2) | instskip(NEXT) | instid1(VALU_DEP_1)
	v_sub_nc_u32_e32 v5, v12, v5
	v_cmp_le_u32_e32 vcc_lo, s44, v5
	v_subrev_nc_u32_e32 v9, s44, v5
	s_wait_alu 0xfffd
	v_cndmask_b32_e32 v3, v3, v7, vcc_lo
	s_delay_alu instid0(VALU_DEP_1) | instskip(NEXT) | instid1(VALU_DEP_3)
	v_add_nc_u32_e32 v7, 1, v3
	v_cndmask_b32_e32 v5, v5, v9, vcc_lo
	s_delay_alu instid0(VALU_DEP_1) | instskip(SKIP_1) | instid1(VALU_DEP_3)
	v_cmp_le_u32_e32 vcc_lo, s44, v5
	s_wait_alu 0xfffd
	v_cndmask_b32_e32 v14, v3, v7, vcc_lo
.LBB69_32:                              ;   in Loop: Header=BB69_20 Depth=2
	s_wait_alu 0xfffe
	s_or_b32 exec_lo, exec_lo, s2
	s_add_co_i32 s46, s16, -3
	s_mov_b32 s47, s17
	s_add_nc_u64 s[54:55], s[0:1], s[54:55]
	s_wait_alu 0xfffe
	s_lshl_b64 s[50:51], s[46:47], 2
                                        ; implicit-def: $vgpr16_vgpr17
	s_mov_b32 s2, exec_lo
	s_wait_alu 0xfffe
	s_add_nc_u64 s[48:49], s[12:13], s[50:51]
	s_clause 0x2
	s_load_b32 s46, s[48:49], 0x8
	s_load_b32 s45, s[52:53], 0x6c
	;; [unrolled: 1-line block ×3, first 2 shown]
	s_wait_kmcnt 0x0
	s_ashr_i32 s47, s46, 31
	s_wait_alu 0xfffe
	v_or_b32_e32 v3, s47, v15
	s_delay_alu instid0(VALU_DEP_1)
	v_cmpx_ne_u64_e32 0, v[2:3]
	s_xor_b32 s64, exec_lo, s2
	s_cbranch_execz .LBB69_34
; %bb.33:                               ;   in Loop: Header=BB69_20 Depth=2
	s_ashr_i32 s52, s47, 31
	s_mov_b32 s71, s17
	s_wait_alu 0xfffe
	s_mov_b32 s53, s52
	s_mov_b32 s75, s17
	s_wait_alu 0xfffe
	s_add_nc_u64 s[54:55], s[46:47], s[52:53]
	v_ashrrev_i32_e32 v3, 31, v15
	s_wait_alu 0xfffe
	s_xor_b64 s[54:55], s[54:55], s[52:53]
	s_wait_alu 0xfffe
	s_cvt_f32_u32 s2, s54
	s_cvt_f32_u32 s47, s55
	s_sub_nc_u64 s[68:69], 0, s[54:55]
	v_add_co_u32 v5, vcc_lo, v14, v3
	s_wait_alu 0xfffe
	s_fmamk_f32 s2, s47, 0x4f800000, s2
	s_wait_alu 0xfffd
	v_add_co_ci_u32_e64 v7, null, v15, v3, vcc_lo
	v_xor_b32_e32 v5, v5, v3
	s_wait_alu 0xfffe
	v_s_rcp_f32 s2, s2
	s_delay_alu instid0(VALU_DEP_2) | instskip(SKIP_1) | instid1(TRANS32_DEP_1)
	v_xor_b32_e32 v7, v7, v3
	v_xor_b32_e32 v3, s52, v3
	s_mul_f32 s2, s2, 0x5f7ffffc
	s_wait_alu 0xfffe
	s_delay_alu instid0(SALU_CYCLE_2) | instskip(SKIP_1) | instid1(SALU_CYCLE_2)
	s_mul_f32 s47, s2, 0x2f800000
	s_wait_alu 0xfffe
	s_trunc_f32 s47, s47
	s_wait_alu 0xfffe
	s_delay_alu instid0(SALU_CYCLE_2) | instskip(SKIP_2) | instid1(SALU_CYCLE_1)
	s_fmamk_f32 s2, s47, 0xcf800000, s2
	s_cvt_u32_f32 s67, s47
	s_wait_alu 0xfffe
	s_cvt_u32_f32 s66, s2
	s_delay_alu instid0(SALU_CYCLE_3) | instskip(NEXT) | instid1(SALU_CYCLE_1)
	s_mul_u64 s[72:73], s[68:69], s[66:67]
	s_mul_hi_u32 s77, s66, s73
	s_mul_i32 s76, s66, s73
	s_mul_hi_u32 s70, s66, s72
	s_mul_i32 s47, s67, s72
	s_add_nc_u64 s[70:71], s[70:71], s[76:77]
	s_mul_hi_u32 s2, s67, s72
	s_mul_hi_u32 s53, s67, s73
	s_wait_alu 0xfffe
	s_add_co_u32 s47, s70, s47
	s_add_co_ci_u32 s74, s71, s2
	s_mul_i32 s72, s67, s73
	s_add_co_ci_u32 s73, s53, 0
	s_delay_alu instid0(SALU_CYCLE_1)
	s_add_nc_u64 s[70:71], s[74:75], s[72:73]
	s_mov_b32 s73, s17
	s_add_co_u32 s66, s66, s70
	s_cselect_b32 s2, -1, 0
	s_wait_alu 0xfffe
	s_cmp_lg_u32 s2, 0
	s_add_co_ci_u32 s67, s67, s71
	s_mov_b32 s71, s17
	s_mul_u64 s[68:69], s[68:69], s[66:67]
	s_delay_alu instid0(SALU_CYCLE_1)
	s_mul_hi_u32 s75, s66, s69
	s_mul_i32 s74, s66, s69
	s_mul_hi_u32 s72, s66, s68
	s_mul_i32 s47, s67, s68
	s_add_nc_u64 s[72:73], s[72:73], s[74:75]
	s_mul_hi_u32 s2, s67, s68
	s_mul_hi_u32 s53, s67, s69
	s_wait_alu 0xfffe
	s_add_co_u32 s47, s72, s47
	s_add_co_ci_u32 s70, s73, s2
	s_mul_i32 s68, s67, s69
	s_add_co_ci_u32 s69, s53, 0
	s_delay_alu instid0(SALU_CYCLE_1) | instskip(NEXT) | instid1(SALU_CYCLE_1)
	s_add_nc_u64 s[68:69], s[70:71], s[68:69]
	s_add_co_u32 s2, s66, s68
	s_cselect_b32 s47, -1, 0
	s_wait_alu 0xfffe
	v_mul_hi_u32 v9, v5, s2
	s_cmp_lg_u32 s47, 0
	v_mad_co_u64_u32 v[22:23], null, v7, s2, 0
	s_add_co_ci_u32 s47, s67, s69
	s_wait_alu 0xfffe
	v_mad_co_u64_u32 v[15:16], null, v5, s47, 0
	v_mad_co_u64_u32 v[24:25], null, v7, s47, 0
	s_delay_alu instid0(VALU_DEP_2) | instskip(SKIP_1) | instid1(VALU_DEP_3)
	v_add_co_u32 v9, vcc_lo, v9, v15
	s_wait_alu 0xfffd
	v_add_co_ci_u32_e64 v11, null, 0, v16, vcc_lo
	s_delay_alu instid0(VALU_DEP_2) | instskip(SKIP_1) | instid1(VALU_DEP_2)
	v_add_co_u32 v9, vcc_lo, v9, v22
	s_wait_alu 0xfffd
	v_add_co_ci_u32_e32 v9, vcc_lo, v11, v23, vcc_lo
	s_wait_alu 0xfffd
	v_add_co_ci_u32_e32 v11, vcc_lo, 0, v25, vcc_lo
	s_delay_alu instid0(VALU_DEP_2) | instskip(SKIP_1) | instid1(VALU_DEP_2)
	v_add_co_u32 v9, vcc_lo, v9, v24
	s_wait_alu 0xfffd
	v_add_co_ci_u32_e64 v11, null, 0, v11, vcc_lo
	s_delay_alu instid0(VALU_DEP_2) | instskip(SKIP_1) | instid1(VALU_DEP_3)
	v_mul_lo_u32 v13, s55, v9
	v_mad_co_u64_u32 v[15:16], null, s54, v9, 0
	v_mul_lo_u32 v17, s54, v11
	s_delay_alu instid0(VALU_DEP_2) | instskip(NEXT) | instid1(VALU_DEP_2)
	v_sub_co_u32 v5, vcc_lo, v5, v15
	v_add3_u32 v13, v16, v17, v13
	s_delay_alu instid0(VALU_DEP_1) | instskip(SKIP_2) | instid1(VALU_DEP_2)
	v_sub_nc_u32_e32 v16, v7, v13
	s_wait_alu 0xfffd
	v_sub_co_ci_u32_e64 v7, null, v7, v13, vcc_lo
	v_subrev_co_ci_u32_e64 v15, null, s55, v16, vcc_lo
	v_add_co_u32 v16, s2, v9, 2
	s_wait_alu 0xf1ff
	v_add_co_ci_u32_e64 v17, null, 0, v11, s2
	v_sub_co_u32 v22, s2, v5, s54
	s_wait_alu 0xf1ff
	v_subrev_co_ci_u32_e64 v15, null, 0, v15, s2
	s_delay_alu instid0(VALU_DEP_2) | instskip(SKIP_2) | instid1(VALU_DEP_3)
	v_cmp_le_u32_e32 vcc_lo, s54, v22
	s_wait_alu 0xfffd
	v_cndmask_b32_e64 v13, 0, -1, vcc_lo
	v_cmp_le_u32_e32 vcc_lo, s55, v15
	s_wait_alu 0xfffd
	v_cndmask_b32_e64 v22, 0, -1, vcc_lo
	;; [unrolled: 3-line block ×4, first 2 shown]
	v_cmp_eq_u32_e32 vcc_lo, s55, v15
	s_wait_alu 0xfffd
	v_cndmask_b32_e32 v13, v22, v13, vcc_lo
	v_add_co_u32 v15, vcc_lo, v9, 1
	s_wait_alu 0xfffd
	v_add_co_ci_u32_e64 v22, null, 0, v11, vcc_lo
	v_cmp_eq_u32_e32 vcc_lo, s55, v7
	s_wait_alu 0xfffd
	v_cndmask_b32_e32 v5, v23, v5, vcc_lo
	v_cmp_ne_u32_e32 vcc_lo, 0, v13
	s_delay_alu instid0(VALU_DEP_2) | instskip(SKIP_4) | instid1(VALU_DEP_2)
	v_cmp_ne_u32_e64 s2, 0, v5
	s_wait_alu 0xfffd
	v_cndmask_b32_e32 v5, v15, v16, vcc_lo
	v_cndmask_b32_e32 v7, v22, v17, vcc_lo
	s_wait_alu 0xf1ff
	v_cndmask_b32_e64 v5, v9, v5, s2
	s_delay_alu instid0(VALU_DEP_2) | instskip(NEXT) | instid1(VALU_DEP_2)
	v_cndmask_b32_e64 v7, v11, v7, s2
	v_xor_b32_e32 v5, v5, v3
	s_delay_alu instid0(VALU_DEP_2) | instskip(NEXT) | instid1(VALU_DEP_2)
	v_xor_b32_e32 v7, v7, v3
	v_sub_co_u32 v16, vcc_lo, v5, v3
	s_wait_alu 0xfffd
	s_delay_alu instid0(VALU_DEP_2)
	v_sub_co_ci_u32_e64 v17, null, v7, v3, vcc_lo
.LBB69_34:                              ;   in Loop: Header=BB69_20 Depth=2
	s_and_not1_saveexec_b32 s2, s64
	s_cbranch_execz .LBB69_36
; %bb.35:                               ;   in Loop: Header=BB69_20 Depth=2
	v_cvt_f32_u32_e32 v3, s46
	s_sub_co_i32 s47, 0, s46
	v_mov_b32_e32 v17, v2
	s_delay_alu instid0(VALU_DEP_2) | instskip(NEXT) | instid1(TRANS32_DEP_1)
	v_rcp_iflag_f32_e32 v3, v3
	v_mul_f32_e32 v3, 0x4f7ffffe, v3
	s_delay_alu instid0(VALU_DEP_1) | instskip(SKIP_1) | instid1(VALU_DEP_1)
	v_cvt_u32_f32_e32 v3, v3
	s_wait_alu 0xfffe
	v_mul_lo_u32 v5, s47, v3
	s_delay_alu instid0(VALU_DEP_1) | instskip(NEXT) | instid1(VALU_DEP_1)
	v_mul_hi_u32 v5, v3, v5
	v_add_nc_u32_e32 v3, v3, v5
	s_delay_alu instid0(VALU_DEP_1) | instskip(NEXT) | instid1(VALU_DEP_1)
	v_mul_hi_u32 v3, v14, v3
	v_mul_lo_u32 v5, v3, s46
	v_add_nc_u32_e32 v7, 1, v3
	s_delay_alu instid0(VALU_DEP_2) | instskip(NEXT) | instid1(VALU_DEP_1)
	v_sub_nc_u32_e32 v5, v14, v5
	v_cmp_le_u32_e32 vcc_lo, s46, v5
	v_subrev_nc_u32_e32 v9, s46, v5
	s_wait_alu 0xfffd
	v_cndmask_b32_e32 v3, v3, v7, vcc_lo
	s_delay_alu instid0(VALU_DEP_1) | instskip(NEXT) | instid1(VALU_DEP_3)
	v_add_nc_u32_e32 v7, 1, v3
	v_cndmask_b32_e32 v5, v5, v9, vcc_lo
	s_delay_alu instid0(VALU_DEP_1) | instskip(SKIP_1) | instid1(VALU_DEP_3)
	v_cmp_le_u32_e32 vcc_lo, s46, v5
	s_wait_alu 0xfffd
	v_cndmask_b32_e32 v16, v3, v7, vcc_lo
.LBB69_36:                              ;   in Loop: Header=BB69_20 Depth=2
	s_wait_alu 0xfffe
	s_or_b32 exec_lo, exec_lo, s2
	s_add_nc_u64 s[50:51], s[0:1], s[50:51]
	v_mul_lo_u32 v3, v10, s40
	s_clause 0x1
	s_load_b32 s2, s[48:49], 0x6c
	s_load_b32 s40, s[50:51], 0x6c
	v_mul_lo_u32 v5, v12, s42
	v_mul_lo_u32 v7, v14, s44
	;; [unrolled: 1-line block ×3, first 2 shown]
	s_add_co_i32 s16, s16, -4
	s_wait_alu 0xfffe
	s_cmp_eq_u32 s16, -1
	v_sub_nc_u32_e32 v3, v8, v3
	s_delay_alu instid0(VALU_DEP_4) | instskip(NEXT) | instid1(VALU_DEP_4)
	v_sub_nc_u32_e32 v5, v10, v5
	v_sub_nc_u32_e32 v7, v12, v7
	s_delay_alu instid0(VALU_DEP_4) | instskip(NEXT) | instid1(VALU_DEP_4)
	v_sub_nc_u32_e32 v8, v14, v9
	v_mul_lo_u32 v9, s39, v3
	v_mul_lo_u32 v3, s41, v3
	;; [unrolled: 1-line block ×6, first 2 shown]
	s_wait_kmcnt 0x0
	v_mul_lo_u32 v12, s2, v8
	v_mul_lo_u32 v8, s40, v8
	v_add3_u32 v6, v9, v6, v10
	v_add3_u32 v3, v3, v4, v5
	s_delay_alu instid0(VALU_DEP_2) | instskip(NEXT) | instid1(VALU_DEP_2)
	v_add3_u32 v6, v11, v6, v12
	v_add3_u32 v4, v7, v3, v8
	s_cbranch_scc1 .LBB69_38
; %bb.37:                               ;   in Loop: Header=BB69_20 Depth=2
	v_dual_mov_b32 v8, v16 :: v_dual_mov_b32 v9, v17
	s_branch .LBB69_20
.LBB69_38:                              ;   in Loop: Header=BB69_3 Depth=1
	v_sub_nc_u32_e32 v5, v20, v21
	v_mov_b32_e32 v3, 0
	s_delay_alu instid0(VALU_DEP_2) | instskip(NEXT) | instid1(VALU_DEP_1)
	v_add_nc_u32_e32 v7, 4, v5
	v_ashrrev_i32_e32 v8, 31, v7
	s_delay_alu instid0(VALU_DEP_1)
	v_cmp_le_i64_e32 vcc_lo, s[4:5], v[7:8]
	v_mov_b32_e32 v7, 0
	s_and_saveexec_b32 s2, vcc_lo
	s_cbranch_execz .LBB69_48
; %bb.39:                               ;   in Loop: Header=BB69_3 Depth=1
	v_mov_b32_e32 v3, 0
	v_mov_b32_e32 v9, 0
	s_mov_b32 s16, exec_lo
	v_cmpx_gt_i32_e64 s3, v20
	s_cbranch_execz .LBB69_47
; %bb.40:                               ;   in Loop: Header=BB69_3 Depth=1
	v_ashrrev_i32_e32 v7, 31, v6
	v_mov_b32_e32 v3, v2
	v_add_nc_u32_e32 v9, 1, v20
	s_delay_alu instid0(VALU_DEP_3) | instskip(NEXT) | instid1(VALU_DEP_1)
	v_lshlrev_b64_e32 v[7:8], 1, v[6:7]
	v_add_co_u32 v7, vcc_lo, s10, v7
	s_wait_alu 0xfffd
	s_delay_alu instid0(VALU_DEP_2)
	v_add_co_ci_u32_e64 v8, null, s11, v8, vcc_lo
	v_cmp_gt_i32_e32 vcc_lo, s3, v9
	v_mov_b32_e32 v9, 0
	global_load_d16_b16 v3, v[7:8], off
	s_and_saveexec_b32 s39, vcc_lo
	s_wait_alu 0xfffe
	s_xor_b32 s39, exec_lo, s39
	s_cbranch_execz .LBB69_46
; %bb.41:                               ;   in Loop: Header=BB69_3 Depth=1
	s_lshl_b64 s[40:41], s[34:35], 1
	v_mov_b32_e32 v9, 0
	s_wait_alu 0xfffe
	v_add_co_u32 v7, vcc_lo, v7, s40
	s_wait_alu 0xfffd
	v_add_co_ci_u32_e64 v8, null, s41, v8, vcc_lo
	s_mov_b32 s40, exec_lo
	s_wait_loadcnt 0x0
	global_load_d16_hi_b16 v3, v[7:8], off
	v_add_nc_u32_e32 v7, 2, v20
	s_delay_alu instid0(VALU_DEP_1)
	v_cmpx_gt_i32_e64 s3, v7
	s_wait_alu 0xfffe
	s_xor_b32 s40, exec_lo, s40
	s_cbranch_execz .LBB69_45
; %bb.42:                               ;   in Loop: Header=BB69_3 Depth=1
	v_dual_mov_b32 v9, v2 :: v_dual_add_nc_u32 v6, s23, v6
	s_mov_b32 s41, exec_lo
	s_delay_alu instid0(VALU_DEP_1) | instskip(NEXT) | instid1(VALU_DEP_1)
	v_ashrrev_i32_e32 v7, 31, v6
	v_lshlrev_b64_e32 v[7:8], 1, v[6:7]
	s_delay_alu instid0(VALU_DEP_1) | instskip(SKIP_1) | instid1(VALU_DEP_2)
	v_add_co_u32 v7, vcc_lo, s10, v7
	s_wait_alu 0xfffd
	v_add_co_ci_u32_e64 v8, null, s11, v8, vcc_lo
	global_load_d16_b16 v9, v[7:8], off
	v_add_nc_u32_e32 v7, 3, v20
	s_delay_alu instid0(VALU_DEP_1)
	v_cmpx_gt_i32_e64 s3, v7
	s_wait_alu 0xfffe
	s_xor_b32 s41, exec_lo, s41
	s_cbranch_execz .LBB69_44
; %bb.43:                               ;   in Loop: Header=BB69_3 Depth=1
	v_add_nc_u32_e32 v6, s34, v6
	s_delay_alu instid0(VALU_DEP_1) | instskip(NEXT) | instid1(VALU_DEP_1)
	v_ashrrev_i32_e32 v7, 31, v6
	v_lshlrev_b64_e32 v[6:7], 1, v[6:7]
	s_delay_alu instid0(VALU_DEP_1) | instskip(SKIP_1) | instid1(VALU_DEP_2)
	v_add_co_u32 v6, vcc_lo, s10, v6
	s_wait_alu 0xfffd
	v_add_co_ci_u32_e64 v7, null, s11, v7, vcc_lo
	s_wait_loadcnt 0x0
	global_load_d16_hi_b16 v9, v[6:7], off
.LBB69_44:                              ;   in Loop: Header=BB69_3 Depth=1
	s_wait_alu 0xfffe
	s_or_b32 exec_lo, exec_lo, s41
.LBB69_45:                              ;   in Loop: Header=BB69_3 Depth=1
	s_wait_alu 0xfffe
	s_or_b32 exec_lo, exec_lo, s40
.LBB69_46:                              ;   in Loop: Header=BB69_3 Depth=1
	s_wait_alu 0xfffe
	s_or_b32 exec_lo, exec_lo, s39
.LBB69_47:                              ;   in Loop: Header=BB69_3 Depth=1
	s_wait_alu 0xfffe
	s_or_b32 exec_lo, exec_lo, s16
	s_wait_loadcnt 0x0
	v_lshrrev_b32_e32 v14, 16, v9
	v_add_nc_u32_e32 v7, 2, v5
	v_ashrrev_i32_e32 v6, 31, v5
	v_lshrrev_b32_e32 v15, 16, v3
	s_delay_alu instid0(VALU_DEP_3) | instskip(NEXT) | instid1(VALU_DEP_1)
	v_ashrrev_i32_e32 v8, 31, v7
	v_cmp_le_i64_e32 vcc_lo, s[24:25], v[7:8]
	s_wait_alu 0xfffd
	v_cndmask_b32_e32 v7, 0, v9, vcc_lo
	v_cmp_le_i64_e32 vcc_lo, s[18:19], v[5:6]
	s_wait_alu 0xfffd
	v_dual_cndmask_b32 v3, 0, v3 :: v_dual_add_nc_u32 v10, 1, v5
	s_delay_alu instid0(VALU_DEP_1) | instskip(NEXT) | instid1(VALU_DEP_1)
	v_ashrrev_i32_e32 v11, 31, v10
	v_cmp_le_i64_e32 vcc_lo, s[20:21], v[10:11]
	s_wait_alu 0xfffd
	v_dual_cndmask_b32 v5, 0, v15 :: v_dual_add_nc_u32 v12, 3, v5
	s_delay_alu instid0(VALU_DEP_1) | instskip(NEXT) | instid1(VALU_DEP_2)
	v_ashrrev_i32_e32 v13, 31, v12
	v_perm_b32 v3, v5, v3, 0x5040100
	s_delay_alu instid0(VALU_DEP_2) | instskip(SKIP_2) | instid1(VALU_DEP_1)
	v_cmp_le_i64_e32 vcc_lo, s[28:29], v[12:13]
	s_wait_alu 0xfffd
	v_cndmask_b32_e32 v6, 0, v14, vcc_lo
	v_perm_b32 v7, v6, v7, 0x5040100
.LBB69_48:                              ;   in Loop: Header=BB69_3 Depth=1
	s_wait_alu 0xfffe
	s_or_b32 exec_lo, exec_lo, s2
	s_delay_alu instid0(SALU_CYCLE_1)
	s_mov_b32 s2, exec_lo
	v_cmpx_gt_i32_e64 s3, v20
	s_cbranch_execz .LBB69_2
; %bb.49:                               ;   in Loop: Header=BB69_3 Depth=1
	v_ashrrev_i32_e32 v5, 31, v4
	v_add_nc_u32_e32 v8, 1, v20
	s_mov_b32 s16, exec_lo
	s_delay_alu instid0(VALU_DEP_2) | instskip(NEXT) | instid1(VALU_DEP_1)
	v_lshlrev_b64_e32 v[5:6], 1, v[4:5]
	v_add_co_u32 v5, vcc_lo, s14, v5
	s_wait_alu 0xfffd
	s_delay_alu instid0(VALU_DEP_2)
	v_add_co_ci_u32_e64 v6, null, s15, v6, vcc_lo
	global_store_b16 v[5:6], v3, off
	v_cmpx_gt_i32_e64 s3, v8
	s_wait_alu 0xfffe
	s_xor_b32 s16, exec_lo, s16
	s_cbranch_execz .LBB69_2
; %bb.50:                               ;   in Loop: Header=BB69_3 Depth=1
	s_lshl_b64 s[40:41], s[36:37], 1
	v_add_nc_u32_e32 v8, 2, v20
	s_wait_alu 0xfffe
	v_add_co_u32 v5, vcc_lo, v5, s40
	s_wait_alu 0xfffd
	v_add_co_ci_u32_e64 v6, null, s41, v6, vcc_lo
	s_mov_b32 s16, exec_lo
	global_store_d16_hi_b16 v[5:6], v3, off
	v_cmpx_gt_i32_e64 s3, v8
	s_wait_alu 0xfffe
	s_xor_b32 s16, exec_lo, s16
	s_cbranch_execz .LBB69_2
; %bb.51:                               ;   in Loop: Header=BB69_3 Depth=1
	v_add_nc_u32_e32 v3, s27, v4
	v_add_nc_u32_e32 v6, 3, v20
	s_mov_b32 s16, exec_lo
	s_delay_alu instid0(VALU_DEP_2) | instskip(NEXT) | instid1(VALU_DEP_1)
	v_ashrrev_i32_e32 v4, 31, v3
	v_lshlrev_b64_e32 v[4:5], 1, v[3:4]
	s_delay_alu instid0(VALU_DEP_1) | instskip(SKIP_1) | instid1(VALU_DEP_2)
	v_add_co_u32 v4, vcc_lo, s14, v4
	s_wait_alu 0xfffd
	v_add_co_ci_u32_e64 v5, null, s15, v5, vcc_lo
	global_store_b16 v[4:5], v7, off
	v_cmpx_gt_i32_e64 s3, v6
	s_wait_alu 0xfffe
	s_xor_b32 s16, exec_lo, s16
	s_cbranch_execz .LBB69_2
; %bb.52:                               ;   in Loop: Header=BB69_3 Depth=1
	v_add_nc_u32_e32 v3, s36, v3
	s_delay_alu instid0(VALU_DEP_1) | instskip(NEXT) | instid1(VALU_DEP_1)
	v_ashrrev_i32_e32 v4, 31, v3
	v_lshlrev_b64_e32 v[3:4], 1, v[3:4]
	s_delay_alu instid0(VALU_DEP_1) | instskip(SKIP_1) | instid1(VALU_DEP_2)
	v_add_co_u32 v3, vcc_lo, s14, v3
	s_wait_alu 0xfffd
	v_add_co_ci_u32_e64 v4, null, s15, v4, vcc_lo
	global_store_d16_hi_b16 v[3:4], v7, off
	s_branch .LBB69_2
.LBB69_53:
	s_endpgm
	.section	.rodata,"a",@progbits
	.p2align	6, 0x0
	.amdhsa_kernel _ZN2at6native16triu_tril_kernelIsiLb1ELi4ELb0EEEvNS_4cuda6detail10TensorInfoIT_T0_EENS4_IKS5_S6_EEllS6_
		.amdhsa_group_segment_fixed_size 0
		.amdhsa_private_segment_fixed_size 0
		.amdhsa_kernarg_size 712
		.amdhsa_user_sgpr_count 2
		.amdhsa_user_sgpr_dispatch_ptr 0
		.amdhsa_user_sgpr_queue_ptr 0
		.amdhsa_user_sgpr_kernarg_segment_ptr 1
		.amdhsa_user_sgpr_dispatch_id 0
		.amdhsa_user_sgpr_private_segment_size 0
		.amdhsa_wavefront_size32 1
		.amdhsa_uses_dynamic_stack 0
		.amdhsa_enable_private_segment 0
		.amdhsa_system_sgpr_workgroup_id_x 1
		.amdhsa_system_sgpr_workgroup_id_y 0
		.amdhsa_system_sgpr_workgroup_id_z 0
		.amdhsa_system_sgpr_workgroup_info 0
		.amdhsa_system_vgpr_workitem_id 0
		.amdhsa_next_free_vgpr 26
		.amdhsa_next_free_sgpr 78
		.amdhsa_reserve_vcc 1
		.amdhsa_float_round_mode_32 0
		.amdhsa_float_round_mode_16_64 0
		.amdhsa_float_denorm_mode_32 3
		.amdhsa_float_denorm_mode_16_64 3
		.amdhsa_fp16_overflow 0
		.amdhsa_workgroup_processor_mode 1
		.amdhsa_memory_ordered 1
		.amdhsa_forward_progress 1
		.amdhsa_inst_pref_size 69
		.amdhsa_round_robin_scheduling 0
		.amdhsa_exception_fp_ieee_invalid_op 0
		.amdhsa_exception_fp_denorm_src 0
		.amdhsa_exception_fp_ieee_div_zero 0
		.amdhsa_exception_fp_ieee_overflow 0
		.amdhsa_exception_fp_ieee_underflow 0
		.amdhsa_exception_fp_ieee_inexact 0
		.amdhsa_exception_int_div_zero 0
	.end_amdhsa_kernel
	.section	.text._ZN2at6native16triu_tril_kernelIsiLb1ELi4ELb0EEEvNS_4cuda6detail10TensorInfoIT_T0_EENS4_IKS5_S6_EEllS6_,"axG",@progbits,_ZN2at6native16triu_tril_kernelIsiLb1ELi4ELb0EEEvNS_4cuda6detail10TensorInfoIT_T0_EENS4_IKS5_S6_EEllS6_,comdat
.Lfunc_end69:
	.size	_ZN2at6native16triu_tril_kernelIsiLb1ELi4ELb0EEEvNS_4cuda6detail10TensorInfoIT_T0_EENS4_IKS5_S6_EEllS6_, .Lfunc_end69-_ZN2at6native16triu_tril_kernelIsiLb1ELi4ELb0EEEvNS_4cuda6detail10TensorInfoIT_T0_EENS4_IKS5_S6_EEllS6_
                                        ; -- End function
	.set _ZN2at6native16triu_tril_kernelIsiLb1ELi4ELb0EEEvNS_4cuda6detail10TensorInfoIT_T0_EENS4_IKS5_S6_EEllS6_.num_vgpr, 26
	.set _ZN2at6native16triu_tril_kernelIsiLb1ELi4ELb0EEEvNS_4cuda6detail10TensorInfoIT_T0_EENS4_IKS5_S6_EEllS6_.num_agpr, 0
	.set _ZN2at6native16triu_tril_kernelIsiLb1ELi4ELb0EEEvNS_4cuda6detail10TensorInfoIT_T0_EENS4_IKS5_S6_EEllS6_.numbered_sgpr, 78
	.set _ZN2at6native16triu_tril_kernelIsiLb1ELi4ELb0EEEvNS_4cuda6detail10TensorInfoIT_T0_EENS4_IKS5_S6_EEllS6_.num_named_barrier, 0
	.set _ZN2at6native16triu_tril_kernelIsiLb1ELi4ELb0EEEvNS_4cuda6detail10TensorInfoIT_T0_EENS4_IKS5_S6_EEllS6_.private_seg_size, 0
	.set _ZN2at6native16triu_tril_kernelIsiLb1ELi4ELb0EEEvNS_4cuda6detail10TensorInfoIT_T0_EENS4_IKS5_S6_EEllS6_.uses_vcc, 1
	.set _ZN2at6native16triu_tril_kernelIsiLb1ELi4ELb0EEEvNS_4cuda6detail10TensorInfoIT_T0_EENS4_IKS5_S6_EEllS6_.uses_flat_scratch, 0
	.set _ZN2at6native16triu_tril_kernelIsiLb1ELi4ELb0EEEvNS_4cuda6detail10TensorInfoIT_T0_EENS4_IKS5_S6_EEllS6_.has_dyn_sized_stack, 0
	.set _ZN2at6native16triu_tril_kernelIsiLb1ELi4ELb0EEEvNS_4cuda6detail10TensorInfoIT_T0_EENS4_IKS5_S6_EEllS6_.has_recursion, 0
	.set _ZN2at6native16triu_tril_kernelIsiLb1ELi4ELb0EEEvNS_4cuda6detail10TensorInfoIT_T0_EENS4_IKS5_S6_EEllS6_.has_indirect_call, 0
	.section	.AMDGPU.csdata,"",@progbits
; Kernel info:
; codeLenInByte = 8760
; TotalNumSgprs: 80
; NumVgprs: 26
; ScratchSize: 0
; MemoryBound: 0
; FloatMode: 240
; IeeeMode: 1
; LDSByteSize: 0 bytes/workgroup (compile time only)
; SGPRBlocks: 0
; VGPRBlocks: 3
; NumSGPRsForWavesPerEU: 80
; NumVGPRsForWavesPerEU: 26
; Occupancy: 16
; WaveLimiterHint : 1
; COMPUTE_PGM_RSRC2:SCRATCH_EN: 0
; COMPUTE_PGM_RSRC2:USER_SGPR: 2
; COMPUTE_PGM_RSRC2:TRAP_HANDLER: 0
; COMPUTE_PGM_RSRC2:TGID_X_EN: 1
; COMPUTE_PGM_RSRC2:TGID_Y_EN: 0
; COMPUTE_PGM_RSRC2:TGID_Z_EN: 0
; COMPUTE_PGM_RSRC2:TIDIG_COMP_CNT: 0
	.section	.text._ZN2at6native16triu_tril_kernelIslLb1ELi4ELb1EEEvNS_4cuda6detail10TensorInfoIT_T0_EENS4_IKS5_S6_EEllS6_,"axG",@progbits,_ZN2at6native16triu_tril_kernelIslLb1ELi4ELb1EEEvNS_4cuda6detail10TensorInfoIT_T0_EENS4_IKS5_S6_EEllS6_,comdat
	.protected	_ZN2at6native16triu_tril_kernelIslLb1ELi4ELb1EEEvNS_4cuda6detail10TensorInfoIT_T0_EENS4_IKS5_S6_EEllS6_ ; -- Begin function _ZN2at6native16triu_tril_kernelIslLb1ELi4ELb1EEEvNS_4cuda6detail10TensorInfoIT_T0_EENS4_IKS5_S6_EEllS6_
	.globl	_ZN2at6native16triu_tril_kernelIslLb1ELi4ELb1EEEvNS_4cuda6detail10TensorInfoIT_T0_EENS4_IKS5_S6_EEllS6_
	.p2align	8
	.type	_ZN2at6native16triu_tril_kernelIslLb1ELi4ELb1EEEvNS_4cuda6detail10TensorInfoIT_T0_EENS4_IKS5_S6_EEllS6_,@function
_ZN2at6native16triu_tril_kernelIslLb1ELi4ELb1EEEvNS_4cuda6detail10TensorInfoIT_T0_EENS4_IKS5_S6_EEllS6_: ; @_ZN2at6native16triu_tril_kernelIslLb1ELi4ELb1EEEvNS_4cuda6detail10TensorInfoIT_T0_EENS4_IKS5_S6_EEllS6_
; %bb.0:
	s_clause 0x1
	s_load_b32 s2, s[0:1], 0x364
	s_load_b128 s[4:7], s[0:1], 0x340
	v_mov_b32_e32 v2, 0
	s_mov_b32 s3, exec_lo
	s_delay_alu instid0(VALU_DEP_1)
	v_mov_b32_e32 v1, v2
	s_wait_kmcnt 0x0
	s_and_b32 s2, s2, 0xffff
	s_delay_alu instid0(VALU_DEP_1) | instid1(SALU_CYCLE_1)
	v_mad_co_u64_u32 v[0:1], null, s2, ttmp9, v[0:1]
	s_delay_alu instid0(VALU_DEP_1) | instskip(NEXT) | instid1(VALU_DEP_1)
	v_lshlrev_b64_e32 v[0:1], 2, v[0:1]
	v_cmpx_gt_i64_e64 s[6:7], v[0:1]
	s_cbranch_execz .LBB70_47
; %bb.1:
	s_load_b32 s22, s[0:1], 0x338
	s_add_nc_u64 s[12:13], s[0:1], 0x358
	s_clause 0x1
	s_load_b64 s[8:9], s[0:1], 0x350
	s_load_b64 s[10:11], s[0:1], 0x0
	s_add_nc_u64 s[28:29], s[0:1], 0x1a0
	s_load_b32 s3, s[12:13], 0x0
	s_movk_i32 s18, 0xffe0
	s_add_nc_u64 s[16:17], s[0:1], 0xb8
	s_mov_b32 s19, -1
	s_add_nc_u64 s[34:35], s[0:1], 0x190
	s_mov_b32 s65, 0
	s_wait_kmcnt 0x0
	s_add_co_i32 s14, s22, -2
	v_cvt_f32_u32_e32 v3, s8
	s_ashr_i32 s15, s14, 31
	s_add_co_i32 s20, s22, -3
	s_lshl_b64 s[12:13], s[14:15], 3
	s_ashr_i32 s23, s22, 31
	s_add_nc_u64 s[12:13], s[28:29], s[12:13]
	v_rcp_iflag_f32_e32 v3, v3
	s_load_b64 s[12:13], s[12:13], 0x8
	s_mul_i32 s24, s3, s2
	s_and_b32 s25, s20, 3
	s_lshl_b64 s[2:3], s[22:23], 3
	s_ashr_i32 s21, s20, 31
	s_and_b32 s14, s14, 3
	s_lshl_b32 s62, s24, 2
	s_cmp_lg_u32 s25, 3
	v_cmp_gt_i64_e64 s33, s[22:23], 2
	s_cselect_b32 s63, -1, 0
	s_cmp_gt_u32 s20, 2
	s_wait_alu 0xfffe
	s_add_nc_u64 s[22:23], s[0:1], s[2:3]
	s_add_nc_u64 s[24:25], s[28:29], s[2:3]
	s_cselect_b32 s64, -1, 0
	s_lshl_b64 s[2:3], s[20:21], 3
	s_mov_b32 s15, 0
	s_wait_alu 0xfffe
	s_add_nc_u64 s[30:31], s[0:1], s[2:3]
	s_add_nc_u64 s[2:3], s[28:29], s[2:3]
	s_mov_b64 s[26:27], s[14:15]
	s_add_nc_u64 s[28:29], s[30:31], 0xd0
	s_wait_kmcnt 0x0
	v_cvt_f32_u32_e32 v4, s12
	s_wait_alu 0xfffe
	s_add_nc_u64 s[30:31], s[2:3], 8
	s_ashr_i32 s36, s9, 31
	s_delay_alu instid0(VALU_DEP_1) | instskip(NEXT) | instid1(TRANS32_DEP_1)
	v_rcp_iflag_f32_e32 v4, v4
	v_dual_mul_f32 v3, 0x4f7ffffe, v3 :: v_dual_mul_f32 v4, 0x4f7ffffe, v4
	s_delay_alu instid0(VALU_DEP_1) | instskip(NEXT) | instid1(VALU_DEP_2)
	v_cvt_u32_f32_e32 v18, v3
	v_cvt_u32_f32_e32 v19, v4
	s_branch .LBB70_3
.LBB70_2:                               ;   in Loop: Header=BB70_3 Depth=1
	s_wait_alu 0xfffe
	s_or_b32 exec_lo, exec_lo, s37
	v_add_co_u32 v0, vcc_lo, v0, s62
	s_wait_alu 0xfffd
	v_add_co_ci_u32_e64 v1, null, 0, v1, vcc_lo
	s_delay_alu instid0(VALU_DEP_1) | instskip(SKIP_1) | instid1(SALU_CYCLE_1)
	v_cmp_le_i64_e32 vcc_lo, s[6:7], v[0:1]
	s_or_b32 s65, vcc_lo, s65
	s_and_not1_b32 exec_lo, exec_lo, s65
	s_cbranch_execz .LBB70_47
.LBB70_3:                               ; =>This Loop Header: Depth=1
                                        ;     Child Loop BB70_17 Depth 2
                                        ;     Child Loop BB70_22 Depth 2
	v_or_b32_e32 v3, s9, v1
                                        ; implicit-def: $vgpr6_vgpr7
	s_mov_b32 s0, exec_lo
	s_delay_alu instid0(VALU_DEP_1)
	v_cmpx_ne_u64_e32 0, v[2:3]
	s_wait_alu 0xfffe
	s_xor_b32 s1, exec_lo, s0
	s_cbranch_execz .LBB70_5
; %bb.4:                                ;   in Loop: Header=BB70_3 Depth=1
	s_mov_b32 s37, s36
	v_ashrrev_i32_e32 v9, 31, v1
	s_wait_alu 0xfffe
	s_add_nc_u64 s[2:3], s[8:9], s[36:37]
	s_wait_alu 0xfffe
	s_xor_b64 s[2:3], s[2:3], s[36:37]
	v_add_co_u32 v3, vcc_lo, v0, v9
	s_wait_alu 0xfffe
	s_cvt_f32_u32 s0, s2
	s_cvt_f32_u32 s14, s3
	s_sub_nc_u64 s[40:41], 0, s[2:3]
	s_wait_alu 0xfffd
	v_add_co_ci_u32_e64 v4, null, v1, v9, vcc_lo
	s_wait_alu 0xfffe
	s_fmamk_f32 s0, s14, 0x4f800000, s0
	v_xor_b32_e32 v10, v3, v9
	s_delay_alu instid0(VALU_DEP_2) | instskip(SKIP_2) | instid1(TRANS32_DEP_1)
	v_xor_b32_e32 v11, v4, v9
	s_wait_alu 0xfffe
	v_s_rcp_f32 s0, s0
	s_mul_f32 s0, s0, 0x5f7ffffc
	s_wait_alu 0xfffe
	s_delay_alu instid0(SALU_CYCLE_2) | instskip(SKIP_1) | instid1(SALU_CYCLE_2)
	s_mul_f32 s14, s0, 0x2f800000
	s_wait_alu 0xfffe
	s_trunc_f32 s14, s14
	s_wait_alu 0xfffe
	s_delay_alu instid0(SALU_CYCLE_2) | instskip(SKIP_2) | instid1(SALU_CYCLE_1)
	s_fmamk_f32 s0, s14, 0xcf800000, s0
	s_cvt_u32_f32 s39, s14
	s_wait_alu 0xfffe
	s_cvt_u32_f32 s38, s0
	s_wait_alu 0xfffe
	s_delay_alu instid0(SALU_CYCLE_2) | instskip(NEXT) | instid1(SALU_CYCLE_1)
	s_mul_u64 s[42:43], s[40:41], s[38:39]
	s_mul_hi_u32 s45, s38, s43
	s_mul_i32 s44, s38, s43
	s_mul_hi_u32 s14, s38, s42
	s_mul_i32 s37, s39, s42
	s_wait_alu 0xfffe
	s_add_nc_u64 s[44:45], s[14:15], s[44:45]
	s_mul_hi_u32 s0, s39, s42
	s_mul_hi_u32 s46, s39, s43
	s_wait_alu 0xfffe
	s_add_co_u32 s14, s44, s37
	s_add_co_ci_u32 s14, s45, s0
	s_mul_i32 s42, s39, s43
	s_add_co_ci_u32 s43, s46, 0
	s_wait_alu 0xfffe
	s_add_nc_u64 s[42:43], s[14:15], s[42:43]
	s_delay_alu instid0(SALU_CYCLE_1)
	s_add_co_u32 s38, s38, s42
	s_cselect_b32 s0, -1, 0
	s_wait_alu 0xfffe
	s_cmp_lg_u32 s0, 0
	s_add_co_ci_u32 s39, s39, s43
	s_wait_alu 0xfffe
	s_mul_u64 s[40:41], s[40:41], s[38:39]
	s_delay_alu instid0(SALU_CYCLE_1)
	s_mul_hi_u32 s43, s38, s41
	s_mul_i32 s42, s38, s41
	s_mul_hi_u32 s14, s38, s40
	s_mul_i32 s37, s39, s40
	s_wait_alu 0xfffe
	s_add_nc_u64 s[42:43], s[14:15], s[42:43]
	s_mul_hi_u32 s0, s39, s40
	s_mul_hi_u32 s44, s39, s41
	s_add_co_u32 s14, s42, s37
	s_wait_alu 0xfffe
	s_add_co_ci_u32 s14, s43, s0
	s_mul_i32 s40, s39, s41
	s_add_co_ci_u32 s41, s44, 0
	s_wait_alu 0xfffe
	s_add_nc_u64 s[40:41], s[14:15], s[40:41]
	s_delay_alu instid0(SALU_CYCLE_1)
	s_add_co_u32 s0, s38, s40
	s_cselect_b32 s14, -1, 0
	s_wait_alu 0xfffe
	v_mul_hi_u32 v12, v10, s0
	s_cmp_lg_u32 s14, 0
	v_mad_co_u64_u32 v[5:6], null, v11, s0, 0
	s_add_co_ci_u32 s14, s39, s41
	s_wait_alu 0xfffe
	v_mad_co_u64_u32 v[3:4], null, v10, s14, 0
	v_mad_co_u64_u32 v[7:8], null, v11, s14, 0
	s_delay_alu instid0(VALU_DEP_2) | instskip(SKIP_1) | instid1(VALU_DEP_3)
	v_add_co_u32 v3, vcc_lo, v12, v3
	s_wait_alu 0xfffd
	v_add_co_ci_u32_e64 v4, null, 0, v4, vcc_lo
	s_delay_alu instid0(VALU_DEP_2) | instskip(SKIP_1) | instid1(VALU_DEP_2)
	v_add_co_u32 v3, vcc_lo, v3, v5
	s_wait_alu 0xfffd
	v_add_co_ci_u32_e32 v3, vcc_lo, v4, v6, vcc_lo
	s_wait_alu 0xfffd
	v_add_co_ci_u32_e32 v4, vcc_lo, 0, v8, vcc_lo
	s_delay_alu instid0(VALU_DEP_2) | instskip(SKIP_1) | instid1(VALU_DEP_2)
	v_add_co_u32 v5, vcc_lo, v3, v7
	s_wait_alu 0xfffd
	v_add_co_ci_u32_e64 v6, null, 0, v4, vcc_lo
	s_delay_alu instid0(VALU_DEP_2) | instskip(SKIP_1) | instid1(VALU_DEP_3)
	v_mul_lo_u32 v7, s3, v5
	v_mad_co_u64_u32 v[3:4], null, s2, v5, 0
	v_mul_lo_u32 v8, s2, v6
	s_delay_alu instid0(VALU_DEP_2) | instskip(NEXT) | instid1(VALU_DEP_2)
	v_sub_co_u32 v3, vcc_lo, v10, v3
	v_add3_u32 v4, v4, v8, v7
	v_add_co_u32 v8, s0, v5, 2
	s_wait_alu 0xf1ff
	v_add_co_ci_u32_e64 v10, null, 0, v6, s0
	s_delay_alu instid0(VALU_DEP_3) | instskip(SKIP_3) | instid1(VALU_DEP_3)
	v_sub_nc_u32_e32 v7, v11, v4
	v_sub_co_u32 v12, s0, v3, s2
	s_wait_alu 0xfffd
	v_sub_co_ci_u32_e64 v4, null, v11, v4, vcc_lo
	v_subrev_co_ci_u32_e64 v7, null, s3, v7, vcc_lo
	s_delay_alu instid0(VALU_DEP_3) | instskip(SKIP_1) | instid1(VALU_DEP_2)
	v_cmp_le_u32_e32 vcc_lo, s2, v12
	s_wait_alu 0xf1ff
	v_subrev_co_ci_u32_e64 v7, null, 0, v7, s0
	s_wait_alu 0xfffd
	v_cndmask_b32_e64 v11, 0, -1, vcc_lo
	s_delay_alu instid0(VALU_DEP_2)
	v_cmp_le_u32_e32 vcc_lo, s3, v7
	s_wait_alu 0xfffd
	v_cndmask_b32_e64 v12, 0, -1, vcc_lo
	v_cmp_le_u32_e32 vcc_lo, s2, v3
	s_wait_alu 0xfffd
	v_cndmask_b32_e64 v3, 0, -1, vcc_lo
	;; [unrolled: 3-line block ×3, first 2 shown]
	v_cmp_eq_u32_e32 vcc_lo, s3, v7
	s_wait_alu 0xfffd
	v_cndmask_b32_e32 v7, v12, v11, vcc_lo
	v_add_co_u32 v11, vcc_lo, v5, 1
	s_wait_alu 0xfffd
	v_add_co_ci_u32_e64 v12, null, 0, v6, vcc_lo
	v_cmp_eq_u32_e32 vcc_lo, s3, v4
	s_wait_alu 0xfffd
	v_cndmask_b32_e32 v3, v13, v3, vcc_lo
	v_cmp_ne_u32_e32 vcc_lo, 0, v7
	v_xor_b32_e32 v7, s36, v9
	s_wait_alu 0xfffd
	v_cndmask_b32_e32 v4, v12, v10, vcc_lo
	v_cmp_ne_u32_e64 s0, 0, v3
	v_cndmask_b32_e32 v3, v11, v8, vcc_lo
	s_wait_alu 0xf1ff
	s_delay_alu instid0(VALU_DEP_2) | instskip(NEXT) | instid1(VALU_DEP_2)
	v_cndmask_b32_e64 v4, v6, v4, s0
	v_cndmask_b32_e64 v3, v5, v3, s0
	s_delay_alu instid0(VALU_DEP_2) | instskip(NEXT) | instid1(VALU_DEP_2)
	v_xor_b32_e32 v4, v4, v7
	v_xor_b32_e32 v3, v3, v7
	s_delay_alu instid0(VALU_DEP_1) | instskip(SKIP_1) | instid1(VALU_DEP_3)
	v_sub_co_u32 v6, vcc_lo, v3, v7
	s_wait_alu 0xfffd
	v_sub_co_ci_u32_e64 v7, null, v4, v7, vcc_lo
.LBB70_5:                               ;   in Loop: Header=BB70_3 Depth=1
	s_wait_alu 0xfffe
	s_and_not1_saveexec_b32 s0, s1
	s_cbranch_execz .LBB70_7
; %bb.6:                                ;   in Loop: Header=BB70_3 Depth=1
	s_sub_co_i32 s1, 0, s8
	v_mov_b32_e32 v7, v2
	s_wait_alu 0xfffe
	v_mul_lo_u32 v3, s1, v18
	s_delay_alu instid0(VALU_DEP_1) | instskip(NEXT) | instid1(VALU_DEP_1)
	v_mul_hi_u32 v3, v18, v3
	v_add_nc_u32_e32 v3, v18, v3
	s_delay_alu instid0(VALU_DEP_1) | instskip(NEXT) | instid1(VALU_DEP_1)
	v_mul_hi_u32 v3, v0, v3
	v_mul_lo_u32 v4, v3, s8
	v_add_nc_u32_e32 v5, 1, v3
	s_delay_alu instid0(VALU_DEP_2) | instskip(NEXT) | instid1(VALU_DEP_1)
	v_sub_nc_u32_e32 v4, v0, v4
	v_subrev_nc_u32_e32 v6, s8, v4
	v_cmp_le_u32_e32 vcc_lo, s8, v4
	s_wait_alu 0xfffd
	s_delay_alu instid0(VALU_DEP_2) | instskip(NEXT) | instid1(VALU_DEP_1)
	v_dual_cndmask_b32 v4, v4, v6 :: v_dual_cndmask_b32 v3, v3, v5
	v_cmp_le_u32_e32 vcc_lo, s8, v4
	s_delay_alu instid0(VALU_DEP_2) | instskip(SKIP_1) | instid1(VALU_DEP_1)
	v_add_nc_u32_e32 v5, 1, v3
	s_wait_alu 0xfffd
	v_cndmask_b32_e32 v6, v3, v5, vcc_lo
.LBB70_7:                               ;   in Loop: Header=BB70_3 Depth=1
	s_wait_alu 0xfffe
	s_or_b32 exec_lo, exec_lo, s0
	v_or_b32_e32 v3, s13, v7
                                        ; implicit-def: $vgpr8_vgpr9
	s_mov_b32 s0, exec_lo
	s_delay_alu instid0(VALU_DEP_1)
	v_cmpx_ne_u64_e32 0, v[2:3]
	s_wait_alu 0xfffe
	s_xor_b32 s1, exec_lo, s0
	s_cbranch_execz .LBB70_9
; %bb.8:                                ;   in Loop: Header=BB70_3 Depth=1
	s_ashr_i32 s2, s13, 31
	v_ashrrev_i32_e32 v5, 31, v7
	s_wait_alu 0xfffe
	s_mov_b32 s3, s2
	s_wait_alu 0xfffe
	s_add_nc_u64 s[38:39], s[12:13], s[2:3]
	v_add_co_u32 v3, vcc_lo, v6, v5
	s_wait_alu 0xfffe
	s_xor_b64 s[38:39], s[38:39], s[2:3]
	s_wait_alu 0xfffd
	v_add_co_ci_u32_e64 v4, null, v7, v5, vcc_lo
	s_wait_alu 0xfffe
	s_cvt_f32_u32 s0, s38
	s_cvt_f32_u32 s3, s39
	s_sub_nc_u64 s[42:43], 0, s[38:39]
	v_xor_b32_e32 v12, v3, v5
	v_xor_b32_e32 v13, v4, v5
	s_wait_alu 0xfffe
	s_fmamk_f32 s0, s3, 0x4f800000, s0
	v_xor_b32_e32 v5, s2, v5
	s_wait_alu 0xfffe
	s_delay_alu instid0(SALU_CYCLE_1) | instskip(NEXT) | instid1(TRANS32_DEP_1)
	v_s_rcp_f32 s0, s0
	s_mul_f32 s0, s0, 0x5f7ffffc
	s_wait_alu 0xfffe
	s_delay_alu instid0(SALU_CYCLE_2) | instskip(SKIP_1) | instid1(SALU_CYCLE_2)
	s_mul_f32 s3, s0, 0x2f800000
	s_wait_alu 0xfffe
	s_trunc_f32 s3, s3
	s_wait_alu 0xfffe
	s_delay_alu instid0(SALU_CYCLE_2) | instskip(SKIP_2) | instid1(SALU_CYCLE_1)
	s_fmamk_f32 s0, s3, 0xcf800000, s0
	s_cvt_u32_f32 s41, s3
	s_wait_alu 0xfffe
	s_cvt_u32_f32 s40, s0
	s_delay_alu instid0(SALU_CYCLE_3)
	s_mul_u64 s[44:45], s[42:43], s[40:41]
	s_wait_alu 0xfffe
	s_mul_hi_u32 s47, s40, s45
	s_mul_i32 s46, s40, s45
	s_mul_hi_u32 s14, s40, s44
	s_mul_i32 s3, s41, s44
	s_wait_alu 0xfffe
	s_add_nc_u64 s[46:47], s[14:15], s[46:47]
	s_mul_hi_u32 s0, s41, s44
	s_mul_hi_u32 s37, s41, s45
	s_wait_alu 0xfffe
	s_add_co_u32 s3, s46, s3
	s_add_co_ci_u32 s14, s47, s0
	s_mul_i32 s44, s41, s45
	s_add_co_ci_u32 s45, s37, 0
	s_wait_alu 0xfffe
	s_add_nc_u64 s[44:45], s[14:15], s[44:45]
	s_wait_alu 0xfffe
	s_add_co_u32 s40, s40, s44
	s_cselect_b32 s0, -1, 0
	s_wait_alu 0xfffe
	s_cmp_lg_u32 s0, 0
	s_add_co_ci_u32 s41, s41, s45
	s_delay_alu instid0(SALU_CYCLE_1) | instskip(NEXT) | instid1(SALU_CYCLE_1)
	s_mul_u64 s[42:43], s[42:43], s[40:41]
	s_mul_hi_u32 s45, s40, s43
	s_mul_i32 s44, s40, s43
	s_mul_hi_u32 s14, s40, s42
	s_mul_i32 s3, s41, s42
	s_wait_alu 0xfffe
	s_add_nc_u64 s[44:45], s[14:15], s[44:45]
	s_mul_hi_u32 s0, s41, s42
	s_mul_hi_u32 s37, s41, s43
	s_wait_alu 0xfffe
	s_add_co_u32 s3, s44, s3
	s_add_co_ci_u32 s14, s45, s0
	s_mul_i32 s42, s41, s43
	s_add_co_ci_u32 s43, s37, 0
	s_wait_alu 0xfffe
	s_add_nc_u64 s[42:43], s[14:15], s[42:43]
	s_delay_alu instid0(SALU_CYCLE_1)
	s_add_co_u32 s0, s40, s42
	s_cselect_b32 s3, -1, 0
	s_wait_alu 0xfffe
	v_mul_hi_u32 v14, v12, s0
	s_cmp_lg_u32 s3, 0
	v_mad_co_u64_u32 v[8:9], null, v13, s0, 0
	s_add_co_ci_u32 s3, s41, s43
	s_wait_alu 0xfffe
	v_mad_co_u64_u32 v[3:4], null, v12, s3, 0
	v_mad_co_u64_u32 v[10:11], null, v13, s3, 0
	s_delay_alu instid0(VALU_DEP_2) | instskip(SKIP_1) | instid1(VALU_DEP_3)
	v_add_co_u32 v3, vcc_lo, v14, v3
	s_wait_alu 0xfffd
	v_add_co_ci_u32_e64 v4, null, 0, v4, vcc_lo
	s_delay_alu instid0(VALU_DEP_2) | instskip(SKIP_1) | instid1(VALU_DEP_2)
	v_add_co_u32 v3, vcc_lo, v3, v8
	s_wait_alu 0xfffd
	v_add_co_ci_u32_e32 v3, vcc_lo, v4, v9, vcc_lo
	s_wait_alu 0xfffd
	v_add_co_ci_u32_e32 v4, vcc_lo, 0, v11, vcc_lo
	s_delay_alu instid0(VALU_DEP_2) | instskip(SKIP_1) | instid1(VALU_DEP_2)
	v_add_co_u32 v8, vcc_lo, v3, v10
	s_wait_alu 0xfffd
	v_add_co_ci_u32_e64 v9, null, 0, v4, vcc_lo
	s_delay_alu instid0(VALU_DEP_2) | instskip(SKIP_1) | instid1(VALU_DEP_3)
	v_mul_lo_u32 v10, s39, v8
	v_mad_co_u64_u32 v[3:4], null, s38, v8, 0
	v_mul_lo_u32 v11, s38, v9
	s_delay_alu instid0(VALU_DEP_2) | instskip(NEXT) | instid1(VALU_DEP_2)
	v_sub_co_u32 v3, vcc_lo, v12, v3
	v_add3_u32 v4, v4, v11, v10
	v_add_co_u32 v11, s0, v8, 2
	s_wait_alu 0xf1ff
	v_add_co_ci_u32_e64 v12, null, 0, v9, s0
	s_delay_alu instid0(VALU_DEP_3) | instskip(SKIP_3) | instid1(VALU_DEP_3)
	v_sub_nc_u32_e32 v10, v13, v4
	v_sub_co_u32 v14, s0, v3, s38
	s_wait_alu 0xfffd
	v_sub_co_ci_u32_e64 v4, null, v13, v4, vcc_lo
	v_subrev_co_ci_u32_e64 v10, null, s39, v10, vcc_lo
	s_delay_alu instid0(VALU_DEP_3) | instskip(SKIP_1) | instid1(VALU_DEP_2)
	v_cmp_le_u32_e32 vcc_lo, s38, v14
	s_wait_alu 0xf1ff
	v_subrev_co_ci_u32_e64 v10, null, 0, v10, s0
	s_wait_alu 0xfffd
	v_cndmask_b32_e64 v13, 0, -1, vcc_lo
	s_delay_alu instid0(VALU_DEP_2)
	v_cmp_le_u32_e32 vcc_lo, s39, v10
	s_wait_alu 0xfffd
	v_cndmask_b32_e64 v14, 0, -1, vcc_lo
	v_cmp_le_u32_e32 vcc_lo, s38, v3
	s_wait_alu 0xfffd
	v_cndmask_b32_e64 v3, 0, -1, vcc_lo
	;; [unrolled: 3-line block ×3, first 2 shown]
	v_cmp_eq_u32_e32 vcc_lo, s39, v10
	s_wait_alu 0xfffd
	v_cndmask_b32_e32 v10, v14, v13, vcc_lo
	v_add_co_u32 v13, vcc_lo, v8, 1
	s_wait_alu 0xfffd
	v_add_co_ci_u32_e64 v14, null, 0, v9, vcc_lo
	v_cmp_eq_u32_e32 vcc_lo, s39, v4
	s_wait_alu 0xfffd
	v_cndmask_b32_e32 v3, v15, v3, vcc_lo
	v_cmp_ne_u32_e32 vcc_lo, 0, v10
	s_delay_alu instid0(VALU_DEP_2) | instskip(SKIP_3) | instid1(VALU_DEP_1)
	v_cmp_ne_u32_e64 s0, 0, v3
	s_wait_alu 0xfffd
	v_dual_cndmask_b32 v4, v14, v12 :: v_dual_cndmask_b32 v3, v13, v11
	s_wait_alu 0xf1ff
	v_cndmask_b32_e64 v4, v9, v4, s0
	s_delay_alu instid0(VALU_DEP_2) | instskip(NEXT) | instid1(VALU_DEP_2)
	v_cndmask_b32_e64 v3, v8, v3, s0
	v_xor_b32_e32 v4, v4, v5
	s_delay_alu instid0(VALU_DEP_2) | instskip(NEXT) | instid1(VALU_DEP_1)
	v_xor_b32_e32 v3, v3, v5
	v_sub_co_u32 v8, vcc_lo, v3, v5
	s_wait_alu 0xfffd
	s_delay_alu instid0(VALU_DEP_3)
	v_sub_co_ci_u32_e64 v9, null, v4, v5, vcc_lo
.LBB70_9:                               ;   in Loop: Header=BB70_3 Depth=1
	s_wait_alu 0xfffe
	s_and_not1_saveexec_b32 s0, s1
	s_cbranch_execz .LBB70_11
; %bb.10:                               ;   in Loop: Header=BB70_3 Depth=1
	s_sub_co_i32 s1, 0, s12
	v_mov_b32_e32 v9, v2
	s_wait_alu 0xfffe
	v_mul_lo_u32 v3, s1, v19
	s_delay_alu instid0(VALU_DEP_1) | instskip(NEXT) | instid1(VALU_DEP_1)
	v_mul_hi_u32 v3, v19, v3
	v_add_nc_u32_e32 v3, v19, v3
	s_delay_alu instid0(VALU_DEP_1) | instskip(NEXT) | instid1(VALU_DEP_1)
	v_mul_hi_u32 v3, v6, v3
	v_mul_lo_u32 v4, v3, s12
	v_add_nc_u32_e32 v5, 1, v3
	s_delay_alu instid0(VALU_DEP_2) | instskip(NEXT) | instid1(VALU_DEP_1)
	v_sub_nc_u32_e32 v4, v6, v4
	v_subrev_nc_u32_e32 v8, s12, v4
	v_cmp_le_u32_e32 vcc_lo, s12, v4
	s_wait_alu 0xfffd
	s_delay_alu instid0(VALU_DEP_2) | instskip(NEXT) | instid1(VALU_DEP_1)
	v_dual_cndmask_b32 v4, v4, v8 :: v_dual_cndmask_b32 v3, v3, v5
	v_cmp_le_u32_e32 vcc_lo, s12, v4
	s_delay_alu instid0(VALU_DEP_2) | instskip(SKIP_1) | instid1(VALU_DEP_1)
	v_add_nc_u32_e32 v5, 1, v3
	s_wait_alu 0xfffd
	v_cndmask_b32_e32 v8, v3, v5, vcc_lo
.LBB70_11:                              ;   in Loop: Header=BB70_3 Depth=1
	s_wait_alu 0xfffe
	s_or_b32 exec_lo, exec_lo, s0
	v_mul_lo_u32 v5, v7, s8
	v_mul_lo_u32 v12, v6, s9
	v_mad_co_u64_u32 v[3:4], null, v6, s8, 0
	v_mul_lo_u32 v13, v9, s12
	v_mul_lo_u32 v14, v8, s13
	v_mad_co_u64_u32 v[10:11], null, v8, s12, 0
	s_mov_b32 s37, exec_lo
	v_add3_u32 v5, v4, v12, v5
	v_sub_co_u32 v4, vcc_lo, v0, v3
	v_add3_u32 v11, v11, v14, v13
	s_wait_alu 0xfffd
	s_delay_alu instid0(VALU_DEP_3) | instskip(SKIP_3) | instid1(VALU_DEP_2)
	v_sub_co_ci_u32_e64 v5, null, v1, v5, vcc_lo
	v_sub_co_u32 v20, vcc_lo, v6, v10
	s_wait_alu 0xfffd
	v_sub_co_ci_u32_e64 v21, null, v7, v11, vcc_lo
	v_sub_co_u32 v6, vcc_lo, v4, v20
	s_wait_alu 0xfffd
	s_delay_alu instid0(VALU_DEP_2) | instskip(NEXT) | instid1(VALU_DEP_1)
	v_sub_co_ci_u32_e64 v7, null, v5, v21, vcc_lo
	v_cmpx_gt_i64_e64 s[4:5], v[6:7]
	s_cbranch_execz .LBB70_2
; %bb.12:                               ;   in Loop: Header=BB70_3 Depth=1
	s_load_b128 s[0:3], s[22:23], 0xc0
	s_and_not1_b32 vcc_lo, exec_lo, s33
	s_wait_kmcnt 0x0
	v_mul_lo_u32 v3, s3, v4
	v_mul_lo_u32 v10, s2, v5
	v_mad_co_u64_u32 v[6:7], null, s2, v4, 0
	s_delay_alu instid0(VALU_DEP_1) | instskip(SKIP_2) | instid1(VALU_DEP_3)
	v_add3_u32 v7, v7, v10, v3
	v_mul_lo_u32 v3, s0, v21
	v_mul_lo_u32 v10, s1, v20
	v_mad_co_u64_u32 v[6:7], null, s0, v20, v[6:7]
	s_delay_alu instid0(VALU_DEP_1)
	v_add3_u32 v7, v10, v7, v3
	s_wait_alu 0xfffe
	s_cbranch_vccnz .LBB70_38
; %bb.13:                               ;   in Loop: Header=BB70_3 Depth=1
	s_mov_b64 s[38:39], s[26:27]
	s_mov_b64 s[40:41], s[30:31]
	s_and_not1_b32 vcc_lo, exec_lo, s63
	s_mov_b64 s[44:45], s[28:29]
	s_mov_b64 s[42:43], s[20:21]
	s_wait_alu 0xfffe
	s_cbranch_vccz .LBB70_17
.LBB70_14:                              ;   in Loop: Header=BB70_3 Depth=1
	s_and_not1_b32 vcc_lo, exec_lo, s64
	s_wait_alu 0xfffe
	s_cbranch_vccnz .LBB70_38
; %bb.15:                               ;   in Loop: Header=BB70_3 Depth=1
	s_lshl_b64 s[0:1], s[42:43], 3
	s_add_nc_u64 s[42:43], s[42:43], 1
	s_wait_alu 0xfffe
	s_add_nc_u64 s[38:39], s[16:17], s[0:1]
	s_add_nc_u64 s[40:41], s[34:35], s[0:1]
	s_branch .LBB70_22
.LBB70_16:                              ;   in Loop: Header=BB70_17 Depth=2
	s_wait_alu 0xfffe
	s_or_b32 exec_lo, exec_lo, s0
	s_load_b64 s[0:1], s[44:45], 0x0
	v_mul_lo_u32 v3, v11, s46
	v_mul_lo_u32 v14, v10, s47
	v_mad_co_u64_u32 v[12:13], null, v10, s46, 0
	s_add_nc_u64 s[38:39], s[38:39], -1
	s_add_nc_u64 s[42:43], s[42:43], -1
	;; [unrolled: 1-line block ×3, first 2 shown]
	s_wait_alu 0xfffe
	s_cmp_lg_u64 s[38:39], 0
	s_add_nc_u64 s[40:41], s[40:41], -8
	v_add3_u32 v3, v13, v14, v3
	v_sub_co_u32 v8, vcc_lo, v8, v12
	s_wait_alu 0xfffd
	s_delay_alu instid0(VALU_DEP_2) | instskip(SKIP_1) | instid1(VALU_DEP_2)
	v_sub_co_ci_u32_e64 v3, null, v9, v3, vcc_lo
	s_wait_kmcnt 0x0
	v_mul_lo_u32 v9, s1, v8
	s_delay_alu instid0(VALU_DEP_2) | instskip(SKIP_1) | instid1(VALU_DEP_1)
	v_mul_lo_u32 v3, s0, v3
	v_mad_co_u64_u32 v[6:7], null, s0, v8, v[6:7]
	v_add3_u32 v7, v9, v7, v3
	v_dual_mov_b32 v8, v10 :: v_dual_mov_b32 v9, v11
	s_cbranch_scc0 .LBB70_14
.LBB70_17:                              ;   Parent Loop BB70_3 Depth=1
                                        ; =>  This Inner Loop Header: Depth=2
	s_load_b64 s[46:47], s[40:41], 0x0
                                        ; implicit-def: $vgpr10_vgpr11
	s_mov_b32 s0, exec_lo
	s_wait_kmcnt 0x0
	v_or_b32_e32 v3, s47, v9
	s_delay_alu instid0(VALU_DEP_1)
	v_cmpx_ne_u64_e32 0, v[2:3]
	s_wait_alu 0xfffe
	s_xor_b32 s1, exec_lo, s0
	s_cbranch_execz .LBB70_19
; %bb.18:                               ;   in Loop: Header=BB70_17 Depth=2
	s_ashr_i32 s48, s47, 31
	v_ashrrev_i32_e32 v3, 31, v9
	s_wait_alu 0xfffe
	s_mov_b32 s49, s48
	s_wait_alu 0xfffe
	s_add_nc_u64 s[50:51], s[46:47], s[48:49]
	v_add_co_u32 v10, vcc_lo, v8, v3
	s_wait_alu 0xfffe
	s_xor_b64 s[50:51], s[50:51], s[48:49]
	s_wait_alu 0xfffd
	v_add_co_ci_u32_e64 v11, null, v9, v3, vcc_lo
	s_wait_alu 0xfffe
	s_cvt_f32_u32 s0, s50
	s_cvt_f32_u32 s14, s51
	s_sub_nc_u64 s[54:55], 0, s[50:51]
	v_xor_b32_e32 v16, v10, v3
	v_xor_b32_e32 v17, v11, v3
	s_wait_alu 0xfffe
	s_fmamk_f32 s0, s14, 0x4f800000, s0
	v_xor_b32_e32 v3, s48, v3
	s_wait_alu 0xfffe
	s_delay_alu instid0(SALU_CYCLE_1) | instskip(NEXT) | instid1(TRANS32_DEP_1)
	v_s_rcp_f32 s0, s0
	s_mul_f32 s0, s0, 0x5f7ffffc
	s_wait_alu 0xfffe
	s_delay_alu instid0(SALU_CYCLE_2) | instskip(SKIP_1) | instid1(SALU_CYCLE_2)
	s_mul_f32 s14, s0, 0x2f800000
	s_wait_alu 0xfffe
	s_trunc_f32 s14, s14
	s_wait_alu 0xfffe
	s_delay_alu instid0(SALU_CYCLE_2) | instskip(SKIP_2) | instid1(SALU_CYCLE_1)
	s_fmamk_f32 s0, s14, 0xcf800000, s0
	s_cvt_u32_f32 s53, s14
	s_wait_alu 0xfffe
	s_cvt_u32_f32 s52, s0
	s_wait_alu 0xfffe
	s_delay_alu instid0(SALU_CYCLE_2)
	s_mul_u64 s[56:57], s[54:55], s[52:53]
	s_wait_alu 0xfffe
	s_mul_hi_u32 s59, s52, s57
	s_mul_i32 s58, s52, s57
	s_mul_hi_u32 s14, s52, s56
	s_mul_i32 s49, s53, s56
	s_wait_alu 0xfffe
	s_add_nc_u64 s[58:59], s[14:15], s[58:59]
	s_mul_hi_u32 s0, s53, s56
	s_mul_hi_u32 s60, s53, s57
	s_wait_alu 0xfffe
	s_add_co_u32 s14, s58, s49
	s_add_co_ci_u32 s14, s59, s0
	s_mul_i32 s56, s53, s57
	s_add_co_ci_u32 s57, s60, 0
	s_wait_alu 0xfffe
	s_add_nc_u64 s[56:57], s[14:15], s[56:57]
	s_wait_alu 0xfffe
	s_add_co_u32 s52, s52, s56
	s_cselect_b32 s0, -1, 0
	s_wait_alu 0xfffe
	s_cmp_lg_u32 s0, 0
	s_add_co_ci_u32 s53, s53, s57
	s_wait_alu 0xfffe
	s_mul_u64 s[54:55], s[54:55], s[52:53]
	s_wait_alu 0xfffe
	s_mul_hi_u32 s57, s52, s55
	s_mul_i32 s56, s52, s55
	s_mul_hi_u32 s14, s52, s54
	s_mul_i32 s49, s53, s54
	s_wait_alu 0xfffe
	s_add_nc_u64 s[56:57], s[14:15], s[56:57]
	s_mul_hi_u32 s0, s53, s54
	s_mul_hi_u32 s58, s53, s55
	s_wait_alu 0xfffe
	s_add_co_u32 s14, s56, s49
	s_add_co_ci_u32 s14, s57, s0
	s_mul_i32 s54, s53, s55
	s_add_co_ci_u32 s55, s58, 0
	s_wait_alu 0xfffe
	s_add_nc_u64 s[54:55], s[14:15], s[54:55]
	s_wait_alu 0xfffe
	s_add_co_u32 s0, s52, s54
	s_cselect_b32 s14, -1, 0
	s_wait_alu 0xfffe
	v_mul_hi_u32 v22, v16, s0
	s_cmp_lg_u32 s14, 0
	v_mad_co_u64_u32 v[12:13], null, v17, s0, 0
	s_add_co_ci_u32 s14, s53, s55
	s_wait_alu 0xfffe
	v_mad_co_u64_u32 v[10:11], null, v16, s14, 0
	v_mad_co_u64_u32 v[14:15], null, v17, s14, 0
	s_delay_alu instid0(VALU_DEP_2) | instskip(SKIP_1) | instid1(VALU_DEP_3)
	v_add_co_u32 v10, vcc_lo, v22, v10
	s_wait_alu 0xfffd
	v_add_co_ci_u32_e64 v11, null, 0, v11, vcc_lo
	s_delay_alu instid0(VALU_DEP_2) | instskip(SKIP_1) | instid1(VALU_DEP_2)
	v_add_co_u32 v10, vcc_lo, v10, v12
	s_wait_alu 0xfffd
	v_add_co_ci_u32_e32 v10, vcc_lo, v11, v13, vcc_lo
	s_wait_alu 0xfffd
	v_add_co_ci_u32_e32 v11, vcc_lo, 0, v15, vcc_lo
	s_delay_alu instid0(VALU_DEP_2) | instskip(SKIP_1) | instid1(VALU_DEP_2)
	v_add_co_u32 v12, vcc_lo, v10, v14
	s_wait_alu 0xfffd
	v_add_co_ci_u32_e64 v13, null, 0, v11, vcc_lo
	s_delay_alu instid0(VALU_DEP_2) | instskip(SKIP_1) | instid1(VALU_DEP_3)
	v_mul_lo_u32 v14, s51, v12
	v_mad_co_u64_u32 v[10:11], null, s50, v12, 0
	v_mul_lo_u32 v15, s50, v13
	s_delay_alu instid0(VALU_DEP_2) | instskip(NEXT) | instid1(VALU_DEP_2)
	v_sub_co_u32 v10, vcc_lo, v16, v10
	v_add3_u32 v11, v11, v15, v14
	v_add_co_u32 v15, s0, v12, 2
	s_wait_alu 0xf1ff
	v_add_co_ci_u32_e64 v16, null, 0, v13, s0
	s_delay_alu instid0(VALU_DEP_3) | instskip(SKIP_3) | instid1(VALU_DEP_3)
	v_sub_nc_u32_e32 v14, v17, v11
	v_sub_co_u32 v22, s0, v10, s50
	s_wait_alu 0xfffd
	v_sub_co_ci_u32_e64 v11, null, v17, v11, vcc_lo
	v_subrev_co_ci_u32_e64 v14, null, s51, v14, vcc_lo
	s_delay_alu instid0(VALU_DEP_3) | instskip(SKIP_1) | instid1(VALU_DEP_2)
	v_cmp_le_u32_e32 vcc_lo, s50, v22
	s_wait_alu 0xf1ff
	v_subrev_co_ci_u32_e64 v14, null, 0, v14, s0
	s_wait_alu 0xfffd
	v_cndmask_b32_e64 v17, 0, -1, vcc_lo
	s_delay_alu instid0(VALU_DEP_2)
	v_cmp_le_u32_e32 vcc_lo, s51, v14
	s_wait_alu 0xfffd
	v_cndmask_b32_e64 v22, 0, -1, vcc_lo
	v_cmp_le_u32_e32 vcc_lo, s50, v10
	s_wait_alu 0xfffd
	v_cndmask_b32_e64 v10, 0, -1, vcc_lo
	;; [unrolled: 3-line block ×3, first 2 shown]
	v_cmp_eq_u32_e32 vcc_lo, s51, v14
	s_wait_alu 0xfffd
	v_cndmask_b32_e32 v14, v22, v17, vcc_lo
	v_add_co_u32 v17, vcc_lo, v12, 1
	s_wait_alu 0xfffd
	v_add_co_ci_u32_e64 v22, null, 0, v13, vcc_lo
	v_cmp_eq_u32_e32 vcc_lo, s51, v11
	s_wait_alu 0xfffd
	v_cndmask_b32_e32 v10, v23, v10, vcc_lo
	v_cmp_ne_u32_e32 vcc_lo, 0, v14
	s_wait_alu 0xfffd
	v_cndmask_b32_e32 v11, v22, v16, vcc_lo
	s_delay_alu instid0(VALU_DEP_3) | instskip(SKIP_2) | instid1(VALU_DEP_2)
	v_cmp_ne_u32_e64 s0, 0, v10
	v_cndmask_b32_e32 v10, v17, v15, vcc_lo
	s_wait_alu 0xf1ff
	v_cndmask_b32_e64 v11, v13, v11, s0
	s_delay_alu instid0(VALU_DEP_2) | instskip(NEXT) | instid1(VALU_DEP_2)
	v_cndmask_b32_e64 v10, v12, v10, s0
	v_xor_b32_e32 v11, v11, v3
	s_delay_alu instid0(VALU_DEP_2) | instskip(NEXT) | instid1(VALU_DEP_1)
	v_xor_b32_e32 v10, v10, v3
	v_sub_co_u32 v10, vcc_lo, v10, v3
	s_wait_alu 0xfffd
	s_delay_alu instid0(VALU_DEP_3)
	v_sub_co_ci_u32_e64 v11, null, v11, v3, vcc_lo
.LBB70_19:                              ;   in Loop: Header=BB70_17 Depth=2
	s_wait_alu 0xfffe
	s_and_not1_saveexec_b32 s0, s1
	s_cbranch_execz .LBB70_16
; %bb.20:                               ;   in Loop: Header=BB70_17 Depth=2
	v_cvt_f32_u32_e32 v3, s46
	s_sub_co_i32 s1, 0, s46
	s_delay_alu instid0(VALU_DEP_1) | instskip(NEXT) | instid1(TRANS32_DEP_1)
	v_rcp_iflag_f32_e32 v3, v3
	v_mul_f32_e32 v3, 0x4f7ffffe, v3
	s_delay_alu instid0(VALU_DEP_1) | instskip(SKIP_1) | instid1(VALU_DEP_1)
	v_cvt_u32_f32_e32 v3, v3
	s_wait_alu 0xfffe
	v_mul_lo_u32 v10, s1, v3
	s_delay_alu instid0(VALU_DEP_1) | instskip(NEXT) | instid1(VALU_DEP_1)
	v_mul_hi_u32 v10, v3, v10
	v_add_nc_u32_e32 v3, v3, v10
	s_delay_alu instid0(VALU_DEP_1) | instskip(NEXT) | instid1(VALU_DEP_1)
	v_mul_hi_u32 v3, v8, v3
	v_mul_lo_u32 v10, v3, s46
	v_add_nc_u32_e32 v11, 1, v3
	s_delay_alu instid0(VALU_DEP_2) | instskip(NEXT) | instid1(VALU_DEP_1)
	v_sub_nc_u32_e32 v10, v8, v10
	v_subrev_nc_u32_e32 v12, s46, v10
	v_cmp_le_u32_e32 vcc_lo, s46, v10
	s_wait_alu 0xfffd
	s_delay_alu instid0(VALU_DEP_2) | instskip(NEXT) | instid1(VALU_DEP_1)
	v_dual_cndmask_b32 v10, v10, v12 :: v_dual_cndmask_b32 v3, v3, v11
	v_cmp_le_u32_e32 vcc_lo, s46, v10
	s_delay_alu instid0(VALU_DEP_2) | instskip(SKIP_1) | instid1(VALU_DEP_1)
	v_add_nc_u32_e32 v11, 1, v3
	s_wait_alu 0xfffd
	v_dual_cndmask_b32 v10, v3, v11 :: v_dual_mov_b32 v11, v2
	s_branch .LBB70_16
.LBB70_21:                              ;   in Loop: Header=BB70_22 Depth=2
	s_wait_alu 0xfffe
	s_or_b32 exec_lo, exec_lo, s0
	v_mul_lo_u32 v3, v11, s44
	v_mul_lo_u32 v26, v10, s45
	v_mad_co_u64_u32 v[22:23], null, v10, s44, 0
	v_mul_lo_u32 v27, v13, s48
	v_mul_lo_u32 v28, v12, s49
	v_mad_co_u64_u32 v[24:25], null, v12, s48, 0
	s_load_b64 s[0:1], s[38:39], 0x0
	s_add_nc_u64 s[42:43], s[42:43], -4
	v_add3_u32 v3, v23, v26, v3
	v_sub_co_u32 v8, vcc_lo, v8, v22
	v_mul_lo_u32 v22, v15, s52
	v_add3_u32 v23, v25, v28, v27
	s_wait_alu 0xfffd
	v_sub_co_ci_u32_e64 v3, null, v9, v3, vcc_lo
	v_mul_lo_u32 v25, s47, v8
	v_mad_co_u64_u32 v[6:7], null, s46, v8, v[6:7]
	s_delay_alu instid0(VALU_DEP_3)
	v_mul_lo_u32 v3, s46, v3
	v_mul_lo_u32 v26, v14, s53
	v_mad_co_u64_u32 v[8:9], null, v14, s52, 0
	v_sub_co_u32 v10, vcc_lo, v10, v24
	s_wait_alu 0xfffd
	v_sub_co_ci_u32_e64 v11, null, v11, v23, vcc_lo
	v_add3_u32 v7, v25, v7, v3
	s_add_nc_u64 s[38:39], s[38:39], s[18:19]
	s_delay_alu instid0(VALU_DEP_4)
	v_add3_u32 v3, v9, v26, v22
	v_mul_lo_u32 v22, s51, v10
	v_mul_lo_u32 v11, s50, v11
	v_mad_co_u64_u32 v[6:7], null, s50, v10, v[6:7]
	v_sub_co_u32 v10, vcc_lo, v12, v8
	s_wait_alu 0xfffd
	v_sub_co_ci_u32_e64 v3, null, v13, v3, vcc_lo
	v_mul_lo_u32 v12, v17, s56
	v_mul_lo_u32 v13, v16, s57
	v_mad_co_u64_u32 v[8:9], null, v16, s56, 0
	v_add3_u32 v7, v22, v7, v11
	v_mul_lo_u32 v3, s54, v3
	s_cmp_eq_u64 s[42:43], 0
	s_add_nc_u64 s[40:41], s[40:41], s[18:19]
	s_delay_alu instid0(VALU_DEP_2) | instskip(SKIP_4) | instid1(VALU_DEP_2)
	v_mad_co_u64_u32 v[6:7], null, s54, v10, v[6:7]
	v_mul_lo_u32 v10, s55, v10
	v_add3_u32 v9, v9, v13, v12
	v_sub_co_u32 v8, vcc_lo, v14, v8
	s_wait_alu 0xfffd
	v_sub_co_ci_u32_e64 v9, null, v15, v9, vcc_lo
	s_delay_alu instid0(VALU_DEP_4) | instskip(SKIP_1) | instid1(VALU_DEP_2)
	v_add3_u32 v7, v10, v7, v3
	s_wait_kmcnt 0x0
	v_mul_lo_u32 v3, s0, v9
	v_mul_lo_u32 v9, s1, v8
	s_delay_alu instid0(VALU_DEP_3) | instskip(NEXT) | instid1(VALU_DEP_1)
	v_mad_co_u64_u32 v[6:7], null, s0, v8, v[6:7]
	v_add3_u32 v7, v9, v7, v3
	v_dual_mov_b32 v8, v16 :: v_dual_mov_b32 v9, v17
	s_cbranch_scc1 .LBB70_38
.LBB70_22:                              ;   Parent Loop BB70_3 Depth=1
                                        ; =>  This Inner Loop Header: Depth=2
	s_load_b64 s[44:45], s[40:41], 0x18
                                        ; implicit-def: $vgpr10_vgpr11
	s_mov_b32 s0, exec_lo
	s_wait_kmcnt 0x0
	v_or_b32_e32 v3, s45, v9
	s_delay_alu instid0(VALU_DEP_1)
	v_cmpx_ne_u64_e32 0, v[2:3]
	s_wait_alu 0xfffe
	s_xor_b32 s1, exec_lo, s0
	s_cbranch_execz .LBB70_24
; %bb.23:                               ;   in Loop: Header=BB70_22 Depth=2
	s_ashr_i32 s46, s45, 31
	v_ashrrev_i32_e32 v3, 31, v9
	s_wait_alu 0xfffe
	s_mov_b32 s47, s46
	s_wait_alu 0xfffe
	s_add_nc_u64 s[48:49], s[44:45], s[46:47]
	v_add_co_u32 v10, vcc_lo, v8, v3
	s_wait_alu 0xfffe
	s_xor_b64 s[48:49], s[48:49], s[46:47]
	s_wait_alu 0xfffd
	v_add_co_ci_u32_e64 v11, null, v9, v3, vcc_lo
	s_wait_alu 0xfffe
	s_cvt_f32_u32 s0, s48
	s_cvt_f32_u32 s14, s49
	s_sub_nc_u64 s[52:53], 0, s[48:49]
	v_xor_b32_e32 v16, v10, v3
	v_xor_b32_e32 v17, v11, v3
	s_wait_alu 0xfffe
	s_fmamk_f32 s0, s14, 0x4f800000, s0
	v_xor_b32_e32 v3, s46, v3
	s_wait_alu 0xfffe
	s_delay_alu instid0(SALU_CYCLE_1) | instskip(NEXT) | instid1(TRANS32_DEP_1)
	v_s_rcp_f32 s0, s0
	s_mul_f32 s0, s0, 0x5f7ffffc
	s_wait_alu 0xfffe
	s_delay_alu instid0(SALU_CYCLE_2) | instskip(SKIP_1) | instid1(SALU_CYCLE_2)
	s_mul_f32 s14, s0, 0x2f800000
	s_wait_alu 0xfffe
	s_trunc_f32 s14, s14
	s_wait_alu 0xfffe
	s_delay_alu instid0(SALU_CYCLE_2) | instskip(SKIP_2) | instid1(SALU_CYCLE_1)
	s_fmamk_f32 s0, s14, 0xcf800000, s0
	s_cvt_u32_f32 s51, s14
	s_wait_alu 0xfffe
	s_cvt_u32_f32 s50, s0
	s_wait_alu 0xfffe
	s_delay_alu instid0(SALU_CYCLE_2)
	s_mul_u64 s[54:55], s[52:53], s[50:51]
	s_wait_alu 0xfffe
	s_mul_hi_u32 s57, s50, s55
	s_mul_i32 s56, s50, s55
	s_mul_hi_u32 s14, s50, s54
	s_mul_i32 s47, s51, s54
	s_wait_alu 0xfffe
	s_add_nc_u64 s[56:57], s[14:15], s[56:57]
	s_mul_hi_u32 s0, s51, s54
	s_mul_hi_u32 s58, s51, s55
	s_wait_alu 0xfffe
	s_add_co_u32 s14, s56, s47
	s_add_co_ci_u32 s14, s57, s0
	s_mul_i32 s54, s51, s55
	s_add_co_ci_u32 s55, s58, 0
	s_wait_alu 0xfffe
	s_add_nc_u64 s[54:55], s[14:15], s[54:55]
	s_wait_alu 0xfffe
	s_add_co_u32 s50, s50, s54
	s_cselect_b32 s0, -1, 0
	s_wait_alu 0xfffe
	s_cmp_lg_u32 s0, 0
	s_add_co_ci_u32 s51, s51, s55
	s_wait_alu 0xfffe
	s_mul_u64 s[52:53], s[52:53], s[50:51]
	s_wait_alu 0xfffe
	s_mul_hi_u32 s55, s50, s53
	s_mul_i32 s54, s50, s53
	s_mul_hi_u32 s14, s50, s52
	s_mul_i32 s47, s51, s52
	s_wait_alu 0xfffe
	s_add_nc_u64 s[54:55], s[14:15], s[54:55]
	s_mul_hi_u32 s0, s51, s52
	s_mul_hi_u32 s56, s51, s53
	s_wait_alu 0xfffe
	s_add_co_u32 s14, s54, s47
	s_add_co_ci_u32 s14, s55, s0
	s_mul_i32 s52, s51, s53
	s_add_co_ci_u32 s53, s56, 0
	s_wait_alu 0xfffe
	s_add_nc_u64 s[52:53], s[14:15], s[52:53]
	s_wait_alu 0xfffe
	s_add_co_u32 s0, s50, s52
	s_cselect_b32 s14, -1, 0
	s_wait_alu 0xfffe
	v_mul_hi_u32 v22, v16, s0
	s_cmp_lg_u32 s14, 0
	v_mad_co_u64_u32 v[12:13], null, v17, s0, 0
	s_add_co_ci_u32 s14, s51, s53
	s_wait_alu 0xfffe
	v_mad_co_u64_u32 v[10:11], null, v16, s14, 0
	v_mad_co_u64_u32 v[14:15], null, v17, s14, 0
	s_delay_alu instid0(VALU_DEP_2) | instskip(SKIP_1) | instid1(VALU_DEP_3)
	v_add_co_u32 v10, vcc_lo, v22, v10
	s_wait_alu 0xfffd
	v_add_co_ci_u32_e64 v11, null, 0, v11, vcc_lo
	s_delay_alu instid0(VALU_DEP_2) | instskip(SKIP_1) | instid1(VALU_DEP_2)
	v_add_co_u32 v10, vcc_lo, v10, v12
	s_wait_alu 0xfffd
	v_add_co_ci_u32_e32 v10, vcc_lo, v11, v13, vcc_lo
	s_wait_alu 0xfffd
	v_add_co_ci_u32_e32 v11, vcc_lo, 0, v15, vcc_lo
	s_delay_alu instid0(VALU_DEP_2) | instskip(SKIP_1) | instid1(VALU_DEP_2)
	v_add_co_u32 v12, vcc_lo, v10, v14
	s_wait_alu 0xfffd
	v_add_co_ci_u32_e64 v13, null, 0, v11, vcc_lo
	s_delay_alu instid0(VALU_DEP_2) | instskip(SKIP_1) | instid1(VALU_DEP_3)
	v_mul_lo_u32 v14, s49, v12
	v_mad_co_u64_u32 v[10:11], null, s48, v12, 0
	v_mul_lo_u32 v15, s48, v13
	s_delay_alu instid0(VALU_DEP_2) | instskip(NEXT) | instid1(VALU_DEP_2)
	v_sub_co_u32 v10, vcc_lo, v16, v10
	v_add3_u32 v11, v11, v15, v14
	v_add_co_u32 v15, s0, v12, 2
	s_wait_alu 0xf1ff
	v_add_co_ci_u32_e64 v16, null, 0, v13, s0
	s_delay_alu instid0(VALU_DEP_3) | instskip(SKIP_3) | instid1(VALU_DEP_3)
	v_sub_nc_u32_e32 v14, v17, v11
	v_sub_co_u32 v22, s0, v10, s48
	s_wait_alu 0xfffd
	v_sub_co_ci_u32_e64 v11, null, v17, v11, vcc_lo
	v_subrev_co_ci_u32_e64 v14, null, s49, v14, vcc_lo
	s_delay_alu instid0(VALU_DEP_3) | instskip(SKIP_1) | instid1(VALU_DEP_2)
	v_cmp_le_u32_e32 vcc_lo, s48, v22
	s_wait_alu 0xf1ff
	v_subrev_co_ci_u32_e64 v14, null, 0, v14, s0
	s_wait_alu 0xfffd
	v_cndmask_b32_e64 v17, 0, -1, vcc_lo
	s_delay_alu instid0(VALU_DEP_2)
	v_cmp_le_u32_e32 vcc_lo, s49, v14
	s_wait_alu 0xfffd
	v_cndmask_b32_e64 v22, 0, -1, vcc_lo
	v_cmp_le_u32_e32 vcc_lo, s48, v10
	s_wait_alu 0xfffd
	v_cndmask_b32_e64 v10, 0, -1, vcc_lo
	;; [unrolled: 3-line block ×3, first 2 shown]
	v_cmp_eq_u32_e32 vcc_lo, s49, v14
	s_wait_alu 0xfffd
	v_cndmask_b32_e32 v14, v22, v17, vcc_lo
	v_add_co_u32 v17, vcc_lo, v12, 1
	s_wait_alu 0xfffd
	v_add_co_ci_u32_e64 v22, null, 0, v13, vcc_lo
	v_cmp_eq_u32_e32 vcc_lo, s49, v11
	s_wait_alu 0xfffd
	v_cndmask_b32_e32 v10, v23, v10, vcc_lo
	v_cmp_ne_u32_e32 vcc_lo, 0, v14
	s_wait_alu 0xfffd
	v_cndmask_b32_e32 v11, v22, v16, vcc_lo
	s_delay_alu instid0(VALU_DEP_3) | instskip(SKIP_2) | instid1(VALU_DEP_2)
	v_cmp_ne_u32_e64 s0, 0, v10
	v_cndmask_b32_e32 v10, v17, v15, vcc_lo
	s_wait_alu 0xf1ff
	v_cndmask_b32_e64 v11, v13, v11, s0
	s_delay_alu instid0(VALU_DEP_2) | instskip(NEXT) | instid1(VALU_DEP_2)
	v_cndmask_b32_e64 v10, v12, v10, s0
	v_xor_b32_e32 v11, v11, v3
	s_delay_alu instid0(VALU_DEP_2) | instskip(NEXT) | instid1(VALU_DEP_1)
	v_xor_b32_e32 v10, v10, v3
	v_sub_co_u32 v10, vcc_lo, v10, v3
	s_wait_alu 0xfffd
	s_delay_alu instid0(VALU_DEP_3)
	v_sub_co_ci_u32_e64 v11, null, v11, v3, vcc_lo
.LBB70_24:                              ;   in Loop: Header=BB70_22 Depth=2
	s_wait_alu 0xfffe
	s_and_not1_saveexec_b32 s0, s1
	s_cbranch_execz .LBB70_26
; %bb.25:                               ;   in Loop: Header=BB70_22 Depth=2
	v_cvt_f32_u32_e32 v3, s44
	s_sub_co_i32 s1, 0, s44
	s_delay_alu instid0(VALU_DEP_1) | instskip(NEXT) | instid1(TRANS32_DEP_1)
	v_rcp_iflag_f32_e32 v3, v3
	v_mul_f32_e32 v3, 0x4f7ffffe, v3
	s_delay_alu instid0(VALU_DEP_1) | instskip(SKIP_1) | instid1(VALU_DEP_1)
	v_cvt_u32_f32_e32 v3, v3
	s_wait_alu 0xfffe
	v_mul_lo_u32 v10, s1, v3
	s_delay_alu instid0(VALU_DEP_1) | instskip(NEXT) | instid1(VALU_DEP_1)
	v_mul_hi_u32 v10, v3, v10
	v_add_nc_u32_e32 v3, v3, v10
	s_delay_alu instid0(VALU_DEP_1) | instskip(NEXT) | instid1(VALU_DEP_1)
	v_mul_hi_u32 v3, v8, v3
	v_mul_lo_u32 v10, v3, s44
	v_add_nc_u32_e32 v11, 1, v3
	s_delay_alu instid0(VALU_DEP_2) | instskip(NEXT) | instid1(VALU_DEP_1)
	v_sub_nc_u32_e32 v10, v8, v10
	v_subrev_nc_u32_e32 v12, s44, v10
	v_cmp_le_u32_e32 vcc_lo, s44, v10
	s_wait_alu 0xfffd
	s_delay_alu instid0(VALU_DEP_2) | instskip(NEXT) | instid1(VALU_DEP_1)
	v_dual_cndmask_b32 v10, v10, v12 :: v_dual_cndmask_b32 v3, v3, v11
	v_cmp_le_u32_e32 vcc_lo, s44, v10
	s_delay_alu instid0(VALU_DEP_2) | instskip(SKIP_1) | instid1(VALU_DEP_1)
	v_add_nc_u32_e32 v11, 1, v3
	s_wait_alu 0xfffd
	v_dual_cndmask_b32 v10, v3, v11 :: v_dual_mov_b32 v11, v2
.LBB70_26:                              ;   in Loop: Header=BB70_22 Depth=2
	s_wait_alu 0xfffe
	s_or_b32 exec_lo, exec_lo, s0
	s_load_b64 s[48:49], s[40:41], 0x10
	s_load_b64 s[46:47], s[38:39], 0x18
                                        ; implicit-def: $vgpr12_vgpr13
	s_mov_b32 s0, exec_lo
	s_wait_kmcnt 0x0
	v_or_b32_e32 v3, s49, v11
	s_delay_alu instid0(VALU_DEP_1)
	v_cmpx_ne_u64_e32 0, v[2:3]
	s_wait_alu 0xfffe
	s_xor_b32 s1, exec_lo, s0
	s_cbranch_execz .LBB70_28
; %bb.27:                               ;   in Loop: Header=BB70_22 Depth=2
	s_ashr_i32 s50, s49, 31
	v_ashrrev_i32_e32 v3, 31, v11
	s_wait_alu 0xfffe
	s_mov_b32 s51, s50
	s_wait_alu 0xfffe
	s_add_nc_u64 s[52:53], s[48:49], s[50:51]
	v_add_co_u32 v12, vcc_lo, v10, v3
	s_wait_alu 0xfffe
	s_xor_b64 s[52:53], s[52:53], s[50:51]
	s_wait_alu 0xfffd
	v_add_co_ci_u32_e64 v13, null, v11, v3, vcc_lo
	s_wait_alu 0xfffe
	s_cvt_f32_u32 s0, s52
	s_cvt_f32_u32 s14, s53
	s_sub_nc_u64 s[56:57], 0, s[52:53]
	v_xor_b32_e32 v22, v12, v3
	v_xor_b32_e32 v23, v13, v3
	s_wait_alu 0xfffe
	s_fmamk_f32 s0, s14, 0x4f800000, s0
	v_xor_b32_e32 v3, s50, v3
	s_wait_alu 0xfffe
	s_delay_alu instid0(SALU_CYCLE_1) | instskip(NEXT) | instid1(TRANS32_DEP_1)
	v_s_rcp_f32 s0, s0
	s_mul_f32 s0, s0, 0x5f7ffffc
	s_wait_alu 0xfffe
	s_delay_alu instid0(SALU_CYCLE_2) | instskip(SKIP_1) | instid1(SALU_CYCLE_2)
	s_mul_f32 s14, s0, 0x2f800000
	s_wait_alu 0xfffe
	s_trunc_f32 s14, s14
	s_wait_alu 0xfffe
	s_delay_alu instid0(SALU_CYCLE_2) | instskip(SKIP_2) | instid1(SALU_CYCLE_1)
	s_fmamk_f32 s0, s14, 0xcf800000, s0
	s_cvt_u32_f32 s55, s14
	s_wait_alu 0xfffe
	s_cvt_u32_f32 s54, s0
	s_wait_alu 0xfffe
	s_delay_alu instid0(SALU_CYCLE_2)
	s_mul_u64 s[58:59], s[56:57], s[54:55]
	s_wait_alu 0xfffe
	s_mul_hi_u32 s61, s54, s59
	s_mul_i32 s60, s54, s59
	s_mul_hi_u32 s14, s54, s58
	s_mul_i32 s51, s55, s58
	s_wait_alu 0xfffe
	s_add_nc_u64 s[60:61], s[14:15], s[60:61]
	s_mul_hi_u32 s0, s55, s58
	s_mul_hi_u32 s66, s55, s59
	s_wait_alu 0xfffe
	s_add_co_u32 s14, s60, s51
	s_add_co_ci_u32 s14, s61, s0
	s_mul_i32 s58, s55, s59
	s_add_co_ci_u32 s59, s66, 0
	s_wait_alu 0xfffe
	s_add_nc_u64 s[58:59], s[14:15], s[58:59]
	s_wait_alu 0xfffe
	s_add_co_u32 s54, s54, s58
	s_cselect_b32 s0, -1, 0
	s_wait_alu 0xfffe
	s_cmp_lg_u32 s0, 0
	s_add_co_ci_u32 s55, s55, s59
	s_wait_alu 0xfffe
	s_mul_u64 s[56:57], s[56:57], s[54:55]
	s_wait_alu 0xfffe
	s_mul_hi_u32 s59, s54, s57
	s_mul_i32 s58, s54, s57
	s_mul_hi_u32 s14, s54, s56
	s_mul_i32 s51, s55, s56
	s_wait_alu 0xfffe
	s_add_nc_u64 s[58:59], s[14:15], s[58:59]
	s_mul_hi_u32 s0, s55, s56
	s_mul_hi_u32 s60, s55, s57
	s_wait_alu 0xfffe
	s_add_co_u32 s14, s58, s51
	s_add_co_ci_u32 s14, s59, s0
	s_mul_i32 s56, s55, s57
	s_add_co_ci_u32 s57, s60, 0
	s_wait_alu 0xfffe
	s_add_nc_u64 s[56:57], s[14:15], s[56:57]
	s_wait_alu 0xfffe
	s_add_co_u32 s0, s54, s56
	s_cselect_b32 s14, -1, 0
	s_wait_alu 0xfffe
	v_mul_hi_u32 v24, v22, s0
	s_cmp_lg_u32 s14, 0
	v_mad_co_u64_u32 v[14:15], null, v23, s0, 0
	s_add_co_ci_u32 s14, s55, s57
	s_wait_alu 0xfffe
	v_mad_co_u64_u32 v[12:13], null, v22, s14, 0
	v_mad_co_u64_u32 v[16:17], null, v23, s14, 0
	s_delay_alu instid0(VALU_DEP_2) | instskip(SKIP_1) | instid1(VALU_DEP_3)
	v_add_co_u32 v12, vcc_lo, v24, v12
	s_wait_alu 0xfffd
	v_add_co_ci_u32_e64 v13, null, 0, v13, vcc_lo
	s_delay_alu instid0(VALU_DEP_2) | instskip(SKIP_1) | instid1(VALU_DEP_2)
	v_add_co_u32 v12, vcc_lo, v12, v14
	s_wait_alu 0xfffd
	v_add_co_ci_u32_e32 v12, vcc_lo, v13, v15, vcc_lo
	s_wait_alu 0xfffd
	v_add_co_ci_u32_e32 v13, vcc_lo, 0, v17, vcc_lo
	s_delay_alu instid0(VALU_DEP_2) | instskip(SKIP_1) | instid1(VALU_DEP_2)
	v_add_co_u32 v14, vcc_lo, v12, v16
	s_wait_alu 0xfffd
	v_add_co_ci_u32_e64 v15, null, 0, v13, vcc_lo
	s_delay_alu instid0(VALU_DEP_2) | instskip(SKIP_1) | instid1(VALU_DEP_3)
	v_mul_lo_u32 v16, s53, v14
	v_mad_co_u64_u32 v[12:13], null, s52, v14, 0
	v_mul_lo_u32 v17, s52, v15
	s_delay_alu instid0(VALU_DEP_2) | instskip(NEXT) | instid1(VALU_DEP_2)
	v_sub_co_u32 v12, vcc_lo, v22, v12
	v_add3_u32 v13, v13, v17, v16
	v_add_co_u32 v17, s0, v14, 2
	s_wait_alu 0xf1ff
	v_add_co_ci_u32_e64 v22, null, 0, v15, s0
	s_delay_alu instid0(VALU_DEP_3) | instskip(SKIP_3) | instid1(VALU_DEP_3)
	v_sub_nc_u32_e32 v16, v23, v13
	v_sub_co_u32 v24, s0, v12, s52
	s_wait_alu 0xfffd
	v_sub_co_ci_u32_e64 v13, null, v23, v13, vcc_lo
	v_subrev_co_ci_u32_e64 v16, null, s53, v16, vcc_lo
	s_delay_alu instid0(VALU_DEP_3) | instskip(SKIP_1) | instid1(VALU_DEP_2)
	v_cmp_le_u32_e32 vcc_lo, s52, v24
	s_wait_alu 0xf1ff
	v_subrev_co_ci_u32_e64 v16, null, 0, v16, s0
	s_wait_alu 0xfffd
	v_cndmask_b32_e64 v23, 0, -1, vcc_lo
	s_delay_alu instid0(VALU_DEP_2)
	v_cmp_le_u32_e32 vcc_lo, s53, v16
	s_wait_alu 0xfffd
	v_cndmask_b32_e64 v24, 0, -1, vcc_lo
	v_cmp_le_u32_e32 vcc_lo, s52, v12
	s_wait_alu 0xfffd
	v_cndmask_b32_e64 v12, 0, -1, vcc_lo
	;; [unrolled: 3-line block ×3, first 2 shown]
	v_cmp_eq_u32_e32 vcc_lo, s53, v16
	s_wait_alu 0xfffd
	v_cndmask_b32_e32 v16, v24, v23, vcc_lo
	v_add_co_u32 v23, vcc_lo, v14, 1
	s_wait_alu 0xfffd
	v_add_co_ci_u32_e64 v24, null, 0, v15, vcc_lo
	v_cmp_eq_u32_e32 vcc_lo, s53, v13
	s_wait_alu 0xfffd
	v_cndmask_b32_e32 v12, v25, v12, vcc_lo
	v_cmp_ne_u32_e32 vcc_lo, 0, v16
	s_wait_alu 0xfffd
	v_cndmask_b32_e32 v13, v24, v22, vcc_lo
	s_delay_alu instid0(VALU_DEP_3) | instskip(SKIP_2) | instid1(VALU_DEP_2)
	v_cmp_ne_u32_e64 s0, 0, v12
	v_cndmask_b32_e32 v12, v23, v17, vcc_lo
	s_wait_alu 0xf1ff
	v_cndmask_b32_e64 v13, v15, v13, s0
	s_delay_alu instid0(VALU_DEP_2) | instskip(NEXT) | instid1(VALU_DEP_2)
	v_cndmask_b32_e64 v12, v14, v12, s0
	v_xor_b32_e32 v13, v13, v3
	s_delay_alu instid0(VALU_DEP_2) | instskip(NEXT) | instid1(VALU_DEP_1)
	v_xor_b32_e32 v12, v12, v3
	v_sub_co_u32 v12, vcc_lo, v12, v3
	s_wait_alu 0xfffd
	s_delay_alu instid0(VALU_DEP_3)
	v_sub_co_ci_u32_e64 v13, null, v13, v3, vcc_lo
.LBB70_28:                              ;   in Loop: Header=BB70_22 Depth=2
	s_wait_alu 0xfffe
	s_and_not1_saveexec_b32 s0, s1
	s_cbranch_execz .LBB70_30
; %bb.29:                               ;   in Loop: Header=BB70_22 Depth=2
	v_cvt_f32_u32_e32 v3, s48
	s_sub_co_i32 s1, 0, s48
	s_delay_alu instid0(VALU_DEP_1) | instskip(NEXT) | instid1(TRANS32_DEP_1)
	v_rcp_iflag_f32_e32 v3, v3
	v_mul_f32_e32 v3, 0x4f7ffffe, v3
	s_delay_alu instid0(VALU_DEP_1) | instskip(SKIP_1) | instid1(VALU_DEP_1)
	v_cvt_u32_f32_e32 v3, v3
	s_wait_alu 0xfffe
	v_mul_lo_u32 v12, s1, v3
	s_delay_alu instid0(VALU_DEP_1) | instskip(NEXT) | instid1(VALU_DEP_1)
	v_mul_hi_u32 v12, v3, v12
	v_add_nc_u32_e32 v3, v3, v12
	s_delay_alu instid0(VALU_DEP_1) | instskip(NEXT) | instid1(VALU_DEP_1)
	v_mul_hi_u32 v3, v10, v3
	v_mul_lo_u32 v12, v3, s48
	v_add_nc_u32_e32 v13, 1, v3
	s_delay_alu instid0(VALU_DEP_2) | instskip(NEXT) | instid1(VALU_DEP_1)
	v_sub_nc_u32_e32 v12, v10, v12
	v_subrev_nc_u32_e32 v14, s48, v12
	v_cmp_le_u32_e32 vcc_lo, s48, v12
	s_wait_alu 0xfffd
	s_delay_alu instid0(VALU_DEP_2) | instskip(NEXT) | instid1(VALU_DEP_1)
	v_dual_cndmask_b32 v12, v12, v14 :: v_dual_cndmask_b32 v3, v3, v13
	v_cmp_le_u32_e32 vcc_lo, s48, v12
	s_delay_alu instid0(VALU_DEP_2) | instskip(SKIP_1) | instid1(VALU_DEP_1)
	v_add_nc_u32_e32 v13, 1, v3
	s_wait_alu 0xfffd
	v_dual_cndmask_b32 v12, v3, v13 :: v_dual_mov_b32 v13, v2
.LBB70_30:                              ;   in Loop: Header=BB70_22 Depth=2
	s_wait_alu 0xfffe
	s_or_b32 exec_lo, exec_lo, s0
	s_load_b64 s[52:53], s[40:41], 0x8
	s_load_b64 s[50:51], s[38:39], 0x10
                                        ; implicit-def: $vgpr14_vgpr15
	s_mov_b32 s0, exec_lo
	s_wait_kmcnt 0x0
	v_or_b32_e32 v3, s53, v13
	s_delay_alu instid0(VALU_DEP_1)
	v_cmpx_ne_u64_e32 0, v[2:3]
	s_wait_alu 0xfffe
	s_xor_b32 s1, exec_lo, s0
	s_cbranch_execz .LBB70_32
; %bb.31:                               ;   in Loop: Header=BB70_22 Depth=2
	s_ashr_i32 s54, s53, 31
	v_ashrrev_i32_e32 v3, 31, v13
	s_wait_alu 0xfffe
	s_mov_b32 s55, s54
	s_wait_alu 0xfffe
	s_add_nc_u64 s[56:57], s[52:53], s[54:55]
	v_add_co_u32 v14, vcc_lo, v12, v3
	s_wait_alu 0xfffe
	s_xor_b64 s[56:57], s[56:57], s[54:55]
	s_wait_alu 0xfffd
	v_add_co_ci_u32_e64 v15, null, v13, v3, vcc_lo
	s_wait_alu 0xfffe
	s_cvt_f32_u32 s0, s56
	s_cvt_f32_u32 s14, s57
	s_sub_nc_u64 s[60:61], 0, s[56:57]
	v_xor_b32_e32 v24, v14, v3
	v_xor_b32_e32 v25, v15, v3
	s_wait_alu 0xfffe
	s_fmamk_f32 s0, s14, 0x4f800000, s0
	v_xor_b32_e32 v3, s54, v3
	s_wait_alu 0xfffe
	s_delay_alu instid0(SALU_CYCLE_1) | instskip(NEXT) | instid1(TRANS32_DEP_1)
	v_s_rcp_f32 s0, s0
	s_mul_f32 s0, s0, 0x5f7ffffc
	s_wait_alu 0xfffe
	s_delay_alu instid0(SALU_CYCLE_2) | instskip(SKIP_1) | instid1(SALU_CYCLE_2)
	s_mul_f32 s14, s0, 0x2f800000
	s_wait_alu 0xfffe
	s_trunc_f32 s14, s14
	s_wait_alu 0xfffe
	s_delay_alu instid0(SALU_CYCLE_2) | instskip(SKIP_2) | instid1(SALU_CYCLE_1)
	s_fmamk_f32 s0, s14, 0xcf800000, s0
	s_cvt_u32_f32 s59, s14
	s_wait_alu 0xfffe
	s_cvt_u32_f32 s58, s0
	s_wait_alu 0xfffe
	s_delay_alu instid0(SALU_CYCLE_2) | instskip(NEXT) | instid1(SALU_CYCLE_1)
	s_mul_u64 s[66:67], s[60:61], s[58:59]
	s_mul_hi_u32 s69, s58, s67
	s_mul_i32 s68, s58, s67
	s_mul_hi_u32 s14, s58, s66
	s_mul_i32 s55, s59, s66
	s_wait_alu 0xfffe
	s_add_nc_u64 s[68:69], s[14:15], s[68:69]
	s_mul_hi_u32 s0, s59, s66
	s_mul_hi_u32 s70, s59, s67
	s_add_co_u32 s14, s68, s55
	s_wait_alu 0xfffe
	s_add_co_ci_u32 s14, s69, s0
	s_mul_i32 s66, s59, s67
	s_add_co_ci_u32 s67, s70, 0
	s_wait_alu 0xfffe
	s_add_nc_u64 s[66:67], s[14:15], s[66:67]
	s_delay_alu instid0(SALU_CYCLE_1)
	s_add_co_u32 s58, s58, s66
	s_cselect_b32 s0, -1, 0
	s_wait_alu 0xfffe
	s_cmp_lg_u32 s0, 0
	s_add_co_ci_u32 s59, s59, s67
	s_wait_alu 0xfffe
	s_mul_u64 s[60:61], s[60:61], s[58:59]
	s_wait_alu 0xfffe
	s_mul_hi_u32 s67, s58, s61
	s_mul_i32 s66, s58, s61
	s_mul_hi_u32 s14, s58, s60
	s_mul_i32 s55, s59, s60
	s_wait_alu 0xfffe
	s_add_nc_u64 s[66:67], s[14:15], s[66:67]
	s_mul_hi_u32 s0, s59, s60
	s_mul_hi_u32 s68, s59, s61
	s_add_co_u32 s14, s66, s55
	s_wait_alu 0xfffe
	s_add_co_ci_u32 s14, s67, s0
	s_mul_i32 s60, s59, s61
	s_add_co_ci_u32 s61, s68, 0
	s_wait_alu 0xfffe
	s_add_nc_u64 s[60:61], s[14:15], s[60:61]
	s_wait_alu 0xfffe
	s_add_co_u32 s0, s58, s60
	s_cselect_b32 s14, -1, 0
	s_wait_alu 0xfffe
	v_mul_hi_u32 v26, v24, s0
	s_cmp_lg_u32 s14, 0
	v_mad_co_u64_u32 v[16:17], null, v25, s0, 0
	s_add_co_ci_u32 s14, s59, s61
	s_wait_alu 0xfffe
	v_mad_co_u64_u32 v[14:15], null, v24, s14, 0
	v_mad_co_u64_u32 v[22:23], null, v25, s14, 0
	s_delay_alu instid0(VALU_DEP_2) | instskip(SKIP_1) | instid1(VALU_DEP_3)
	v_add_co_u32 v14, vcc_lo, v26, v14
	s_wait_alu 0xfffd
	v_add_co_ci_u32_e64 v15, null, 0, v15, vcc_lo
	s_delay_alu instid0(VALU_DEP_2) | instskip(SKIP_1) | instid1(VALU_DEP_2)
	v_add_co_u32 v14, vcc_lo, v14, v16
	s_wait_alu 0xfffd
	v_add_co_ci_u32_e32 v14, vcc_lo, v15, v17, vcc_lo
	s_wait_alu 0xfffd
	v_add_co_ci_u32_e32 v15, vcc_lo, 0, v23, vcc_lo
	s_delay_alu instid0(VALU_DEP_2) | instskip(SKIP_1) | instid1(VALU_DEP_2)
	v_add_co_u32 v16, vcc_lo, v14, v22
	s_wait_alu 0xfffd
	v_add_co_ci_u32_e64 v17, null, 0, v15, vcc_lo
	s_delay_alu instid0(VALU_DEP_2) | instskip(SKIP_1) | instid1(VALU_DEP_3)
	v_mul_lo_u32 v22, s57, v16
	v_mad_co_u64_u32 v[14:15], null, s56, v16, 0
	v_mul_lo_u32 v23, s56, v17
	s_delay_alu instid0(VALU_DEP_2) | instskip(NEXT) | instid1(VALU_DEP_2)
	v_sub_co_u32 v14, vcc_lo, v24, v14
	v_add3_u32 v15, v15, v23, v22
	v_add_co_u32 v23, s0, v16, 2
	s_wait_alu 0xf1ff
	v_add_co_ci_u32_e64 v24, null, 0, v17, s0
	s_delay_alu instid0(VALU_DEP_3) | instskip(SKIP_3) | instid1(VALU_DEP_3)
	v_sub_nc_u32_e32 v22, v25, v15
	v_sub_co_u32 v26, s0, v14, s56
	s_wait_alu 0xfffd
	v_sub_co_ci_u32_e64 v15, null, v25, v15, vcc_lo
	v_subrev_co_ci_u32_e64 v22, null, s57, v22, vcc_lo
	s_delay_alu instid0(VALU_DEP_3) | instskip(SKIP_1) | instid1(VALU_DEP_2)
	v_cmp_le_u32_e32 vcc_lo, s56, v26
	s_wait_alu 0xf1ff
	v_subrev_co_ci_u32_e64 v22, null, 0, v22, s0
	s_wait_alu 0xfffd
	v_cndmask_b32_e64 v25, 0, -1, vcc_lo
	s_delay_alu instid0(VALU_DEP_2)
	v_cmp_le_u32_e32 vcc_lo, s57, v22
	s_wait_alu 0xfffd
	v_cndmask_b32_e64 v26, 0, -1, vcc_lo
	v_cmp_le_u32_e32 vcc_lo, s56, v14
	s_wait_alu 0xfffd
	v_cndmask_b32_e64 v14, 0, -1, vcc_lo
	;; [unrolled: 3-line block ×3, first 2 shown]
	v_cmp_eq_u32_e32 vcc_lo, s57, v22
	s_wait_alu 0xfffd
	v_cndmask_b32_e32 v22, v26, v25, vcc_lo
	v_add_co_u32 v25, vcc_lo, v16, 1
	s_wait_alu 0xfffd
	v_add_co_ci_u32_e64 v26, null, 0, v17, vcc_lo
	v_cmp_eq_u32_e32 vcc_lo, s57, v15
	s_wait_alu 0xfffd
	v_cndmask_b32_e32 v14, v27, v14, vcc_lo
	v_cmp_ne_u32_e32 vcc_lo, 0, v22
	s_wait_alu 0xfffd
	v_cndmask_b32_e32 v15, v26, v24, vcc_lo
	s_delay_alu instid0(VALU_DEP_3) | instskip(SKIP_2) | instid1(VALU_DEP_2)
	v_cmp_ne_u32_e64 s0, 0, v14
	v_cndmask_b32_e32 v14, v25, v23, vcc_lo
	s_wait_alu 0xf1ff
	v_cndmask_b32_e64 v15, v17, v15, s0
	s_delay_alu instid0(VALU_DEP_2) | instskip(NEXT) | instid1(VALU_DEP_2)
	v_cndmask_b32_e64 v14, v16, v14, s0
	v_xor_b32_e32 v15, v15, v3
	s_delay_alu instid0(VALU_DEP_2) | instskip(NEXT) | instid1(VALU_DEP_1)
	v_xor_b32_e32 v14, v14, v3
	v_sub_co_u32 v14, vcc_lo, v14, v3
	s_wait_alu 0xfffd
	s_delay_alu instid0(VALU_DEP_3)
	v_sub_co_ci_u32_e64 v15, null, v15, v3, vcc_lo
.LBB70_32:                              ;   in Loop: Header=BB70_22 Depth=2
	s_wait_alu 0xfffe
	s_and_not1_saveexec_b32 s0, s1
	s_cbranch_execz .LBB70_34
; %bb.33:                               ;   in Loop: Header=BB70_22 Depth=2
	v_cvt_f32_u32_e32 v3, s52
	s_sub_co_i32 s1, 0, s52
	s_delay_alu instid0(VALU_DEP_1) | instskip(NEXT) | instid1(TRANS32_DEP_1)
	v_rcp_iflag_f32_e32 v3, v3
	v_mul_f32_e32 v3, 0x4f7ffffe, v3
	s_delay_alu instid0(VALU_DEP_1) | instskip(SKIP_1) | instid1(VALU_DEP_1)
	v_cvt_u32_f32_e32 v3, v3
	s_wait_alu 0xfffe
	v_mul_lo_u32 v14, s1, v3
	s_delay_alu instid0(VALU_DEP_1) | instskip(NEXT) | instid1(VALU_DEP_1)
	v_mul_hi_u32 v14, v3, v14
	v_add_nc_u32_e32 v3, v3, v14
	s_delay_alu instid0(VALU_DEP_1) | instskip(NEXT) | instid1(VALU_DEP_1)
	v_mul_hi_u32 v3, v12, v3
	v_mul_lo_u32 v14, v3, s52
	v_add_nc_u32_e32 v15, 1, v3
	s_delay_alu instid0(VALU_DEP_2) | instskip(NEXT) | instid1(VALU_DEP_1)
	v_sub_nc_u32_e32 v14, v12, v14
	v_subrev_nc_u32_e32 v16, s52, v14
	v_cmp_le_u32_e32 vcc_lo, s52, v14
	s_wait_alu 0xfffd
	s_delay_alu instid0(VALU_DEP_2) | instskip(NEXT) | instid1(VALU_DEP_1)
	v_dual_cndmask_b32 v14, v14, v16 :: v_dual_cndmask_b32 v3, v3, v15
	v_cmp_le_u32_e32 vcc_lo, s52, v14
	s_delay_alu instid0(VALU_DEP_2) | instskip(SKIP_1) | instid1(VALU_DEP_1)
	v_add_nc_u32_e32 v15, 1, v3
	s_wait_alu 0xfffd
	v_dual_cndmask_b32 v14, v3, v15 :: v_dual_mov_b32 v15, v2
.LBB70_34:                              ;   in Loop: Header=BB70_22 Depth=2
	s_wait_alu 0xfffe
	s_or_b32 exec_lo, exec_lo, s0
	s_load_b64 s[56:57], s[40:41], 0x0
	s_load_b64 s[54:55], s[38:39], 0x8
                                        ; implicit-def: $vgpr16_vgpr17
	s_mov_b32 s0, exec_lo
	s_wait_kmcnt 0x0
	v_or_b32_e32 v3, s57, v15
	s_delay_alu instid0(VALU_DEP_1)
	v_cmpx_ne_u64_e32 0, v[2:3]
	s_wait_alu 0xfffe
	s_xor_b32 s1, exec_lo, s0
	s_cbranch_execz .LBB70_36
; %bb.35:                               ;   in Loop: Header=BB70_22 Depth=2
	s_ashr_i32 s58, s57, 31
	v_ashrrev_i32_e32 v3, 31, v15
	s_wait_alu 0xfffe
	s_mov_b32 s59, s58
	s_wait_alu 0xfffe
	s_add_nc_u64 s[60:61], s[56:57], s[58:59]
	v_add_co_u32 v16, vcc_lo, v14, v3
	s_wait_alu 0xfffe
	s_xor_b64 s[60:61], s[60:61], s[58:59]
	s_wait_alu 0xfffd
	v_add_co_ci_u32_e64 v17, null, v15, v3, vcc_lo
	s_wait_alu 0xfffe
	s_cvt_f32_u32 s0, s60
	s_cvt_f32_u32 s14, s61
	s_sub_nc_u64 s[68:69], 0, s[60:61]
	v_xor_b32_e32 v26, v16, v3
	v_xor_b32_e32 v27, v17, v3
	s_wait_alu 0xfffe
	s_fmamk_f32 s0, s14, 0x4f800000, s0
	v_xor_b32_e32 v3, s58, v3
	s_wait_alu 0xfffe
	s_delay_alu instid0(SALU_CYCLE_1) | instskip(NEXT) | instid1(TRANS32_DEP_1)
	v_s_rcp_f32 s0, s0
	s_mul_f32 s0, s0, 0x5f7ffffc
	s_wait_alu 0xfffe
	s_delay_alu instid0(SALU_CYCLE_2) | instskip(SKIP_1) | instid1(SALU_CYCLE_2)
	s_mul_f32 s14, s0, 0x2f800000
	s_wait_alu 0xfffe
	s_trunc_f32 s14, s14
	s_wait_alu 0xfffe
	s_delay_alu instid0(SALU_CYCLE_2) | instskip(SKIP_2) | instid1(SALU_CYCLE_1)
	s_fmamk_f32 s0, s14, 0xcf800000, s0
	s_cvt_u32_f32 s67, s14
	s_wait_alu 0xfffe
	s_cvt_u32_f32 s66, s0
	s_delay_alu instid0(SALU_CYCLE_3) | instskip(NEXT) | instid1(SALU_CYCLE_1)
	s_mul_u64 s[70:71], s[68:69], s[66:67]
	s_mul_hi_u32 s73, s66, s71
	s_mul_i32 s72, s66, s71
	s_mul_hi_u32 s14, s66, s70
	s_mul_i32 s59, s67, s70
	s_wait_alu 0xfffe
	s_add_nc_u64 s[72:73], s[14:15], s[72:73]
	s_mul_hi_u32 s0, s67, s70
	s_mul_hi_u32 s74, s67, s71
	s_add_co_u32 s14, s72, s59
	s_wait_alu 0xfffe
	s_add_co_ci_u32 s14, s73, s0
	s_mul_i32 s70, s67, s71
	s_add_co_ci_u32 s71, s74, 0
	s_wait_alu 0xfffe
	s_add_nc_u64 s[70:71], s[14:15], s[70:71]
	s_delay_alu instid0(SALU_CYCLE_1) | instskip(SKIP_4) | instid1(SALU_CYCLE_1)
	s_add_co_u32 s66, s66, s70
	s_cselect_b32 s0, -1, 0
	s_wait_alu 0xfffe
	s_cmp_lg_u32 s0, 0
	s_add_co_ci_u32 s67, s67, s71
	s_mul_u64 s[68:69], s[68:69], s[66:67]
	s_delay_alu instid0(SALU_CYCLE_1)
	s_mul_hi_u32 s71, s66, s69
	s_mul_i32 s70, s66, s69
	s_mul_hi_u32 s14, s66, s68
	s_mul_i32 s59, s67, s68
	s_wait_alu 0xfffe
	s_add_nc_u64 s[70:71], s[14:15], s[70:71]
	s_mul_hi_u32 s0, s67, s68
	s_mul_hi_u32 s72, s67, s69
	s_add_co_u32 s14, s70, s59
	s_wait_alu 0xfffe
	s_add_co_ci_u32 s14, s71, s0
	s_mul_i32 s68, s67, s69
	s_add_co_ci_u32 s69, s72, 0
	s_wait_alu 0xfffe
	s_add_nc_u64 s[68:69], s[14:15], s[68:69]
	s_delay_alu instid0(SALU_CYCLE_1)
	s_add_co_u32 s0, s66, s68
	s_cselect_b32 s14, -1, 0
	s_wait_alu 0xfffe
	v_mul_hi_u32 v28, v26, s0
	s_cmp_lg_u32 s14, 0
	v_mad_co_u64_u32 v[22:23], null, v27, s0, 0
	s_add_co_ci_u32 s14, s67, s69
	s_wait_alu 0xfffe
	v_mad_co_u64_u32 v[16:17], null, v26, s14, 0
	v_mad_co_u64_u32 v[24:25], null, v27, s14, 0
	s_delay_alu instid0(VALU_DEP_2) | instskip(SKIP_1) | instid1(VALU_DEP_3)
	v_add_co_u32 v16, vcc_lo, v28, v16
	s_wait_alu 0xfffd
	v_add_co_ci_u32_e64 v17, null, 0, v17, vcc_lo
	s_delay_alu instid0(VALU_DEP_2) | instskip(SKIP_1) | instid1(VALU_DEP_2)
	v_add_co_u32 v16, vcc_lo, v16, v22
	s_wait_alu 0xfffd
	v_add_co_ci_u32_e32 v16, vcc_lo, v17, v23, vcc_lo
	s_wait_alu 0xfffd
	v_add_co_ci_u32_e32 v17, vcc_lo, 0, v25, vcc_lo
	s_delay_alu instid0(VALU_DEP_2) | instskip(SKIP_1) | instid1(VALU_DEP_2)
	v_add_co_u32 v22, vcc_lo, v16, v24
	s_wait_alu 0xfffd
	v_add_co_ci_u32_e64 v23, null, 0, v17, vcc_lo
	s_delay_alu instid0(VALU_DEP_2) | instskip(SKIP_1) | instid1(VALU_DEP_3)
	v_mul_lo_u32 v24, s61, v22
	v_mad_co_u64_u32 v[16:17], null, s60, v22, 0
	v_mul_lo_u32 v25, s60, v23
	s_delay_alu instid0(VALU_DEP_2) | instskip(NEXT) | instid1(VALU_DEP_2)
	v_sub_co_u32 v16, vcc_lo, v26, v16
	v_add3_u32 v17, v17, v25, v24
	v_add_co_u32 v25, s0, v22, 2
	s_wait_alu 0xf1ff
	v_add_co_ci_u32_e64 v26, null, 0, v23, s0
	s_delay_alu instid0(VALU_DEP_3) | instskip(SKIP_3) | instid1(VALU_DEP_3)
	v_sub_nc_u32_e32 v24, v27, v17
	v_sub_co_u32 v28, s0, v16, s60
	s_wait_alu 0xfffd
	v_sub_co_ci_u32_e64 v17, null, v27, v17, vcc_lo
	v_subrev_co_ci_u32_e64 v24, null, s61, v24, vcc_lo
	s_delay_alu instid0(VALU_DEP_3) | instskip(SKIP_1) | instid1(VALU_DEP_2)
	v_cmp_le_u32_e32 vcc_lo, s60, v28
	s_wait_alu 0xf1ff
	v_subrev_co_ci_u32_e64 v24, null, 0, v24, s0
	s_wait_alu 0xfffd
	v_cndmask_b32_e64 v27, 0, -1, vcc_lo
	s_delay_alu instid0(VALU_DEP_2)
	v_cmp_le_u32_e32 vcc_lo, s61, v24
	s_wait_alu 0xfffd
	v_cndmask_b32_e64 v28, 0, -1, vcc_lo
	v_cmp_le_u32_e32 vcc_lo, s60, v16
	s_wait_alu 0xfffd
	v_cndmask_b32_e64 v16, 0, -1, vcc_lo
	;; [unrolled: 3-line block ×3, first 2 shown]
	v_cmp_eq_u32_e32 vcc_lo, s61, v24
	s_wait_alu 0xfffd
	v_cndmask_b32_e32 v24, v28, v27, vcc_lo
	v_add_co_u32 v27, vcc_lo, v22, 1
	s_wait_alu 0xfffd
	v_add_co_ci_u32_e64 v28, null, 0, v23, vcc_lo
	v_cmp_eq_u32_e32 vcc_lo, s61, v17
	s_wait_alu 0xfffd
	v_cndmask_b32_e32 v16, v29, v16, vcc_lo
	v_cmp_ne_u32_e32 vcc_lo, 0, v24
	s_wait_alu 0xfffd
	v_cndmask_b32_e32 v17, v28, v26, vcc_lo
	s_delay_alu instid0(VALU_DEP_3) | instskip(SKIP_2) | instid1(VALU_DEP_2)
	v_cmp_ne_u32_e64 s0, 0, v16
	v_cndmask_b32_e32 v16, v27, v25, vcc_lo
	s_wait_alu 0xf1ff
	v_cndmask_b32_e64 v17, v23, v17, s0
	s_delay_alu instid0(VALU_DEP_2) | instskip(NEXT) | instid1(VALU_DEP_2)
	v_cndmask_b32_e64 v16, v22, v16, s0
	v_xor_b32_e32 v17, v17, v3
	s_delay_alu instid0(VALU_DEP_2) | instskip(NEXT) | instid1(VALU_DEP_1)
	v_xor_b32_e32 v16, v16, v3
	v_sub_co_u32 v16, vcc_lo, v16, v3
	s_wait_alu 0xfffd
	s_delay_alu instid0(VALU_DEP_3)
	v_sub_co_ci_u32_e64 v17, null, v17, v3, vcc_lo
.LBB70_36:                              ;   in Loop: Header=BB70_22 Depth=2
	s_wait_alu 0xfffe
	s_and_not1_saveexec_b32 s0, s1
	s_cbranch_execz .LBB70_21
; %bb.37:                               ;   in Loop: Header=BB70_22 Depth=2
	v_cvt_f32_u32_e32 v3, s56
	s_sub_co_i32 s1, 0, s56
	s_delay_alu instid0(VALU_DEP_1) | instskip(NEXT) | instid1(TRANS32_DEP_1)
	v_rcp_iflag_f32_e32 v3, v3
	v_mul_f32_e32 v3, 0x4f7ffffe, v3
	s_delay_alu instid0(VALU_DEP_1) | instskip(SKIP_1) | instid1(VALU_DEP_1)
	v_cvt_u32_f32_e32 v3, v3
	s_wait_alu 0xfffe
	v_mul_lo_u32 v16, s1, v3
	s_delay_alu instid0(VALU_DEP_1) | instskip(NEXT) | instid1(VALU_DEP_1)
	v_mul_hi_u32 v16, v3, v16
	v_add_nc_u32_e32 v3, v3, v16
	s_delay_alu instid0(VALU_DEP_1) | instskip(NEXT) | instid1(VALU_DEP_1)
	v_mul_hi_u32 v3, v14, v3
	v_mul_lo_u32 v16, v3, s56
	v_add_nc_u32_e32 v17, 1, v3
	s_delay_alu instid0(VALU_DEP_2) | instskip(NEXT) | instid1(VALU_DEP_1)
	v_sub_nc_u32_e32 v16, v14, v16
	v_subrev_nc_u32_e32 v22, s56, v16
	v_cmp_le_u32_e32 vcc_lo, s56, v16
	s_wait_alu 0xfffd
	s_delay_alu instid0(VALU_DEP_2) | instskip(NEXT) | instid1(VALU_DEP_1)
	v_dual_cndmask_b32 v16, v16, v22 :: v_dual_cndmask_b32 v3, v3, v17
	v_cmp_le_u32_e32 vcc_lo, s56, v16
	s_delay_alu instid0(VALU_DEP_2) | instskip(SKIP_1) | instid1(VALU_DEP_1)
	v_add_nc_u32_e32 v17, 1, v3
	s_wait_alu 0xfffd
	v_dual_cndmask_b32 v16, v3, v17 :: v_dual_mov_b32 v17, v2
	s_branch .LBB70_21
.LBB70_38:                              ;   in Loop: Header=BB70_3 Depth=1
	s_load_b64 s[0:1], s[24:25], 0x0
	s_wait_kmcnt 0x0
	v_cmp_gt_i64_e32 vcc_lo, s[0:1], v[4:5]
	s_and_b32 exec_lo, exec_lo, vcc_lo
	s_cbranch_execz .LBB70_2
; %bb.39:                               ;   in Loop: Header=BB70_3 Depth=1
	v_lshlrev_b64_e32 v[6:7], 1, v[6:7]
	v_add_co_u32 v8, vcc_lo, v4, 1
	s_wait_alu 0xfffd
	v_add_co_ci_u32_e64 v9, null, 0, v5, vcc_lo
	s_delay_alu instid0(VALU_DEP_3) | instskip(SKIP_2) | instid1(VALU_DEP_3)
	v_add_co_u32 v6, vcc_lo, s10, v6
	s_wait_alu 0xfffd
	v_add_co_ci_u32_e64 v7, null, s11, v7, vcc_lo
	v_cmp_gt_i64_e32 vcc_lo, s[0:1], v[8:9]
	global_store_b16 v[6:7], v2, off
	s_and_b32 exec_lo, exec_lo, vcc_lo
	s_cbranch_execz .LBB70_2
; %bb.40:                               ;   in Loop: Header=BB70_3 Depth=1
	v_sub_co_u32 v8, vcc_lo, v8, v20
	s_wait_alu 0xfffd
	v_sub_co_ci_u32_e64 v9, null, v9, v21, vcc_lo
	s_mov_b32 s14, exec_lo
	v_cmpx_gt_i64_e64 s[4:5], v[8:9]
	s_cbranch_execz .LBB70_42
; %bb.41:                               ;   in Loop: Header=BB70_3 Depth=1
	s_lshl_b64 s[38:39], s[2:3], 1
	s_wait_alu 0xfffe
	v_add_co_u32 v8, vcc_lo, v6, s38
	s_wait_alu 0xfffd
	v_add_co_ci_u32_e64 v9, null, s39, v7, vcc_lo
	global_store_b16 v[8:9], v2, off
.LBB70_42:                              ;   in Loop: Header=BB70_3 Depth=1
	s_wait_alu 0xfffe
	s_or_b32 exec_lo, exec_lo, s14
	v_add_co_u32 v8, vcc_lo, v4, 2
	s_wait_alu 0xfffd
	v_add_co_ci_u32_e64 v9, null, 0, v5, vcc_lo
	s_delay_alu instid0(VALU_DEP_1)
	v_cmp_gt_i64_e32 vcc_lo, s[0:1], v[8:9]
	s_and_b32 exec_lo, exec_lo, vcc_lo
	s_cbranch_execz .LBB70_2
; %bb.43:                               ;   in Loop: Header=BB70_3 Depth=1
	v_sub_co_u32 v8, vcc_lo, v8, v20
	s_wait_alu 0xfffd
	v_sub_co_ci_u32_e64 v9, null, v9, v21, vcc_lo
	s_mov_b32 s14, exec_lo
	v_cmpx_gt_i64_e64 s[4:5], v[8:9]
	s_cbranch_execz .LBB70_45
; %bb.44:                               ;   in Loop: Header=BB70_3 Depth=1
	s_lshl_b64 s[38:39], s[2:3], 2
	s_wait_alu 0xfffe
	v_add_co_u32 v8, vcc_lo, v6, s38
	s_wait_alu 0xfffd
	v_add_co_ci_u32_e64 v9, null, s39, v7, vcc_lo
	global_store_b16 v[8:9], v2, off
.LBB70_45:                              ;   in Loop: Header=BB70_3 Depth=1
	s_wait_alu 0xfffe
	s_or_b32 exec_lo, exec_lo, s14
	v_add_co_u32 v3, vcc_lo, v4, 3
	s_wait_alu 0xfffd
	v_add_co_ci_u32_e64 v4, null, 0, v5, vcc_lo
	s_delay_alu instid0(VALU_DEP_2) | instskip(SKIP_1) | instid1(VALU_DEP_2)
	v_sub_co_u32 v8, vcc_lo, v3, v20
	s_wait_alu 0xfffd
	v_sub_co_ci_u32_e64 v9, null, v4, v21, vcc_lo
	v_cmp_gt_i64_e32 vcc_lo, s[0:1], v[3:4]
	s_delay_alu instid0(VALU_DEP_2)
	v_cmp_gt_i64_e64 s0, s[4:5], v[8:9]
	s_and_b32 s0, vcc_lo, s0
	s_wait_alu 0xfffe
	s_and_b32 exec_lo, exec_lo, s0
	s_cbranch_execz .LBB70_2
; %bb.46:                               ;   in Loop: Header=BB70_3 Depth=1
	v_mad_co_u64_u32 v[3:4], null, s2, 6, v[6:7]
	s_delay_alu instid0(VALU_DEP_1)
	v_mad_co_u64_u32 v[4:5], null, s3, 6, v[4:5]
	global_store_b16 v[3:4], v2, off
	s_branch .LBB70_2
.LBB70_47:
	s_endpgm
	.section	.rodata,"a",@progbits
	.p2align	6, 0x0
	.amdhsa_kernel _ZN2at6native16triu_tril_kernelIslLb1ELi4ELb1EEEvNS_4cuda6detail10TensorInfoIT_T0_EENS4_IKS5_S6_EEllS6_
		.amdhsa_group_segment_fixed_size 0
		.amdhsa_private_segment_fixed_size 0
		.amdhsa_kernarg_size 1112
		.amdhsa_user_sgpr_count 2
		.amdhsa_user_sgpr_dispatch_ptr 0
		.amdhsa_user_sgpr_queue_ptr 0
		.amdhsa_user_sgpr_kernarg_segment_ptr 1
		.amdhsa_user_sgpr_dispatch_id 0
		.amdhsa_user_sgpr_private_segment_size 0
		.amdhsa_wavefront_size32 1
		.amdhsa_uses_dynamic_stack 0
		.amdhsa_enable_private_segment 0
		.amdhsa_system_sgpr_workgroup_id_x 1
		.amdhsa_system_sgpr_workgroup_id_y 0
		.amdhsa_system_sgpr_workgroup_id_z 0
		.amdhsa_system_sgpr_workgroup_info 0
		.amdhsa_system_vgpr_workitem_id 0
		.amdhsa_next_free_vgpr 30
		.amdhsa_next_free_sgpr 75
		.amdhsa_reserve_vcc 1
		.amdhsa_float_round_mode_32 0
		.amdhsa_float_round_mode_16_64 0
		.amdhsa_float_denorm_mode_32 3
		.amdhsa_float_denorm_mode_16_64 3
		.amdhsa_fp16_overflow 0
		.amdhsa_workgroup_processor_mode 1
		.amdhsa_memory_ordered 1
		.amdhsa_forward_progress 1
		.amdhsa_inst_pref_size 67
		.amdhsa_round_robin_scheduling 0
		.amdhsa_exception_fp_ieee_invalid_op 0
		.amdhsa_exception_fp_denorm_src 0
		.amdhsa_exception_fp_ieee_div_zero 0
		.amdhsa_exception_fp_ieee_overflow 0
		.amdhsa_exception_fp_ieee_underflow 0
		.amdhsa_exception_fp_ieee_inexact 0
		.amdhsa_exception_int_div_zero 0
	.end_amdhsa_kernel
	.section	.text._ZN2at6native16triu_tril_kernelIslLb1ELi4ELb1EEEvNS_4cuda6detail10TensorInfoIT_T0_EENS4_IKS5_S6_EEllS6_,"axG",@progbits,_ZN2at6native16triu_tril_kernelIslLb1ELi4ELb1EEEvNS_4cuda6detail10TensorInfoIT_T0_EENS4_IKS5_S6_EEllS6_,comdat
.Lfunc_end70:
	.size	_ZN2at6native16triu_tril_kernelIslLb1ELi4ELb1EEEvNS_4cuda6detail10TensorInfoIT_T0_EENS4_IKS5_S6_EEllS6_, .Lfunc_end70-_ZN2at6native16triu_tril_kernelIslLb1ELi4ELb1EEEvNS_4cuda6detail10TensorInfoIT_T0_EENS4_IKS5_S6_EEllS6_
                                        ; -- End function
	.set _ZN2at6native16triu_tril_kernelIslLb1ELi4ELb1EEEvNS_4cuda6detail10TensorInfoIT_T0_EENS4_IKS5_S6_EEllS6_.num_vgpr, 30
	.set _ZN2at6native16triu_tril_kernelIslLb1ELi4ELb1EEEvNS_4cuda6detail10TensorInfoIT_T0_EENS4_IKS5_S6_EEllS6_.num_agpr, 0
	.set _ZN2at6native16triu_tril_kernelIslLb1ELi4ELb1EEEvNS_4cuda6detail10TensorInfoIT_T0_EENS4_IKS5_S6_EEllS6_.numbered_sgpr, 75
	.set _ZN2at6native16triu_tril_kernelIslLb1ELi4ELb1EEEvNS_4cuda6detail10TensorInfoIT_T0_EENS4_IKS5_S6_EEllS6_.num_named_barrier, 0
	.set _ZN2at6native16triu_tril_kernelIslLb1ELi4ELb1EEEvNS_4cuda6detail10TensorInfoIT_T0_EENS4_IKS5_S6_EEllS6_.private_seg_size, 0
	.set _ZN2at6native16triu_tril_kernelIslLb1ELi4ELb1EEEvNS_4cuda6detail10TensorInfoIT_T0_EENS4_IKS5_S6_EEllS6_.uses_vcc, 1
	.set _ZN2at6native16triu_tril_kernelIslLb1ELi4ELb1EEEvNS_4cuda6detail10TensorInfoIT_T0_EENS4_IKS5_S6_EEllS6_.uses_flat_scratch, 0
	.set _ZN2at6native16triu_tril_kernelIslLb1ELi4ELb1EEEvNS_4cuda6detail10TensorInfoIT_T0_EENS4_IKS5_S6_EEllS6_.has_dyn_sized_stack, 0
	.set _ZN2at6native16triu_tril_kernelIslLb1ELi4ELb1EEEvNS_4cuda6detail10TensorInfoIT_T0_EENS4_IKS5_S6_EEllS6_.has_recursion, 0
	.set _ZN2at6native16triu_tril_kernelIslLb1ELi4ELb1EEEvNS_4cuda6detail10TensorInfoIT_T0_EENS4_IKS5_S6_EEllS6_.has_indirect_call, 0
	.section	.AMDGPU.csdata,"",@progbits
; Kernel info:
; codeLenInByte = 8544
; TotalNumSgprs: 77
; NumVgprs: 30
; ScratchSize: 0
; MemoryBound: 0
; FloatMode: 240
; IeeeMode: 1
; LDSByteSize: 0 bytes/workgroup (compile time only)
; SGPRBlocks: 0
; VGPRBlocks: 3
; NumSGPRsForWavesPerEU: 77
; NumVGPRsForWavesPerEU: 30
; Occupancy: 16
; WaveLimiterHint : 0
; COMPUTE_PGM_RSRC2:SCRATCH_EN: 0
; COMPUTE_PGM_RSRC2:USER_SGPR: 2
; COMPUTE_PGM_RSRC2:TRAP_HANDLER: 0
; COMPUTE_PGM_RSRC2:TGID_X_EN: 1
; COMPUTE_PGM_RSRC2:TGID_Y_EN: 0
; COMPUTE_PGM_RSRC2:TGID_Z_EN: 0
; COMPUTE_PGM_RSRC2:TIDIG_COMP_CNT: 0
	.section	.text._ZN2at6native16triu_tril_kernelIslLb1ELi4ELb0EEEvNS_4cuda6detail10TensorInfoIT_T0_EENS4_IKS5_S6_EEllS6_,"axG",@progbits,_ZN2at6native16triu_tril_kernelIslLb1ELi4ELb0EEEvNS_4cuda6detail10TensorInfoIT_T0_EENS4_IKS5_S6_EEllS6_,comdat
	.protected	_ZN2at6native16triu_tril_kernelIslLb1ELi4ELb0EEEvNS_4cuda6detail10TensorInfoIT_T0_EENS4_IKS5_S6_EEllS6_ ; -- Begin function _ZN2at6native16triu_tril_kernelIslLb1ELi4ELb0EEEvNS_4cuda6detail10TensorInfoIT_T0_EENS4_IKS5_S6_EEllS6_
	.globl	_ZN2at6native16triu_tril_kernelIslLb1ELi4ELb0EEEvNS_4cuda6detail10TensorInfoIT_T0_EENS4_IKS5_S6_EEllS6_
	.p2align	8
	.type	_ZN2at6native16triu_tril_kernelIslLb1ELi4ELb0EEEvNS_4cuda6detail10TensorInfoIT_T0_EENS4_IKS5_S6_EEllS6_,@function
_ZN2at6native16triu_tril_kernelIslLb1ELi4ELb0EEEvNS_4cuda6detail10TensorInfoIT_T0_EENS4_IKS5_S6_EEllS6_: ; @_ZN2at6native16triu_tril_kernelIslLb1ELi4ELb0EEEvNS_4cuda6detail10TensorInfoIT_T0_EENS4_IKS5_S6_EEllS6_
; %bb.0:
	s_clause 0x1
	s_load_b32 s2, s[0:1], 0x364
	s_load_b128 s[4:7], s[0:1], 0x340
	v_mov_b32_e32 v2, 0
	s_delay_alu instid0(VALU_DEP_1) | instskip(SKIP_3) | instid1(VALU_DEP_1)
	v_mov_b32_e32 v1, v2
	s_wait_kmcnt 0x0
	s_and_b32 s26, s2, 0xffff
	s_mov_b32 s2, exec_lo
	v_mad_co_u64_u32 v[0:1], null, s26, ttmp9, v[0:1]
	s_delay_alu instid0(VALU_DEP_1) | instskip(NEXT) | instid1(VALU_DEP_1)
	v_lshlrev_b64_e32 v[0:1], 2, v[0:1]
	v_cmpx_gt_i64_e64 s[6:7], v[0:1]
	s_cbranch_execz .LBB71_44
; %bb.1:
	s_clause 0x2
	s_load_b32 s54, s[0:1], 0x338
	s_load_b64 s[2:3], s[0:1], 0x350
	s_load_b64 s[20:21], s[0:1], 0x1a0
	s_add_nc_u64 s[22:23], s[0:1], 0x1a0
	s_add_nc_u64 s[14:15], s[0:1], 0x358
	s_mov_b32 s27, 0
	s_mov_b32 s28, s4
	;; [unrolled: 1-line block ×10, first 2 shown]
	s_wait_kmcnt 0x0
	s_ashr_i32 s55, s54, 31
	v_cvt_f32_u32_e32 v3, s2
	s_lshl_b64 s[12:13], s[54:55], 3
	s_add_co_i32 s38, s54, -3
	s_add_nc_u64 s[16:17], s[22:23], s[12:13]
	s_add_nc_u64 s[12:13], s[0:1], s[12:13]
	s_add_nc_u64 s[8:9], s[16:17], -8
	v_rcp_iflag_f32_e32 v3, v3
	s_load_b128 s[8:11], s[8:9], 0x0
	s_load_b32 s33, s[14:15], 0x0
	s_clause 0x2
	s_load_b64 s[24:25], s[0:1], 0x0
	s_load_b128 s[12:15], s[12:13], 0xc0
	s_load_b128 s[16:19], s[16:17], 0xc0
	s_ashr_i32 s39, s38, 31
	v_cmp_gt_i64_e64 s78, s[54:55], 2
	s_add_nc_u64 s[40:41], s[38:39], -1
	s_add_nc_u64 s[54:55], s[0:1], 0xc8
	v_mul_f32_e32 v3, 0x4f7ffffe, v3
	s_delay_alu instid0(VALU_DEP_1)
	v_cvt_u32_f32_e32 v16, v3
	s_wait_kmcnt 0x0
	v_cvt_f32_u32_e32 v4, s8
	s_mul_i32 s33, s33, s26
	s_lshl_b64 s[42:43], s[14:15], 2
	s_lshl_b32 s33, s33, 2
	s_delay_alu instid0(VALU_DEP_1)
	v_rcp_iflag_f32_e32 v4, v4
	s_lshl_b64 s[46:47], s[18:19], 2
	s_bitcmp0_b32 s38, 0
	s_mul_u64 s[44:45], s[14:15], 6
	s_cselect_b32 s76, -1, 0
	s_lshl_b64 s[52:53], s[38:39], 3
	s_cmp_lg_u32 s38, 0
	s_mul_u64 s[48:49], s[18:19], 6
	s_add_nc_u64 s[50:51], s[22:23], s[52:53]
	s_add_nc_u64 s[52:53], s[0:1], s[52:53]
	v_mul_f32_e32 v3, 0x4f7ffffe, v4
	s_cselect_b32 s77, -1, 0
	s_ashr_i32 s56, s3, 31
	s_delay_alu instid0(VALU_DEP_1)
	v_cvt_u32_f32_e32 v17, v3
	s_branch .LBB71_3
.LBB71_2:                               ;   in Loop: Header=BB71_3 Depth=1
	s_wait_alu 0xfffe
	s_or_b32 exec_lo, exec_lo, s0
	v_add_co_u32 v0, vcc_lo, v0, s33
	s_wait_alu 0xfffd
	v_add_co_ci_u32_e64 v1, null, 0, v1, vcc_lo
	s_delay_alu instid0(VALU_DEP_1) | instskip(SKIP_1) | instid1(SALU_CYCLE_1)
	v_cmp_le_i64_e32 vcc_lo, s[6:7], v[0:1]
	s_or_b32 s79, vcc_lo, s79
	s_and_not1_b32 exec_lo, exec_lo, s79
	s_cbranch_execz .LBB71_44
.LBB71_3:                               ; =>This Loop Header: Depth=1
                                        ;     Child Loop BB71_21 Depth 2
	v_or_b32_e32 v3, s3, v1
                                        ; implicit-def: $vgpr6_vgpr7
	s_mov_b32 s0, exec_lo
	s_delay_alu instid0(VALU_DEP_1)
	v_cmpx_ne_u64_e32 0, v[2:3]
	s_wait_alu 0xfffe
	s_xor_b32 s1, exec_lo, s0
	s_cbranch_execz .LBB71_5
; %bb.4:                                ;   in Loop: Header=BB71_3 Depth=1
	s_mov_b32 s57, s56
	v_ashrrev_i32_e32 v9, 31, v1
	s_wait_alu 0xfffe
	s_add_nc_u64 s[58:59], s[2:3], s[56:57]
	s_wait_alu 0xfffe
	s_xor_b64 s[58:59], s[58:59], s[56:57]
	v_add_co_u32 v3, vcc_lo, v0, v9
	s_wait_alu 0xfffe
	s_cvt_f32_u32 s0, s58
	s_cvt_f32_u32 s26, s59
	s_sub_nc_u64 s[62:63], 0, s[58:59]
	s_wait_alu 0xfffd
	v_add_co_ci_u32_e64 v4, null, v1, v9, vcc_lo
	s_wait_alu 0xfffe
	s_fmamk_f32 s0, s26, 0x4f800000, s0
	v_xor_b32_e32 v10, v3, v9
	s_delay_alu instid0(VALU_DEP_2) | instskip(SKIP_2) | instid1(TRANS32_DEP_1)
	v_xor_b32_e32 v11, v4, v9
	s_wait_alu 0xfffe
	v_s_rcp_f32 s0, s0
	s_mul_f32 s0, s0, 0x5f7ffffc
	s_wait_alu 0xfffe
	s_delay_alu instid0(SALU_CYCLE_2) | instskip(SKIP_1) | instid1(SALU_CYCLE_2)
	s_mul_f32 s26, s0, 0x2f800000
	s_wait_alu 0xfffe
	s_trunc_f32 s26, s26
	s_wait_alu 0xfffe
	s_delay_alu instid0(SALU_CYCLE_2) | instskip(SKIP_2) | instid1(SALU_CYCLE_1)
	s_fmamk_f32 s0, s26, 0xcf800000, s0
	s_cvt_u32_f32 s61, s26
	s_wait_alu 0xfffe
	s_cvt_u32_f32 s60, s0
	s_wait_alu 0xfffe
	s_delay_alu instid0(SALU_CYCLE_2)
	s_mul_u64 s[64:65], s[62:63], s[60:61]
	s_wait_alu 0xfffe
	s_mul_hi_u32 s67, s60, s65
	s_mul_i32 s66, s60, s65
	s_mul_hi_u32 s26, s60, s64
	s_mul_i32 s57, s61, s64
	s_wait_alu 0xfffe
	s_add_nc_u64 s[66:67], s[26:27], s[66:67]
	s_mul_hi_u32 s0, s61, s64
	s_mul_hi_u32 s68, s61, s65
	s_wait_alu 0xfffe
	s_add_co_u32 s26, s66, s57
	s_add_co_ci_u32 s26, s67, s0
	s_mul_i32 s64, s61, s65
	s_add_co_ci_u32 s65, s68, 0
	s_wait_alu 0xfffe
	s_add_nc_u64 s[64:65], s[26:27], s[64:65]
	s_wait_alu 0xfffe
	s_add_co_u32 s60, s60, s64
	s_cselect_b32 s0, -1, 0
	s_wait_alu 0xfffe
	s_cmp_lg_u32 s0, 0
	s_add_co_ci_u32 s61, s61, s65
	s_wait_alu 0xfffe
	s_mul_u64 s[62:63], s[62:63], s[60:61]
	s_wait_alu 0xfffe
	s_mul_hi_u32 s65, s60, s63
	s_mul_i32 s64, s60, s63
	s_mul_hi_u32 s26, s60, s62
	s_mul_i32 s57, s61, s62
	s_wait_alu 0xfffe
	s_add_nc_u64 s[64:65], s[26:27], s[64:65]
	s_mul_hi_u32 s0, s61, s62
	s_mul_hi_u32 s66, s61, s63
	s_wait_alu 0xfffe
	s_add_co_u32 s26, s64, s57
	s_add_co_ci_u32 s26, s65, s0
	s_mul_i32 s62, s61, s63
	s_add_co_ci_u32 s63, s66, 0
	s_wait_alu 0xfffe
	s_add_nc_u64 s[62:63], s[26:27], s[62:63]
	s_wait_alu 0xfffe
	s_add_co_u32 s0, s60, s62
	s_cselect_b32 s26, -1, 0
	s_wait_alu 0xfffe
	v_mul_hi_u32 v12, v10, s0
	s_cmp_lg_u32 s26, 0
	v_mad_co_u64_u32 v[5:6], null, v11, s0, 0
	s_add_co_ci_u32 s26, s61, s63
	s_wait_alu 0xfffe
	v_mad_co_u64_u32 v[3:4], null, v10, s26, 0
	v_mad_co_u64_u32 v[7:8], null, v11, s26, 0
	s_delay_alu instid0(VALU_DEP_2) | instskip(SKIP_1) | instid1(VALU_DEP_3)
	v_add_co_u32 v3, vcc_lo, v12, v3
	s_wait_alu 0xfffd
	v_add_co_ci_u32_e64 v4, null, 0, v4, vcc_lo
	s_delay_alu instid0(VALU_DEP_2) | instskip(SKIP_1) | instid1(VALU_DEP_2)
	v_add_co_u32 v3, vcc_lo, v3, v5
	s_wait_alu 0xfffd
	v_add_co_ci_u32_e32 v3, vcc_lo, v4, v6, vcc_lo
	s_wait_alu 0xfffd
	v_add_co_ci_u32_e32 v4, vcc_lo, 0, v8, vcc_lo
	s_delay_alu instid0(VALU_DEP_2) | instskip(SKIP_1) | instid1(VALU_DEP_2)
	v_add_co_u32 v5, vcc_lo, v3, v7
	s_wait_alu 0xfffd
	v_add_co_ci_u32_e64 v6, null, 0, v4, vcc_lo
	s_delay_alu instid0(VALU_DEP_2) | instskip(SKIP_1) | instid1(VALU_DEP_3)
	v_mul_lo_u32 v7, s59, v5
	v_mad_co_u64_u32 v[3:4], null, s58, v5, 0
	v_mul_lo_u32 v8, s58, v6
	s_delay_alu instid0(VALU_DEP_2) | instskip(NEXT) | instid1(VALU_DEP_2)
	v_sub_co_u32 v3, vcc_lo, v10, v3
	v_add3_u32 v4, v4, v8, v7
	v_add_co_u32 v8, s0, v5, 2
	s_wait_alu 0xf1ff
	v_add_co_ci_u32_e64 v10, null, 0, v6, s0
	s_delay_alu instid0(VALU_DEP_3) | instskip(SKIP_3) | instid1(VALU_DEP_3)
	v_sub_nc_u32_e32 v7, v11, v4
	v_sub_co_u32 v12, s0, v3, s58
	s_wait_alu 0xfffd
	v_sub_co_ci_u32_e64 v4, null, v11, v4, vcc_lo
	v_subrev_co_ci_u32_e64 v7, null, s59, v7, vcc_lo
	s_delay_alu instid0(VALU_DEP_3) | instskip(SKIP_1) | instid1(VALU_DEP_2)
	v_cmp_le_u32_e32 vcc_lo, s58, v12
	s_wait_alu 0xf1ff
	v_subrev_co_ci_u32_e64 v7, null, 0, v7, s0
	s_wait_alu 0xfffd
	v_cndmask_b32_e64 v11, 0, -1, vcc_lo
	s_delay_alu instid0(VALU_DEP_2)
	v_cmp_le_u32_e32 vcc_lo, s59, v7
	s_wait_alu 0xfffd
	v_cndmask_b32_e64 v12, 0, -1, vcc_lo
	v_cmp_le_u32_e32 vcc_lo, s58, v3
	s_wait_alu 0xfffd
	v_cndmask_b32_e64 v3, 0, -1, vcc_lo
	;; [unrolled: 3-line block ×3, first 2 shown]
	v_cmp_eq_u32_e32 vcc_lo, s59, v7
	s_wait_alu 0xfffd
	v_cndmask_b32_e32 v7, v12, v11, vcc_lo
	v_add_co_u32 v11, vcc_lo, v5, 1
	s_wait_alu 0xfffd
	v_add_co_ci_u32_e64 v12, null, 0, v6, vcc_lo
	v_cmp_eq_u32_e32 vcc_lo, s59, v4
	s_wait_alu 0xfffd
	v_cndmask_b32_e32 v3, v13, v3, vcc_lo
	v_cmp_ne_u32_e32 vcc_lo, 0, v7
	v_xor_b32_e32 v7, s56, v9
	s_wait_alu 0xfffd
	v_cndmask_b32_e32 v4, v12, v10, vcc_lo
	v_cmp_ne_u32_e64 s0, 0, v3
	v_cndmask_b32_e32 v3, v11, v8, vcc_lo
	s_wait_alu 0xf1ff
	s_delay_alu instid0(VALU_DEP_2) | instskip(NEXT) | instid1(VALU_DEP_2)
	v_cndmask_b32_e64 v4, v6, v4, s0
	v_cndmask_b32_e64 v3, v5, v3, s0
	s_delay_alu instid0(VALU_DEP_2) | instskip(NEXT) | instid1(VALU_DEP_2)
	v_xor_b32_e32 v4, v4, v7
	v_xor_b32_e32 v3, v3, v7
	s_delay_alu instid0(VALU_DEP_1) | instskip(SKIP_1) | instid1(VALU_DEP_3)
	v_sub_co_u32 v6, vcc_lo, v3, v7
	s_wait_alu 0xfffd
	v_sub_co_ci_u32_e64 v7, null, v4, v7, vcc_lo
.LBB71_5:                               ;   in Loop: Header=BB71_3 Depth=1
	s_wait_alu 0xfffe
	s_and_not1_saveexec_b32 s0, s1
	s_cbranch_execz .LBB71_7
; %bb.6:                                ;   in Loop: Header=BB71_3 Depth=1
	s_sub_co_i32 s1, 0, s2
	v_mov_b32_e32 v7, v2
	s_wait_alu 0xfffe
	v_mul_lo_u32 v3, s1, v16
	s_delay_alu instid0(VALU_DEP_1) | instskip(NEXT) | instid1(VALU_DEP_1)
	v_mul_hi_u32 v3, v16, v3
	v_add_nc_u32_e32 v3, v16, v3
	s_delay_alu instid0(VALU_DEP_1) | instskip(NEXT) | instid1(VALU_DEP_1)
	v_mul_hi_u32 v3, v0, v3
	v_mul_lo_u32 v4, v3, s2
	s_delay_alu instid0(VALU_DEP_1) | instskip(NEXT) | instid1(VALU_DEP_1)
	v_sub_nc_u32_e32 v4, v0, v4
	v_subrev_nc_u32_e32 v6, s2, v4
	v_cmp_le_u32_e32 vcc_lo, s2, v4
	s_wait_alu 0xfffd
	s_delay_alu instid0(VALU_DEP_2) | instskip(NEXT) | instid1(VALU_DEP_1)
	v_dual_cndmask_b32 v4, v4, v6 :: v_dual_add_nc_u32 v5, 1, v3
	v_cndmask_b32_e32 v3, v3, v5, vcc_lo
	s_delay_alu instid0(VALU_DEP_2) | instskip(NEXT) | instid1(VALU_DEP_2)
	v_cmp_le_u32_e32 vcc_lo, s2, v4
	v_add_nc_u32_e32 v5, 1, v3
	s_wait_alu 0xfffd
	s_delay_alu instid0(VALU_DEP_1)
	v_cndmask_b32_e32 v6, v3, v5, vcc_lo
.LBB71_7:                               ;   in Loop: Header=BB71_3 Depth=1
	s_wait_alu 0xfffe
	s_or_b32 exec_lo, exec_lo, s0
	v_or_b32_e32 v3, s9, v7
                                        ; implicit-def: $vgpr10_vgpr11
	s_mov_b32 s0, exec_lo
	s_delay_alu instid0(VALU_DEP_1)
	v_cmpx_ne_u64_e32 0, v[2:3]
	s_wait_alu 0xfffe
	s_xor_b32 s1, exec_lo, s0
	s_cbranch_execz .LBB71_9
; %bb.8:                                ;   in Loop: Header=BB71_3 Depth=1
	s_ashr_i32 s58, s9, 31
	v_ashrrev_i32_e32 v5, 31, v7
	s_wait_alu 0xfffe
	s_mov_b32 s59, s58
	s_wait_alu 0xfffe
	s_add_nc_u64 s[60:61], s[8:9], s[58:59]
	v_add_co_u32 v3, vcc_lo, v6, v5
	s_wait_alu 0xfffe
	s_xor_b64 s[60:61], s[60:61], s[58:59]
	s_wait_alu 0xfffd
	v_add_co_ci_u32_e64 v4, null, v7, v5, vcc_lo
	s_wait_alu 0xfffe
	s_cvt_f32_u32 s0, s60
	s_cvt_f32_u32 s26, s61
	s_sub_nc_u64 s[64:65], 0, s[60:61]
	v_xor_b32_e32 v12, v3, v5
	v_xor_b32_e32 v13, v4, v5
	s_wait_alu 0xfffe
	s_fmamk_f32 s0, s26, 0x4f800000, s0
	v_xor_b32_e32 v5, s58, v5
	s_wait_alu 0xfffe
	s_delay_alu instid0(SALU_CYCLE_1) | instskip(NEXT) | instid1(TRANS32_DEP_1)
	v_s_rcp_f32 s0, s0
	s_mul_f32 s0, s0, 0x5f7ffffc
	s_wait_alu 0xfffe
	s_delay_alu instid0(SALU_CYCLE_2) | instskip(SKIP_1) | instid1(SALU_CYCLE_2)
	s_mul_f32 s26, s0, 0x2f800000
	s_wait_alu 0xfffe
	s_trunc_f32 s26, s26
	s_wait_alu 0xfffe
	s_delay_alu instid0(SALU_CYCLE_2) | instskip(SKIP_2) | instid1(SALU_CYCLE_1)
	s_fmamk_f32 s0, s26, 0xcf800000, s0
	s_cvt_u32_f32 s63, s26
	s_wait_alu 0xfffe
	s_cvt_u32_f32 s62, s0
	s_wait_alu 0xfffe
	s_delay_alu instid0(SALU_CYCLE_2)
	s_mul_u64 s[66:67], s[64:65], s[62:63]
	s_wait_alu 0xfffe
	s_mul_hi_u32 s69, s62, s67
	s_mul_i32 s68, s62, s67
	s_mul_hi_u32 s26, s62, s66
	s_mul_i32 s57, s63, s66
	s_wait_alu 0xfffe
	s_add_nc_u64 s[68:69], s[26:27], s[68:69]
	s_mul_hi_u32 s0, s63, s66
	s_mul_hi_u32 s59, s63, s67
	s_wait_alu 0xfffe
	s_add_co_u32 s26, s68, s57
	s_add_co_ci_u32 s26, s69, s0
	s_mul_i32 s66, s63, s67
	s_add_co_ci_u32 s67, s59, 0
	s_wait_alu 0xfffe
	s_add_nc_u64 s[66:67], s[26:27], s[66:67]
	s_wait_alu 0xfffe
	s_add_co_u32 s62, s62, s66
	s_cselect_b32 s0, -1, 0
	s_wait_alu 0xfffe
	s_cmp_lg_u32 s0, 0
	s_add_co_ci_u32 s63, s63, s67
	s_wait_alu 0xfffe
	s_mul_u64 s[64:65], s[64:65], s[62:63]
	s_wait_alu 0xfffe
	s_mul_hi_u32 s67, s62, s65
	s_mul_i32 s66, s62, s65
	s_mul_hi_u32 s26, s62, s64
	s_mul_i32 s57, s63, s64
	s_wait_alu 0xfffe
	s_add_nc_u64 s[66:67], s[26:27], s[66:67]
	s_mul_hi_u32 s0, s63, s64
	s_mul_hi_u32 s59, s63, s65
	s_wait_alu 0xfffe
	s_add_co_u32 s26, s66, s57
	s_add_co_ci_u32 s26, s67, s0
	s_mul_i32 s64, s63, s65
	s_add_co_ci_u32 s65, s59, 0
	s_wait_alu 0xfffe
	s_add_nc_u64 s[64:65], s[26:27], s[64:65]
	s_wait_alu 0xfffe
	s_add_co_u32 s0, s62, s64
	s_cselect_b32 s26, -1, 0
	s_wait_alu 0xfffe
	v_mul_hi_u32 v14, v12, s0
	s_cmp_lg_u32 s26, 0
	v_mad_co_u64_u32 v[8:9], null, v13, s0, 0
	s_add_co_ci_u32 s26, s63, s65
	s_wait_alu 0xfffe
	v_mad_co_u64_u32 v[3:4], null, v12, s26, 0
	v_mad_co_u64_u32 v[10:11], null, v13, s26, 0
	s_delay_alu instid0(VALU_DEP_2) | instskip(SKIP_1) | instid1(VALU_DEP_3)
	v_add_co_u32 v3, vcc_lo, v14, v3
	s_wait_alu 0xfffd
	v_add_co_ci_u32_e64 v4, null, 0, v4, vcc_lo
	s_delay_alu instid0(VALU_DEP_2) | instskip(SKIP_1) | instid1(VALU_DEP_2)
	v_add_co_u32 v3, vcc_lo, v3, v8
	s_wait_alu 0xfffd
	v_add_co_ci_u32_e32 v3, vcc_lo, v4, v9, vcc_lo
	s_wait_alu 0xfffd
	v_add_co_ci_u32_e32 v4, vcc_lo, 0, v11, vcc_lo
	s_delay_alu instid0(VALU_DEP_2) | instskip(SKIP_1) | instid1(VALU_DEP_2)
	v_add_co_u32 v8, vcc_lo, v3, v10
	s_wait_alu 0xfffd
	v_add_co_ci_u32_e64 v9, null, 0, v4, vcc_lo
	s_delay_alu instid0(VALU_DEP_2) | instskip(SKIP_1) | instid1(VALU_DEP_3)
	v_mul_lo_u32 v10, s61, v8
	v_mad_co_u64_u32 v[3:4], null, s60, v8, 0
	v_mul_lo_u32 v11, s60, v9
	s_delay_alu instid0(VALU_DEP_2) | instskip(NEXT) | instid1(VALU_DEP_2)
	v_sub_co_u32 v3, vcc_lo, v12, v3
	v_add3_u32 v4, v4, v11, v10
	v_add_co_u32 v11, s0, v8, 2
	s_wait_alu 0xf1ff
	v_add_co_ci_u32_e64 v12, null, 0, v9, s0
	s_delay_alu instid0(VALU_DEP_3) | instskip(SKIP_3) | instid1(VALU_DEP_3)
	v_sub_nc_u32_e32 v10, v13, v4
	v_sub_co_u32 v14, s0, v3, s60
	s_wait_alu 0xfffd
	v_sub_co_ci_u32_e64 v4, null, v13, v4, vcc_lo
	v_subrev_co_ci_u32_e64 v10, null, s61, v10, vcc_lo
	s_delay_alu instid0(VALU_DEP_3) | instskip(SKIP_1) | instid1(VALU_DEP_2)
	v_cmp_le_u32_e32 vcc_lo, s60, v14
	s_wait_alu 0xf1ff
	v_subrev_co_ci_u32_e64 v10, null, 0, v10, s0
	s_wait_alu 0xfffd
	v_cndmask_b32_e64 v13, 0, -1, vcc_lo
	s_delay_alu instid0(VALU_DEP_2)
	v_cmp_le_u32_e32 vcc_lo, s61, v10
	s_wait_alu 0xfffd
	v_cndmask_b32_e64 v14, 0, -1, vcc_lo
	v_cmp_le_u32_e32 vcc_lo, s60, v3
	s_wait_alu 0xfffd
	v_cndmask_b32_e64 v3, 0, -1, vcc_lo
	;; [unrolled: 3-line block ×3, first 2 shown]
	v_cmp_eq_u32_e32 vcc_lo, s61, v10
	s_wait_alu 0xfffd
	v_cndmask_b32_e32 v10, v14, v13, vcc_lo
	v_add_co_u32 v13, vcc_lo, v8, 1
	s_wait_alu 0xfffd
	v_add_co_ci_u32_e64 v14, null, 0, v9, vcc_lo
	v_cmp_eq_u32_e32 vcc_lo, s61, v4
	s_wait_alu 0xfffd
	v_cndmask_b32_e32 v3, v15, v3, vcc_lo
	v_cmp_ne_u32_e32 vcc_lo, 0, v10
	s_delay_alu instid0(VALU_DEP_2) | instskip(SKIP_3) | instid1(VALU_DEP_1)
	v_cmp_ne_u32_e64 s0, 0, v3
	s_wait_alu 0xfffd
	v_dual_cndmask_b32 v4, v14, v12 :: v_dual_cndmask_b32 v3, v13, v11
	s_wait_alu 0xf1ff
	v_cndmask_b32_e64 v4, v9, v4, s0
	s_delay_alu instid0(VALU_DEP_2) | instskip(NEXT) | instid1(VALU_DEP_2)
	v_cndmask_b32_e64 v3, v8, v3, s0
	v_xor_b32_e32 v4, v4, v5
	s_delay_alu instid0(VALU_DEP_2) | instskip(NEXT) | instid1(VALU_DEP_1)
	v_xor_b32_e32 v3, v3, v5
	v_sub_co_u32 v10, vcc_lo, v3, v5
	s_wait_alu 0xfffd
	s_delay_alu instid0(VALU_DEP_3)
	v_sub_co_ci_u32_e64 v11, null, v4, v5, vcc_lo
.LBB71_9:                               ;   in Loop: Header=BB71_3 Depth=1
	s_wait_alu 0xfffe
	s_and_not1_saveexec_b32 s0, s1
	s_cbranch_execz .LBB71_11
; %bb.10:                               ;   in Loop: Header=BB71_3 Depth=1
	s_sub_co_i32 s1, 0, s8
	v_mov_b32_e32 v11, v2
	s_wait_alu 0xfffe
	v_mul_lo_u32 v3, s1, v17
	s_delay_alu instid0(VALU_DEP_1) | instskip(NEXT) | instid1(VALU_DEP_1)
	v_mul_hi_u32 v3, v17, v3
	v_add_nc_u32_e32 v3, v17, v3
	s_delay_alu instid0(VALU_DEP_1) | instskip(NEXT) | instid1(VALU_DEP_1)
	v_mul_hi_u32 v3, v6, v3
	v_mul_lo_u32 v4, v3, s8
	v_add_nc_u32_e32 v5, 1, v3
	s_delay_alu instid0(VALU_DEP_2) | instskip(NEXT) | instid1(VALU_DEP_1)
	v_sub_nc_u32_e32 v4, v6, v4
	v_subrev_nc_u32_e32 v8, s8, v4
	v_cmp_le_u32_e32 vcc_lo, s8, v4
	s_wait_alu 0xfffd
	s_delay_alu instid0(VALU_DEP_2) | instskip(NEXT) | instid1(VALU_DEP_1)
	v_dual_cndmask_b32 v4, v4, v8 :: v_dual_cndmask_b32 v3, v3, v5
	v_cmp_le_u32_e32 vcc_lo, s8, v4
	s_delay_alu instid0(VALU_DEP_2) | instskip(SKIP_1) | instid1(VALU_DEP_1)
	v_add_nc_u32_e32 v5, 1, v3
	s_wait_alu 0xfffd
	v_cndmask_b32_e32 v10, v3, v5, vcc_lo
.LBB71_11:                              ;   in Loop: Header=BB71_3 Depth=1
	s_wait_alu 0xfffe
	s_or_b32 exec_lo, exec_lo, s0
	v_mul_lo_u32 v5, v7, s2
	v_mul_lo_u32 v12, v6, s3
	v_mad_co_u64_u32 v[3:4], null, v6, s2, 0
	v_mul_lo_u32 v13, v11, s8
	v_mul_lo_u32 v14, v10, s9
	v_mad_co_u64_u32 v[8:9], null, v10, s8, 0
	s_delay_alu instid0(VALU_DEP_4) | instskip(SKIP_1) | instid1(VALU_DEP_3)
	v_add3_u32 v5, v4, v12, v5
	v_sub_co_u32 v4, vcc_lo, v0, v3
	v_add3_u32 v3, v9, v14, v13
	s_wait_alu 0xfffd
	s_delay_alu instid0(VALU_DEP_3) | instskip(NEXT) | instid1(VALU_DEP_3)
	v_sub_co_ci_u32_e64 v5, null, v1, v5, vcc_lo
	v_mul_lo_u32 v9, s19, v4
	v_mad_co_u64_u32 v[12:13], null, s18, v4, 0
	v_mul_lo_u32 v20, s15, v4
	s_delay_alu instid0(VALU_DEP_4)
	v_mul_lo_u32 v21, s18, v5
	v_mul_lo_u32 v22, s14, v5
	v_mad_co_u64_u32 v[14:15], null, s14, v4, 0
	v_sub_co_u32 v18, vcc_lo, v6, v8
	s_wait_alu 0xfffd
	v_sub_co_ci_u32_e64 v19, null, v7, v3, vcc_lo
	v_add3_u32 v13, v13, v21, v9
	s_delay_alu instid0(VALU_DEP_3) | instskip(SKIP_1) | instid1(VALU_DEP_4)
	v_mul_lo_u32 v3, s17, v18
	v_add3_u32 v15, v15, v22, v20
	v_mul_lo_u32 v21, s16, v19
	s_and_not1_b32 vcc_lo, exec_lo, s78
	v_mad_co_u64_u32 v[8:9], null, s16, v18, v[12:13]
	v_mul_lo_u32 v12, s12, v19
	v_mul_lo_u32 v13, s13, v18
	v_mad_co_u64_u32 v[6:7], null, s12, v18, v[14:15]
	s_delay_alu instid0(VALU_DEP_4) | instskip(NEXT) | instid1(VALU_DEP_2)
	v_add3_u32 v9, v3, v9, v21
	v_add3_u32 v7, v13, v7, v12
	s_wait_alu 0xfffe
	s_cbranch_vccnz .LBB71_29
; %bb.12:                               ;   in Loop: Header=BB71_3 Depth=1
	s_and_not1_b32 vcc_lo, exec_lo, s76
	s_wait_alu 0xfffe
	s_cbranch_vccnz .LBB71_18
; %bb.13:                               ;   in Loop: Header=BB71_3 Depth=1
	s_load_b64 s[58:59], s[50:51], 0x8
                                        ; implicit-def: $vgpr12_vgpr13
	s_mov_b32 s0, exec_lo
	s_wait_kmcnt 0x0
	v_or_b32_e32 v3, s59, v11
	s_delay_alu instid0(VALU_DEP_1)
	v_cmpx_ne_u64_e32 0, v[2:3]
	s_wait_alu 0xfffe
	s_xor_b32 s1, exec_lo, s0
	s_cbranch_execz .LBB71_15
; %bb.14:                               ;   in Loop: Header=BB71_3 Depth=1
	s_ashr_i32 s60, s59, 31
	v_ashrrev_i32_e32 v3, 31, v11
	s_wait_alu 0xfffe
	s_mov_b32 s61, s60
	s_wait_alu 0xfffe
	s_add_nc_u64 s[62:63], s[58:59], s[60:61]
	v_add_co_u32 v12, vcc_lo, v10, v3
	s_wait_alu 0xfffe
	s_xor_b64 s[62:63], s[62:63], s[60:61]
	s_wait_alu 0xfffd
	v_add_co_ci_u32_e64 v13, null, v11, v3, vcc_lo
	s_wait_alu 0xfffe
	s_cvt_f32_u32 s0, s62
	s_cvt_f32_u32 s26, s63
	s_sub_nc_u64 s[66:67], 0, s[62:63]
	v_xor_b32_e32 v22, v12, v3
	v_xor_b32_e32 v23, v13, v3
	s_wait_alu 0xfffe
	s_fmamk_f32 s0, s26, 0x4f800000, s0
	v_xor_b32_e32 v3, s60, v3
	s_wait_alu 0xfffe
	s_delay_alu instid0(SALU_CYCLE_1) | instskip(NEXT) | instid1(TRANS32_DEP_1)
	v_s_rcp_f32 s0, s0
	s_mul_f32 s0, s0, 0x5f7ffffc
	s_wait_alu 0xfffe
	s_delay_alu instid0(SALU_CYCLE_2) | instskip(SKIP_1) | instid1(SALU_CYCLE_2)
	s_mul_f32 s26, s0, 0x2f800000
	s_wait_alu 0xfffe
	s_trunc_f32 s26, s26
	s_wait_alu 0xfffe
	s_delay_alu instid0(SALU_CYCLE_2) | instskip(SKIP_2) | instid1(SALU_CYCLE_1)
	s_fmamk_f32 s0, s26, 0xcf800000, s0
	s_cvt_u32_f32 s65, s26
	s_wait_alu 0xfffe
	s_cvt_u32_f32 s64, s0
	s_wait_alu 0xfffe
	s_delay_alu instid0(SALU_CYCLE_2)
	s_mul_u64 s[68:69], s[66:67], s[64:65]
	s_wait_alu 0xfffe
	s_mul_hi_u32 s71, s64, s69
	s_mul_i32 s70, s64, s69
	s_mul_hi_u32 s26, s64, s68
	s_mul_i32 s57, s65, s68
	s_wait_alu 0xfffe
	s_add_nc_u64 s[70:71], s[26:27], s[70:71]
	s_mul_hi_u32 s0, s65, s68
	s_mul_hi_u32 s61, s65, s69
	s_wait_alu 0xfffe
	s_add_co_u32 s26, s70, s57
	s_add_co_ci_u32 s26, s71, s0
	s_mul_i32 s68, s65, s69
	s_add_co_ci_u32 s69, s61, 0
	s_wait_alu 0xfffe
	s_add_nc_u64 s[68:69], s[26:27], s[68:69]
	s_wait_alu 0xfffe
	s_add_co_u32 s64, s64, s68
	s_cselect_b32 s0, -1, 0
	s_wait_alu 0xfffe
	s_cmp_lg_u32 s0, 0
	s_add_co_ci_u32 s65, s65, s69
	s_wait_alu 0xfffe
	s_mul_u64 s[66:67], s[66:67], s[64:65]
	s_wait_alu 0xfffe
	s_mul_hi_u32 s69, s64, s67
	s_mul_i32 s68, s64, s67
	s_mul_hi_u32 s26, s64, s66
	s_mul_i32 s57, s65, s66
	s_wait_alu 0xfffe
	s_add_nc_u64 s[68:69], s[26:27], s[68:69]
	s_mul_hi_u32 s0, s65, s66
	s_mul_hi_u32 s61, s65, s67
	s_wait_alu 0xfffe
	s_add_co_u32 s26, s68, s57
	s_add_co_ci_u32 s26, s69, s0
	s_mul_i32 s66, s65, s67
	s_add_co_ci_u32 s67, s61, 0
	s_wait_alu 0xfffe
	s_add_nc_u64 s[66:67], s[26:27], s[66:67]
	s_wait_alu 0xfffe
	s_add_co_u32 s0, s64, s66
	s_cselect_b32 s26, -1, 0
	s_wait_alu 0xfffe
	v_mul_hi_u32 v24, v22, s0
	s_cmp_lg_u32 s26, 0
	v_mad_co_u64_u32 v[14:15], null, v23, s0, 0
	s_add_co_ci_u32 s26, s65, s67
	s_wait_alu 0xfffe
	v_mad_co_u64_u32 v[12:13], null, v22, s26, 0
	v_mad_co_u64_u32 v[20:21], null, v23, s26, 0
	s_delay_alu instid0(VALU_DEP_2) | instskip(SKIP_1) | instid1(VALU_DEP_3)
	v_add_co_u32 v12, vcc_lo, v24, v12
	s_wait_alu 0xfffd
	v_add_co_ci_u32_e64 v13, null, 0, v13, vcc_lo
	s_delay_alu instid0(VALU_DEP_2) | instskip(SKIP_1) | instid1(VALU_DEP_2)
	v_add_co_u32 v12, vcc_lo, v12, v14
	s_wait_alu 0xfffd
	v_add_co_ci_u32_e32 v12, vcc_lo, v13, v15, vcc_lo
	s_wait_alu 0xfffd
	v_add_co_ci_u32_e32 v13, vcc_lo, 0, v21, vcc_lo
	s_delay_alu instid0(VALU_DEP_2) | instskip(SKIP_1) | instid1(VALU_DEP_2)
	v_add_co_u32 v14, vcc_lo, v12, v20
	s_wait_alu 0xfffd
	v_add_co_ci_u32_e64 v15, null, 0, v13, vcc_lo
	s_delay_alu instid0(VALU_DEP_2) | instskip(SKIP_1) | instid1(VALU_DEP_3)
	v_mul_lo_u32 v20, s63, v14
	v_mad_co_u64_u32 v[12:13], null, s62, v14, 0
	v_mul_lo_u32 v21, s62, v15
	s_delay_alu instid0(VALU_DEP_2) | instskip(NEXT) | instid1(VALU_DEP_2)
	v_sub_co_u32 v12, vcc_lo, v22, v12
	v_add3_u32 v13, v13, v21, v20
	v_add_co_u32 v21, s0, v14, 2
	s_wait_alu 0xf1ff
	v_add_co_ci_u32_e64 v22, null, 0, v15, s0
	s_delay_alu instid0(VALU_DEP_3) | instskip(SKIP_3) | instid1(VALU_DEP_3)
	v_sub_nc_u32_e32 v20, v23, v13
	v_sub_co_u32 v24, s0, v12, s62
	s_wait_alu 0xfffd
	v_sub_co_ci_u32_e64 v13, null, v23, v13, vcc_lo
	v_subrev_co_ci_u32_e64 v20, null, s63, v20, vcc_lo
	s_delay_alu instid0(VALU_DEP_3) | instskip(SKIP_1) | instid1(VALU_DEP_2)
	v_cmp_le_u32_e32 vcc_lo, s62, v24
	s_wait_alu 0xf1ff
	v_subrev_co_ci_u32_e64 v20, null, 0, v20, s0
	s_wait_alu 0xfffd
	v_cndmask_b32_e64 v23, 0, -1, vcc_lo
	s_delay_alu instid0(VALU_DEP_2)
	v_cmp_le_u32_e32 vcc_lo, s63, v20
	s_wait_alu 0xfffd
	v_cndmask_b32_e64 v24, 0, -1, vcc_lo
	v_cmp_le_u32_e32 vcc_lo, s62, v12
	s_wait_alu 0xfffd
	v_cndmask_b32_e64 v12, 0, -1, vcc_lo
	;; [unrolled: 3-line block ×3, first 2 shown]
	v_cmp_eq_u32_e32 vcc_lo, s63, v20
	s_wait_alu 0xfffd
	v_cndmask_b32_e32 v20, v24, v23, vcc_lo
	v_add_co_u32 v23, vcc_lo, v14, 1
	s_wait_alu 0xfffd
	v_add_co_ci_u32_e64 v24, null, 0, v15, vcc_lo
	v_cmp_eq_u32_e32 vcc_lo, s63, v13
	s_wait_alu 0xfffd
	v_cndmask_b32_e32 v12, v25, v12, vcc_lo
	v_cmp_ne_u32_e32 vcc_lo, 0, v20
	s_wait_alu 0xfffd
	v_cndmask_b32_e32 v13, v24, v22, vcc_lo
	s_delay_alu instid0(VALU_DEP_3) | instskip(SKIP_2) | instid1(VALU_DEP_2)
	v_cmp_ne_u32_e64 s0, 0, v12
	v_cndmask_b32_e32 v12, v23, v21, vcc_lo
	s_wait_alu 0xf1ff
	v_cndmask_b32_e64 v13, v15, v13, s0
	s_delay_alu instid0(VALU_DEP_2) | instskip(NEXT) | instid1(VALU_DEP_2)
	v_cndmask_b32_e64 v12, v14, v12, s0
	v_xor_b32_e32 v13, v13, v3
	s_delay_alu instid0(VALU_DEP_2) | instskip(NEXT) | instid1(VALU_DEP_1)
	v_xor_b32_e32 v12, v12, v3
	v_sub_co_u32 v12, vcc_lo, v12, v3
	s_wait_alu 0xfffd
	s_delay_alu instid0(VALU_DEP_3)
	v_sub_co_ci_u32_e64 v13, null, v13, v3, vcc_lo
.LBB71_15:                              ;   in Loop: Header=BB71_3 Depth=1
	s_wait_alu 0xfffe
	s_and_not1_saveexec_b32 s0, s1
	s_cbranch_execz .LBB71_17
; %bb.16:                               ;   in Loop: Header=BB71_3 Depth=1
	v_cvt_f32_u32_e32 v3, s58
	s_sub_co_i32 s1, 0, s58
	s_delay_alu instid0(VALU_DEP_1) | instskip(NEXT) | instid1(TRANS32_DEP_1)
	v_rcp_iflag_f32_e32 v3, v3
	v_mul_f32_e32 v3, 0x4f7ffffe, v3
	s_delay_alu instid0(VALU_DEP_1) | instskip(SKIP_1) | instid1(VALU_DEP_1)
	v_cvt_u32_f32_e32 v3, v3
	s_wait_alu 0xfffe
	v_mul_lo_u32 v12, s1, v3
	s_delay_alu instid0(VALU_DEP_1) | instskip(NEXT) | instid1(VALU_DEP_1)
	v_mul_hi_u32 v12, v3, v12
	v_add_nc_u32_e32 v3, v3, v12
	s_delay_alu instid0(VALU_DEP_1) | instskip(NEXT) | instid1(VALU_DEP_1)
	v_mul_hi_u32 v3, v10, v3
	v_mul_lo_u32 v12, v3, s58
	v_add_nc_u32_e32 v13, 1, v3
	s_delay_alu instid0(VALU_DEP_2) | instskip(NEXT) | instid1(VALU_DEP_1)
	v_sub_nc_u32_e32 v12, v10, v12
	v_subrev_nc_u32_e32 v14, s58, v12
	v_cmp_le_u32_e32 vcc_lo, s58, v12
	s_wait_alu 0xfffd
	s_delay_alu instid0(VALU_DEP_2) | instskip(NEXT) | instid1(VALU_DEP_1)
	v_dual_cndmask_b32 v12, v12, v14 :: v_dual_cndmask_b32 v3, v3, v13
	v_cmp_le_u32_e32 vcc_lo, s58, v12
	s_delay_alu instid0(VALU_DEP_2) | instskip(SKIP_1) | instid1(VALU_DEP_1)
	v_add_nc_u32_e32 v13, 1, v3
	s_wait_alu 0xfffd
	v_dual_cndmask_b32 v12, v3, v13 :: v_dual_mov_b32 v13, v2
.LBB71_17:                              ;   in Loop: Header=BB71_3 Depth=1
	s_wait_alu 0xfffe
	s_or_b32 exec_lo, exec_lo, s0
	s_delay_alu instid0(VALU_DEP_1) | instskip(NEXT) | instid1(VALU_DEP_2)
	v_mul_lo_u32 v3, v13, s58
	v_mul_lo_u32 v20, v12, s59
	s_load_b64 s[0:1], s[50:51], 0xd0
	v_mad_co_u64_u32 v[14:15], null, v12, s58, 0
	s_load_b64 s[58:59], s[52:53], 0xd0
	v_add3_u32 v3, v15, v20, v3
	v_sub_co_u32 v10, vcc_lo, v10, v14
	s_wait_alu 0xfffd
	s_delay_alu instid0(VALU_DEP_2) | instskip(SKIP_1) | instid1(VALU_DEP_1)
	v_sub_co_ci_u32_e64 v3, null, v11, v3, vcc_lo
	s_wait_kmcnt 0x0
	v_mul_lo_u32 v11, s0, v3
	v_mul_lo_u32 v14, s1, v10
	v_mad_co_u64_u32 v[8:9], null, s0, v10, v[8:9]
	v_mul_lo_u32 v3, s58, v3
	v_mul_lo_u32 v15, s59, v10
	v_mad_co_u64_u32 v[6:7], null, s58, v10, v[6:7]
	s_mov_b64 s[0:1], s[40:41]
	v_add3_u32 v9, v14, v9, v11
	v_dual_mov_b32 v10, v12 :: v_dual_mov_b32 v11, v13
	v_add3_u32 v7, v15, v7, v3
	s_and_not1_b32 vcc_lo, exec_lo, s77
	s_wait_alu 0xfffe
	s_cbranch_vccz .LBB71_19
	s_branch .LBB71_29
.LBB71_18:                              ;   in Loop: Header=BB71_3 Depth=1
	s_mov_b64 s[0:1], s[38:39]
	s_and_not1_b32 vcc_lo, exec_lo, s77
	s_wait_alu 0xfffe
	s_cbranch_vccnz .LBB71_29
.LBB71_19:                              ;   in Loop: Header=BB71_3 Depth=1
	s_lshl_b64 s[60:61], s[0:1], 3
	s_add_nc_u64 s[62:63], s[0:1], 1
	s_wait_alu 0xfffe
	s_add_nc_u64 s[58:59], s[54:55], s[60:61]
	s_add_nc_u64 s[60:61], s[22:23], s[60:61]
	s_branch .LBB71_21
.LBB71_20:                              ;   in Loop: Header=BB71_21 Depth=2
	s_wait_alu 0xfffe
	s_or_b32 exec_lo, exec_lo, s0
	v_mul_lo_u32 v3, v13, s64
	v_mul_lo_u32 v24, v12, s65
	v_mad_co_u64_u32 v[20:21], null, v12, s64, 0
	s_load_b64 s[0:1], s[60:61], 0xc8
	s_load_b64 s[64:65], s[58:59], 0x0
	v_mul_lo_u32 v25, v15, s70
	v_mul_lo_u32 v26, v14, s71
	v_mad_co_u64_u32 v[22:23], null, v14, s70, 0
	v_add3_u32 v3, v21, v24, v3
	v_sub_co_u32 v10, vcc_lo, v10, v20
	s_add_nc_u64 s[62:63], s[62:63], -2
	s_add_nc_u64 s[58:59], s[58:59], -16
	s_wait_alu 0xfffd
	v_sub_co_ci_u32_e64 v3, null, v11, v3, vcc_lo
	v_mul_lo_u32 v11, s69, v10
	v_mad_co_u64_u32 v[8:9], null, s68, v10, v[8:9]
	s_delay_alu instid0(VALU_DEP_3)
	v_mul_lo_u32 v20, s68, v3
	v_mul_lo_u32 v21, s67, v10
	v_mad_co_u64_u32 v[6:7], null, s66, v10, v[6:7]
	v_mul_lo_u32 v3, s66, v3
	v_add3_u32 v10, v23, v26, v25
	s_wait_alu 0xfffe
	s_cmp_eq_u64 s[62:63], 0
	s_add_nc_u64 s[60:61], s[60:61], -16
	v_add3_u32 v9, v11, v9, v20
	v_sub_co_u32 v11, vcc_lo, v12, v22
	s_wait_alu 0xfffd
	v_sub_co_ci_u32_e64 v10, null, v13, v10, vcc_lo
	v_add3_u32 v7, v21, v7, v3
	s_wait_kmcnt 0x0
	v_mad_co_u64_u32 v[8:9], null, s0, v11, v[8:9]
	s_delay_alu instid0(VALU_DEP_3) | instskip(SKIP_4) | instid1(VALU_DEP_4)
	v_mul_lo_u32 v3, s0, v10
	v_mul_lo_u32 v12, s1, v11
	v_mul_lo_u32 v10, s64, v10
	v_mul_lo_u32 v13, s65, v11
	v_mad_co_u64_u32 v[6:7], null, s64, v11, v[6:7]
	v_add3_u32 v9, v12, v9, v3
	s_delay_alu instid0(VALU_DEP_2)
	v_add3_u32 v7, v13, v7, v10
	v_dual_mov_b32 v10, v14 :: v_dual_mov_b32 v11, v15
	s_cbranch_scc1 .LBB71_29
.LBB71_21:                              ;   Parent Loop BB71_3 Depth=1
                                        ; =>  This Inner Loop Header: Depth=2
	s_load_b64 s[64:65], s[60:61], 0x8
                                        ; implicit-def: $vgpr12_vgpr13
	s_mov_b32 s0, exec_lo
	s_wait_kmcnt 0x0
	v_or_b32_e32 v3, s65, v11
	s_delay_alu instid0(VALU_DEP_1)
	v_cmpx_ne_u64_e32 0, v[2:3]
	s_wait_alu 0xfffe
	s_xor_b32 s1, exec_lo, s0
	s_cbranch_execz .LBB71_23
; %bb.22:                               ;   in Loop: Header=BB71_21 Depth=2
	s_ashr_i32 s66, s65, 31
	v_ashrrev_i32_e32 v3, 31, v11
	s_wait_alu 0xfffe
	s_mov_b32 s67, s66
	s_wait_alu 0xfffe
	s_add_nc_u64 s[68:69], s[64:65], s[66:67]
	v_add_co_u32 v12, vcc_lo, v10, v3
	s_wait_alu 0xfffe
	s_xor_b64 s[68:69], s[68:69], s[66:67]
	s_wait_alu 0xfffd
	v_add_co_ci_u32_e64 v13, null, v11, v3, vcc_lo
	s_wait_alu 0xfffe
	s_cvt_f32_u32 s0, s68
	s_cvt_f32_u32 s26, s69
	s_sub_nc_u64 s[72:73], 0, s[68:69]
	v_xor_b32_e32 v22, v12, v3
	v_xor_b32_e32 v23, v13, v3
	s_wait_alu 0xfffe
	s_fmamk_f32 s0, s26, 0x4f800000, s0
	v_xor_b32_e32 v3, s66, v3
	s_wait_alu 0xfffe
	s_delay_alu instid0(SALU_CYCLE_1) | instskip(NEXT) | instid1(TRANS32_DEP_1)
	v_s_rcp_f32 s0, s0
	s_mul_f32 s0, s0, 0x5f7ffffc
	s_wait_alu 0xfffe
	s_delay_alu instid0(SALU_CYCLE_2) | instskip(SKIP_1) | instid1(SALU_CYCLE_2)
	s_mul_f32 s26, s0, 0x2f800000
	s_wait_alu 0xfffe
	s_trunc_f32 s26, s26
	s_wait_alu 0xfffe
	s_delay_alu instid0(SALU_CYCLE_2) | instskip(SKIP_2) | instid1(SALU_CYCLE_1)
	s_fmamk_f32 s0, s26, 0xcf800000, s0
	s_cvt_u32_f32 s71, s26
	s_wait_alu 0xfffe
	s_cvt_u32_f32 s70, s0
	s_wait_alu 0xfffe
	s_delay_alu instid0(SALU_CYCLE_2)
	s_mul_u64 s[74:75], s[72:73], s[70:71]
	s_wait_alu 0xfffe
	s_mul_hi_u32 s81, s70, s75
	s_mul_i32 s80, s70, s75
	s_mul_hi_u32 s26, s70, s74
	s_mul_i32 s57, s71, s74
	s_wait_alu 0xfffe
	s_add_nc_u64 s[80:81], s[26:27], s[80:81]
	s_mul_hi_u32 s0, s71, s74
	s_mul_hi_u32 s67, s71, s75
	s_add_co_u32 s26, s80, s57
	s_wait_alu 0xfffe
	s_add_co_ci_u32 s26, s81, s0
	s_mul_i32 s74, s71, s75
	s_add_co_ci_u32 s75, s67, 0
	s_wait_alu 0xfffe
	s_add_nc_u64 s[74:75], s[26:27], s[74:75]
	s_wait_alu 0xfffe
	s_add_co_u32 s70, s70, s74
	s_cselect_b32 s0, -1, 0
	s_wait_alu 0xfffe
	s_cmp_lg_u32 s0, 0
	s_add_co_ci_u32 s71, s71, s75
	s_wait_alu 0xfffe
	s_mul_u64 s[72:73], s[72:73], s[70:71]
	s_wait_alu 0xfffe
	s_mul_hi_u32 s75, s70, s73
	s_mul_i32 s74, s70, s73
	s_mul_hi_u32 s26, s70, s72
	s_mul_i32 s57, s71, s72
	s_wait_alu 0xfffe
	s_add_nc_u64 s[74:75], s[26:27], s[74:75]
	s_mul_hi_u32 s0, s71, s72
	s_mul_hi_u32 s67, s71, s73
	s_wait_alu 0xfffe
	s_add_co_u32 s26, s74, s57
	s_add_co_ci_u32 s26, s75, s0
	s_mul_i32 s72, s71, s73
	s_add_co_ci_u32 s73, s67, 0
	s_wait_alu 0xfffe
	s_add_nc_u64 s[72:73], s[26:27], s[72:73]
	s_wait_alu 0xfffe
	s_add_co_u32 s0, s70, s72
	s_cselect_b32 s26, -1, 0
	s_wait_alu 0xfffe
	v_mul_hi_u32 v24, v22, s0
	s_cmp_lg_u32 s26, 0
	v_mad_co_u64_u32 v[14:15], null, v23, s0, 0
	s_add_co_ci_u32 s26, s71, s73
	s_wait_alu 0xfffe
	v_mad_co_u64_u32 v[12:13], null, v22, s26, 0
	v_mad_co_u64_u32 v[20:21], null, v23, s26, 0
	s_delay_alu instid0(VALU_DEP_2) | instskip(SKIP_1) | instid1(VALU_DEP_3)
	v_add_co_u32 v12, vcc_lo, v24, v12
	s_wait_alu 0xfffd
	v_add_co_ci_u32_e64 v13, null, 0, v13, vcc_lo
	s_delay_alu instid0(VALU_DEP_2) | instskip(SKIP_1) | instid1(VALU_DEP_2)
	v_add_co_u32 v12, vcc_lo, v12, v14
	s_wait_alu 0xfffd
	v_add_co_ci_u32_e32 v12, vcc_lo, v13, v15, vcc_lo
	s_wait_alu 0xfffd
	v_add_co_ci_u32_e32 v13, vcc_lo, 0, v21, vcc_lo
	s_delay_alu instid0(VALU_DEP_2) | instskip(SKIP_1) | instid1(VALU_DEP_2)
	v_add_co_u32 v14, vcc_lo, v12, v20
	s_wait_alu 0xfffd
	v_add_co_ci_u32_e64 v15, null, 0, v13, vcc_lo
	s_delay_alu instid0(VALU_DEP_2) | instskip(SKIP_1) | instid1(VALU_DEP_3)
	v_mul_lo_u32 v20, s69, v14
	v_mad_co_u64_u32 v[12:13], null, s68, v14, 0
	v_mul_lo_u32 v21, s68, v15
	s_delay_alu instid0(VALU_DEP_2) | instskip(NEXT) | instid1(VALU_DEP_2)
	v_sub_co_u32 v12, vcc_lo, v22, v12
	v_add3_u32 v13, v13, v21, v20
	v_add_co_u32 v21, s0, v14, 2
	s_wait_alu 0xf1ff
	v_add_co_ci_u32_e64 v22, null, 0, v15, s0
	s_delay_alu instid0(VALU_DEP_3) | instskip(SKIP_3) | instid1(VALU_DEP_3)
	v_sub_nc_u32_e32 v20, v23, v13
	v_sub_co_u32 v24, s0, v12, s68
	s_wait_alu 0xfffd
	v_sub_co_ci_u32_e64 v13, null, v23, v13, vcc_lo
	v_subrev_co_ci_u32_e64 v20, null, s69, v20, vcc_lo
	s_delay_alu instid0(VALU_DEP_3) | instskip(SKIP_1) | instid1(VALU_DEP_2)
	v_cmp_le_u32_e32 vcc_lo, s68, v24
	s_wait_alu 0xf1ff
	v_subrev_co_ci_u32_e64 v20, null, 0, v20, s0
	s_wait_alu 0xfffd
	v_cndmask_b32_e64 v23, 0, -1, vcc_lo
	s_delay_alu instid0(VALU_DEP_2)
	v_cmp_le_u32_e32 vcc_lo, s69, v20
	s_wait_alu 0xfffd
	v_cndmask_b32_e64 v24, 0, -1, vcc_lo
	v_cmp_le_u32_e32 vcc_lo, s68, v12
	s_wait_alu 0xfffd
	v_cndmask_b32_e64 v12, 0, -1, vcc_lo
	;; [unrolled: 3-line block ×3, first 2 shown]
	v_cmp_eq_u32_e32 vcc_lo, s69, v20
	s_wait_alu 0xfffd
	v_cndmask_b32_e32 v20, v24, v23, vcc_lo
	v_add_co_u32 v23, vcc_lo, v14, 1
	s_wait_alu 0xfffd
	v_add_co_ci_u32_e64 v24, null, 0, v15, vcc_lo
	v_cmp_eq_u32_e32 vcc_lo, s69, v13
	s_wait_alu 0xfffd
	v_cndmask_b32_e32 v12, v25, v12, vcc_lo
	v_cmp_ne_u32_e32 vcc_lo, 0, v20
	s_wait_alu 0xfffd
	v_cndmask_b32_e32 v13, v24, v22, vcc_lo
	s_delay_alu instid0(VALU_DEP_3) | instskip(SKIP_2) | instid1(VALU_DEP_2)
	v_cmp_ne_u32_e64 s0, 0, v12
	v_cndmask_b32_e32 v12, v23, v21, vcc_lo
	s_wait_alu 0xf1ff
	v_cndmask_b32_e64 v13, v15, v13, s0
	s_delay_alu instid0(VALU_DEP_2) | instskip(NEXT) | instid1(VALU_DEP_2)
	v_cndmask_b32_e64 v12, v14, v12, s0
	v_xor_b32_e32 v13, v13, v3
	s_delay_alu instid0(VALU_DEP_2) | instskip(NEXT) | instid1(VALU_DEP_1)
	v_xor_b32_e32 v12, v12, v3
	v_sub_co_u32 v12, vcc_lo, v12, v3
	s_wait_alu 0xfffd
	s_delay_alu instid0(VALU_DEP_3)
	v_sub_co_ci_u32_e64 v13, null, v13, v3, vcc_lo
.LBB71_23:                              ;   in Loop: Header=BB71_21 Depth=2
	s_wait_alu 0xfffe
	s_and_not1_saveexec_b32 s0, s1
	s_cbranch_execz .LBB71_25
; %bb.24:                               ;   in Loop: Header=BB71_21 Depth=2
	v_cvt_f32_u32_e32 v3, s64
	s_sub_co_i32 s1, 0, s64
	s_delay_alu instid0(VALU_DEP_1) | instskip(NEXT) | instid1(TRANS32_DEP_1)
	v_rcp_iflag_f32_e32 v3, v3
	v_mul_f32_e32 v3, 0x4f7ffffe, v3
	s_delay_alu instid0(VALU_DEP_1) | instskip(SKIP_1) | instid1(VALU_DEP_1)
	v_cvt_u32_f32_e32 v3, v3
	s_wait_alu 0xfffe
	v_mul_lo_u32 v12, s1, v3
	s_delay_alu instid0(VALU_DEP_1) | instskip(NEXT) | instid1(VALU_DEP_1)
	v_mul_hi_u32 v12, v3, v12
	v_add_nc_u32_e32 v3, v3, v12
	s_delay_alu instid0(VALU_DEP_1) | instskip(NEXT) | instid1(VALU_DEP_1)
	v_mul_hi_u32 v3, v10, v3
	v_mul_lo_u32 v12, v3, s64
	v_add_nc_u32_e32 v13, 1, v3
	s_delay_alu instid0(VALU_DEP_2) | instskip(NEXT) | instid1(VALU_DEP_1)
	v_sub_nc_u32_e32 v12, v10, v12
	v_subrev_nc_u32_e32 v14, s64, v12
	v_cmp_le_u32_e32 vcc_lo, s64, v12
	s_wait_alu 0xfffd
	s_delay_alu instid0(VALU_DEP_2) | instskip(NEXT) | instid1(VALU_DEP_1)
	v_dual_cndmask_b32 v12, v12, v14 :: v_dual_cndmask_b32 v3, v3, v13
	v_cmp_le_u32_e32 vcc_lo, s64, v12
	s_delay_alu instid0(VALU_DEP_2) | instskip(SKIP_1) | instid1(VALU_DEP_1)
	v_add_nc_u32_e32 v13, 1, v3
	s_wait_alu 0xfffd
	v_dual_cndmask_b32 v12, v3, v13 :: v_dual_mov_b32 v13, v2
.LBB71_25:                              ;   in Loop: Header=BB71_21 Depth=2
	s_wait_alu 0xfffe
	s_or_b32 exec_lo, exec_lo, s0
	s_clause 0x1
	s_load_b64 s[70:71], s[60:61], 0x0
	s_load_b64 s[68:69], s[60:61], 0xd0
	;; [unrolled: 1-line block ×3, first 2 shown]
                                        ; implicit-def: $vgpr14_vgpr15
	s_mov_b32 s0, exec_lo
	s_wait_kmcnt 0x0
	v_or_b32_e32 v3, s71, v13
	s_delay_alu instid0(VALU_DEP_1)
	v_cmpx_ne_u64_e32 0, v[2:3]
	s_wait_alu 0xfffe
	s_xor_b32 s1, exec_lo, s0
	s_cbranch_execz .LBB71_27
; %bb.26:                               ;   in Loop: Header=BB71_21 Depth=2
	s_ashr_i32 s72, s71, 31
	v_ashrrev_i32_e32 v3, 31, v13
	s_wait_alu 0xfffe
	s_mov_b32 s73, s72
	s_wait_alu 0xfffe
	s_add_nc_u64 s[74:75], s[70:71], s[72:73]
	v_add_co_u32 v14, vcc_lo, v12, v3
	s_wait_alu 0xfffe
	s_xor_b64 s[74:75], s[74:75], s[72:73]
	s_wait_alu 0xfffd
	v_add_co_ci_u32_e64 v15, null, v13, v3, vcc_lo
	s_wait_alu 0xfffe
	s_cvt_f32_u32 s0, s74
	s_cvt_f32_u32 s26, s75
	s_sub_nc_u64 s[82:83], 0, s[74:75]
	v_xor_b32_e32 v24, v14, v3
	v_xor_b32_e32 v25, v15, v3
	s_wait_alu 0xfffe
	s_fmamk_f32 s0, s26, 0x4f800000, s0
	v_xor_b32_e32 v3, s72, v3
	s_wait_alu 0xfffe
	s_delay_alu instid0(SALU_CYCLE_1) | instskip(NEXT) | instid1(TRANS32_DEP_1)
	v_s_rcp_f32 s0, s0
	s_mul_f32 s0, s0, 0x5f7ffffc
	s_wait_alu 0xfffe
	s_delay_alu instid0(SALU_CYCLE_2) | instskip(SKIP_1) | instid1(SALU_CYCLE_2)
	s_mul_f32 s26, s0, 0x2f800000
	s_wait_alu 0xfffe
	s_trunc_f32 s26, s26
	s_wait_alu 0xfffe
	s_delay_alu instid0(SALU_CYCLE_2) | instskip(SKIP_2) | instid1(SALU_CYCLE_1)
	s_fmamk_f32 s0, s26, 0xcf800000, s0
	s_cvt_u32_f32 s81, s26
	s_wait_alu 0xfffe
	s_cvt_u32_f32 s80, s0
	s_delay_alu instid0(SALU_CYCLE_3) | instskip(NEXT) | instid1(SALU_CYCLE_1)
	s_mul_u64 s[84:85], s[82:83], s[80:81]
	s_mul_hi_u32 s87, s80, s85
	s_mul_i32 s86, s80, s85
	s_mul_hi_u32 s26, s80, s84
	s_mul_i32 s57, s81, s84
	s_wait_alu 0xfffe
	s_add_nc_u64 s[86:87], s[26:27], s[86:87]
	s_mul_hi_u32 s0, s81, s84
	s_mul_hi_u32 s73, s81, s85
	s_add_co_u32 s26, s86, s57
	s_wait_alu 0xfffe
	s_add_co_ci_u32 s26, s87, s0
	s_mul_i32 s84, s81, s85
	s_add_co_ci_u32 s85, s73, 0
	s_wait_alu 0xfffe
	s_add_nc_u64 s[84:85], s[26:27], s[84:85]
	s_delay_alu instid0(SALU_CYCLE_1) | instskip(SKIP_4) | instid1(SALU_CYCLE_1)
	s_add_co_u32 s80, s80, s84
	s_cselect_b32 s0, -1, 0
	s_wait_alu 0xfffe
	s_cmp_lg_u32 s0, 0
	s_add_co_ci_u32 s81, s81, s85
	s_mul_u64 s[82:83], s[82:83], s[80:81]
	s_delay_alu instid0(SALU_CYCLE_1)
	s_mul_hi_u32 s85, s80, s83
	s_mul_i32 s84, s80, s83
	s_mul_hi_u32 s26, s80, s82
	s_mul_i32 s57, s81, s82
	s_wait_alu 0xfffe
	s_add_nc_u64 s[84:85], s[26:27], s[84:85]
	s_mul_hi_u32 s0, s81, s82
	s_mul_hi_u32 s73, s81, s83
	s_add_co_u32 s26, s84, s57
	s_wait_alu 0xfffe
	s_add_co_ci_u32 s26, s85, s0
	s_mul_i32 s82, s81, s83
	s_add_co_ci_u32 s83, s73, 0
	s_wait_alu 0xfffe
	s_add_nc_u64 s[82:83], s[26:27], s[82:83]
	s_delay_alu instid0(SALU_CYCLE_1)
	s_add_co_u32 s0, s80, s82
	s_cselect_b32 s26, -1, 0
	s_wait_alu 0xfffe
	v_mul_hi_u32 v26, v24, s0
	s_cmp_lg_u32 s26, 0
	v_mad_co_u64_u32 v[20:21], null, v25, s0, 0
	s_add_co_ci_u32 s26, s81, s83
	s_wait_alu 0xfffe
	v_mad_co_u64_u32 v[14:15], null, v24, s26, 0
	v_mad_co_u64_u32 v[22:23], null, v25, s26, 0
	s_delay_alu instid0(VALU_DEP_2) | instskip(SKIP_1) | instid1(VALU_DEP_3)
	v_add_co_u32 v14, vcc_lo, v26, v14
	s_wait_alu 0xfffd
	v_add_co_ci_u32_e64 v15, null, 0, v15, vcc_lo
	s_delay_alu instid0(VALU_DEP_2) | instskip(SKIP_1) | instid1(VALU_DEP_2)
	v_add_co_u32 v14, vcc_lo, v14, v20
	s_wait_alu 0xfffd
	v_add_co_ci_u32_e32 v14, vcc_lo, v15, v21, vcc_lo
	s_wait_alu 0xfffd
	v_add_co_ci_u32_e32 v15, vcc_lo, 0, v23, vcc_lo
	s_delay_alu instid0(VALU_DEP_2) | instskip(SKIP_1) | instid1(VALU_DEP_2)
	v_add_co_u32 v20, vcc_lo, v14, v22
	s_wait_alu 0xfffd
	v_add_co_ci_u32_e64 v21, null, 0, v15, vcc_lo
	s_delay_alu instid0(VALU_DEP_2) | instskip(SKIP_1) | instid1(VALU_DEP_3)
	v_mul_lo_u32 v22, s75, v20
	v_mad_co_u64_u32 v[14:15], null, s74, v20, 0
	v_mul_lo_u32 v23, s74, v21
	s_delay_alu instid0(VALU_DEP_2) | instskip(NEXT) | instid1(VALU_DEP_2)
	v_sub_co_u32 v14, vcc_lo, v24, v14
	v_add3_u32 v15, v15, v23, v22
	v_add_co_u32 v23, s0, v20, 2
	s_wait_alu 0xf1ff
	v_add_co_ci_u32_e64 v24, null, 0, v21, s0
	s_delay_alu instid0(VALU_DEP_3) | instskip(SKIP_3) | instid1(VALU_DEP_3)
	v_sub_nc_u32_e32 v22, v25, v15
	v_sub_co_u32 v26, s0, v14, s74
	s_wait_alu 0xfffd
	v_sub_co_ci_u32_e64 v15, null, v25, v15, vcc_lo
	v_subrev_co_ci_u32_e64 v22, null, s75, v22, vcc_lo
	s_delay_alu instid0(VALU_DEP_3) | instskip(SKIP_1) | instid1(VALU_DEP_2)
	v_cmp_le_u32_e32 vcc_lo, s74, v26
	s_wait_alu 0xf1ff
	v_subrev_co_ci_u32_e64 v22, null, 0, v22, s0
	s_wait_alu 0xfffd
	v_cndmask_b32_e64 v25, 0, -1, vcc_lo
	s_delay_alu instid0(VALU_DEP_2)
	v_cmp_le_u32_e32 vcc_lo, s75, v22
	s_wait_alu 0xfffd
	v_cndmask_b32_e64 v26, 0, -1, vcc_lo
	v_cmp_le_u32_e32 vcc_lo, s74, v14
	s_wait_alu 0xfffd
	v_cndmask_b32_e64 v14, 0, -1, vcc_lo
	;; [unrolled: 3-line block ×3, first 2 shown]
	v_cmp_eq_u32_e32 vcc_lo, s75, v22
	s_wait_alu 0xfffd
	v_cndmask_b32_e32 v22, v26, v25, vcc_lo
	v_add_co_u32 v25, vcc_lo, v20, 1
	s_wait_alu 0xfffd
	v_add_co_ci_u32_e64 v26, null, 0, v21, vcc_lo
	v_cmp_eq_u32_e32 vcc_lo, s75, v15
	s_wait_alu 0xfffd
	v_cndmask_b32_e32 v14, v27, v14, vcc_lo
	v_cmp_ne_u32_e32 vcc_lo, 0, v22
	s_wait_alu 0xfffd
	v_cndmask_b32_e32 v15, v26, v24, vcc_lo
	s_delay_alu instid0(VALU_DEP_3) | instskip(SKIP_2) | instid1(VALU_DEP_2)
	v_cmp_ne_u32_e64 s0, 0, v14
	v_cndmask_b32_e32 v14, v25, v23, vcc_lo
	s_wait_alu 0xf1ff
	v_cndmask_b32_e64 v15, v21, v15, s0
	s_delay_alu instid0(VALU_DEP_2) | instskip(NEXT) | instid1(VALU_DEP_2)
	v_cndmask_b32_e64 v14, v20, v14, s0
	v_xor_b32_e32 v15, v15, v3
	s_delay_alu instid0(VALU_DEP_2) | instskip(NEXT) | instid1(VALU_DEP_1)
	v_xor_b32_e32 v14, v14, v3
	v_sub_co_u32 v14, vcc_lo, v14, v3
	s_wait_alu 0xfffd
	s_delay_alu instid0(VALU_DEP_3)
	v_sub_co_ci_u32_e64 v15, null, v15, v3, vcc_lo
.LBB71_27:                              ;   in Loop: Header=BB71_21 Depth=2
	s_wait_alu 0xfffe
	s_and_not1_saveexec_b32 s0, s1
	s_cbranch_execz .LBB71_20
; %bb.28:                               ;   in Loop: Header=BB71_21 Depth=2
	v_cvt_f32_u32_e32 v3, s70
	s_sub_co_i32 s1, 0, s70
	s_delay_alu instid0(VALU_DEP_1) | instskip(NEXT) | instid1(TRANS32_DEP_1)
	v_rcp_iflag_f32_e32 v3, v3
	v_mul_f32_e32 v3, 0x4f7ffffe, v3
	s_delay_alu instid0(VALU_DEP_1) | instskip(SKIP_1) | instid1(VALU_DEP_1)
	v_cvt_u32_f32_e32 v3, v3
	s_wait_alu 0xfffe
	v_mul_lo_u32 v14, s1, v3
	s_delay_alu instid0(VALU_DEP_1) | instskip(NEXT) | instid1(VALU_DEP_1)
	v_mul_hi_u32 v14, v3, v14
	v_add_nc_u32_e32 v3, v3, v14
	s_delay_alu instid0(VALU_DEP_1) | instskip(NEXT) | instid1(VALU_DEP_1)
	v_mul_hi_u32 v3, v12, v3
	v_mul_lo_u32 v14, v3, s70
	v_add_nc_u32_e32 v15, 1, v3
	s_delay_alu instid0(VALU_DEP_2) | instskip(NEXT) | instid1(VALU_DEP_1)
	v_sub_nc_u32_e32 v14, v12, v14
	v_subrev_nc_u32_e32 v20, s70, v14
	v_cmp_le_u32_e32 vcc_lo, s70, v14
	s_wait_alu 0xfffd
	s_delay_alu instid0(VALU_DEP_2) | instskip(NEXT) | instid1(VALU_DEP_1)
	v_dual_cndmask_b32 v14, v14, v20 :: v_dual_cndmask_b32 v3, v3, v15
	v_cmp_le_u32_e32 vcc_lo, s70, v14
	s_delay_alu instid0(VALU_DEP_2) | instskip(SKIP_1) | instid1(VALU_DEP_1)
	v_add_nc_u32_e32 v15, 1, v3
	s_wait_alu 0xfffd
	v_dual_cndmask_b32 v14, v3, v15 :: v_dual_mov_b32 v15, v2
	s_branch .LBB71_20
.LBB71_29:                              ;   in Loop: Header=BB71_3 Depth=1
	v_sub_co_u32 v10, vcc_lo, v4, v18
	s_wait_alu 0xfffd
	v_sub_co_ci_u32_e64 v11, null, v5, v19, vcc_lo
	v_mov_b32_e32 v3, 0
	s_delay_alu instid0(VALU_DEP_3) | instskip(SKIP_1) | instid1(VALU_DEP_3)
	v_add_co_u32 v12, vcc_lo, v10, 4
	s_wait_alu 0xfffd
	v_add_co_ci_u32_e64 v13, null, 0, v11, vcc_lo
	s_delay_alu instid0(VALU_DEP_1)
	v_cmp_le_i64_e32 vcc_lo, s[4:5], v[12:13]
	v_mov_b32_e32 v12, 0
	s_and_saveexec_b32 s0, vcc_lo
	s_cbranch_execz .LBB71_39
; %bb.30:                               ;   in Loop: Header=BB71_3 Depth=1
	v_dual_mov_b32 v3, 0 :: v_dual_mov_b32 v12, 0
	s_mov_b32 s1, exec_lo
	v_cmpx_gt_i64_e64 s[10:11], v[4:5]
	s_cbranch_execz .LBB71_38
; %bb.31:                               ;   in Loop: Header=BB71_3 Depth=1
	v_lshlrev_b64_e32 v[8:9], 1, v[8:9]
	v_mov_b32_e32 v3, v2
	s_delay_alu instid0(VALU_DEP_2) | instskip(SKIP_1) | instid1(VALU_DEP_3)
	v_add_co_u32 v8, vcc_lo, s20, v8
	s_wait_alu 0xfffd
	v_add_co_ci_u32_e64 v9, null, s21, v9, vcc_lo
	v_add_co_u32 v12, vcc_lo, v4, 1
	s_wait_alu 0xfffd
	v_add_co_ci_u32_e64 v13, null, 0, v5, vcc_lo
	s_delay_alu instid0(VALU_DEP_1)
	v_cmp_gt_i64_e32 vcc_lo, s[10:11], v[12:13]
	v_mov_b32_e32 v12, 0
	global_load_d16_b16 v3, v[8:9], off
	s_and_saveexec_b32 s26, vcc_lo
	s_wait_alu 0xfffe
	s_xor_b32 s26, exec_lo, s26
	s_cbranch_execz .LBB71_37
; %bb.32:                               ;   in Loop: Header=BB71_3 Depth=1
	s_lshl_b64 s[58:59], s[18:19], 1
	s_wait_alu 0xfffe
	v_add_co_u32 v12, vcc_lo, v8, s58
	s_wait_alu 0xfffd
	v_add_co_ci_u32_e64 v13, null, s59, v9, vcc_lo
	s_wait_loadcnt 0x0
	global_load_d16_hi_b16 v3, v[12:13], off
	v_add_co_u32 v12, vcc_lo, v4, 2
	s_wait_alu 0xfffd
	v_add_co_ci_u32_e64 v13, null, 0, v5, vcc_lo
	s_delay_alu instid0(VALU_DEP_1)
	v_cmp_gt_i64_e32 vcc_lo, s[10:11], v[12:13]
	v_mov_b32_e32 v12, 0
	s_and_saveexec_b32 s57, vcc_lo
	s_wait_alu 0xfffe
	s_xor_b32 s57, exec_lo, s57
	s_cbranch_execz .LBB71_36
; %bb.33:                               ;   in Loop: Header=BB71_3 Depth=1
	v_add_co_u32 v13, vcc_lo, v8, s46
	s_wait_alu 0xfffd
	v_add_co_ci_u32_e64 v14, null, s47, v9, vcc_lo
	v_mov_b32_e32 v12, v2
	s_mov_b32 s58, exec_lo
	global_load_d16_b16 v12, v[13:14], off
	v_add_co_u32 v13, vcc_lo, v4, 3
	s_wait_alu 0xfffd
	v_add_co_ci_u32_e64 v14, null, 0, v5, vcc_lo
	s_delay_alu instid0(VALU_DEP_1)
	v_cmpx_gt_i64_e64 s[10:11], v[13:14]
	s_wait_alu 0xfffe
	s_xor_b32 s58, exec_lo, s58
	s_cbranch_execz .LBB71_35
; %bb.34:                               ;   in Loop: Header=BB71_3 Depth=1
	v_add_co_u32 v8, vcc_lo, v8, s48
	s_wait_alu 0xfffd
	v_add_co_ci_u32_e64 v9, null, s49, v9, vcc_lo
	s_wait_loadcnt 0x0
	global_load_d16_hi_b16 v12, v[8:9], off
.LBB71_35:                              ;   in Loop: Header=BB71_3 Depth=1
	s_wait_alu 0xfffe
	s_or_b32 exec_lo, exec_lo, s58
.LBB71_36:                              ;   in Loop: Header=BB71_3 Depth=1
	s_wait_alu 0xfffe
	s_or_b32 exec_lo, exec_lo, s57
.LBB71_37:                              ;   in Loop: Header=BB71_3 Depth=1
	s_wait_alu 0xfffe
	s_or_b32 exec_lo, exec_lo, s26
.LBB71_38:                              ;   in Loop: Header=BB71_3 Depth=1
	s_wait_alu 0xfffe
	s_or_b32 exec_lo, exec_lo, s1
	v_add_co_u32 v8, vcc_lo, v10, 1
	s_wait_alu 0xfffd
	v_add_co_ci_u32_e64 v9, null, 0, v11, vcc_lo
	v_add_co_u32 v13, vcc_lo, v10, 2
	s_wait_alu 0xfffd
	v_add_co_ci_u32_e64 v14, null, 0, v11, vcc_lo
	;; [unrolled: 3-line block ×3, first 2 shown]
	s_delay_alu instid0(VALU_DEP_3)
	v_cmp_le_i64_e32 vcc_lo, s[34:35], v[13:14]
	s_wait_loadcnt 0x0
	v_lshrrev_b32_e32 v14, 16, v3
	s_wait_alu 0xfffd
	v_cndmask_b32_e32 v13, 0, v12, vcc_lo
	v_cmp_le_i64_e32 vcc_lo, s[28:29], v[10:11]
	v_lshrrev_b32_e32 v12, 16, v12
	s_wait_alu 0xfffd
	v_cndmask_b32_e32 v3, 0, v3, vcc_lo
	v_cmp_le_i64_e32 vcc_lo, s[30:31], v[8:9]
	s_wait_alu 0xfffd
	v_cndmask_b32_e32 v8, 0, v14, vcc_lo
	v_cmp_le_i64_e32 vcc_lo, s[36:37], v[18:19]
	s_wait_alu 0xfffd
	v_cndmask_b32_e32 v9, 0, v12, vcc_lo
	s_delay_alu instid0(VALU_DEP_3) | instskip(NEXT) | instid1(VALU_DEP_2)
	v_perm_b32 v12, v8, v3, 0x5040100
	v_perm_b32 v3, v9, v13, 0x5040100
.LBB71_39:                              ;   in Loop: Header=BB71_3 Depth=1
	s_wait_alu 0xfffe
	s_or_b32 exec_lo, exec_lo, s0
	s_delay_alu instid0(SALU_CYCLE_1)
	s_mov_b32 s0, exec_lo
	v_cmpx_gt_i64_e64 s[10:11], v[4:5]
	s_cbranch_execz .LBB71_2
; %bb.40:                               ;   in Loop: Header=BB71_3 Depth=1
	v_lshlrev_b64_e32 v[6:7], 1, v[6:7]
	v_add_co_u32 v8, vcc_lo, v4, 1
	s_wait_alu 0xfffd
	v_add_co_ci_u32_e64 v9, null, 0, v5, vcc_lo
	s_mov_b32 s1, exec_lo
	v_add_co_u32 v6, vcc_lo, s24, v6
	s_wait_alu 0xfffd
	v_add_co_ci_u32_e64 v7, null, s25, v7, vcc_lo
	global_store_b16 v[6:7], v12, off
	v_cmpx_gt_i64_e64 s[10:11], v[8:9]
	s_wait_alu 0xfffe
	s_xor_b32 s1, exec_lo, s1
	s_cbranch_execz .LBB71_2
; %bb.41:                               ;   in Loop: Header=BB71_3 Depth=1
	s_lshl_b64 s[58:59], s[14:15], 1
	v_add_co_u32 v8, vcc_lo, v4, 2
	s_wait_alu 0xfffd
	v_add_co_ci_u32_e64 v9, null, 0, v5, vcc_lo
	s_wait_alu 0xfffe
	v_add_co_u32 v10, vcc_lo, v6, s58
	s_wait_alu 0xfffd
	v_add_co_ci_u32_e64 v11, null, s59, v7, vcc_lo
	s_mov_b32 s1, exec_lo
	global_store_d16_hi_b16 v[10:11], v12, off
	v_cmpx_gt_i64_e64 s[10:11], v[8:9]
	s_wait_alu 0xfffe
	s_xor_b32 s1, exec_lo, s1
	s_cbranch_execz .LBB71_2
; %bb.42:                               ;   in Loop: Header=BB71_3 Depth=1
	v_add_co_u32 v4, vcc_lo, v4, 3
	s_wait_alu 0xfffd
	v_add_co_ci_u32_e64 v5, null, 0, v5, vcc_lo
	v_add_co_u32 v8, vcc_lo, v6, s42
	s_wait_alu 0xfffd
	v_add_co_ci_u32_e64 v9, null, s43, v7, vcc_lo
	s_mov_b32 s1, exec_lo
	global_store_b16 v[8:9], v3, off
	v_cmpx_gt_i64_e64 s[10:11], v[4:5]
	s_wait_alu 0xfffe
	s_xor_b32 s1, exec_lo, s1
	s_cbranch_execz .LBB71_2
; %bb.43:                               ;   in Loop: Header=BB71_3 Depth=1
	v_add_co_u32 v4, vcc_lo, v6, s44
	s_wait_alu 0xfffd
	v_add_co_ci_u32_e64 v5, null, s45, v7, vcc_lo
	global_store_d16_hi_b16 v[4:5], v3, off
	s_branch .LBB71_2
.LBB71_44:
	s_endpgm
	.section	.rodata,"a",@progbits
	.p2align	6, 0x0
	.amdhsa_kernel _ZN2at6native16triu_tril_kernelIslLb1ELi4ELb0EEEvNS_4cuda6detail10TensorInfoIT_T0_EENS4_IKS5_S6_EEllS6_
		.amdhsa_group_segment_fixed_size 0
		.amdhsa_private_segment_fixed_size 0
		.amdhsa_kernarg_size 1112
		.amdhsa_user_sgpr_count 2
		.amdhsa_user_sgpr_dispatch_ptr 0
		.amdhsa_user_sgpr_queue_ptr 0
		.amdhsa_user_sgpr_kernarg_segment_ptr 1
		.amdhsa_user_sgpr_dispatch_id 0
		.amdhsa_user_sgpr_private_segment_size 0
		.amdhsa_wavefront_size32 1
		.amdhsa_uses_dynamic_stack 0
		.amdhsa_enable_private_segment 0
		.amdhsa_system_sgpr_workgroup_id_x 1
		.amdhsa_system_sgpr_workgroup_id_y 0
		.amdhsa_system_sgpr_workgroup_id_z 0
		.amdhsa_system_sgpr_workgroup_info 0
		.amdhsa_system_vgpr_workitem_id 0
		.amdhsa_next_free_vgpr 28
		.amdhsa_next_free_sgpr 88
		.amdhsa_reserve_vcc 1
		.amdhsa_float_round_mode_32 0
		.amdhsa_float_round_mode_16_64 0
		.amdhsa_float_denorm_mode_32 3
		.amdhsa_float_denorm_mode_16_64 3
		.amdhsa_fp16_overflow 0
		.amdhsa_workgroup_processor_mode 1
		.amdhsa_memory_ordered 1
		.amdhsa_forward_progress 1
		.amdhsa_inst_pref_size 55
		.amdhsa_round_robin_scheduling 0
		.amdhsa_exception_fp_ieee_invalid_op 0
		.amdhsa_exception_fp_denorm_src 0
		.amdhsa_exception_fp_ieee_div_zero 0
		.amdhsa_exception_fp_ieee_overflow 0
		.amdhsa_exception_fp_ieee_underflow 0
		.amdhsa_exception_fp_ieee_inexact 0
		.amdhsa_exception_int_div_zero 0
	.end_amdhsa_kernel
	.section	.text._ZN2at6native16triu_tril_kernelIslLb1ELi4ELb0EEEvNS_4cuda6detail10TensorInfoIT_T0_EENS4_IKS5_S6_EEllS6_,"axG",@progbits,_ZN2at6native16triu_tril_kernelIslLb1ELi4ELb0EEEvNS_4cuda6detail10TensorInfoIT_T0_EENS4_IKS5_S6_EEllS6_,comdat
.Lfunc_end71:
	.size	_ZN2at6native16triu_tril_kernelIslLb1ELi4ELb0EEEvNS_4cuda6detail10TensorInfoIT_T0_EENS4_IKS5_S6_EEllS6_, .Lfunc_end71-_ZN2at6native16triu_tril_kernelIslLb1ELi4ELb0EEEvNS_4cuda6detail10TensorInfoIT_T0_EENS4_IKS5_S6_EEllS6_
                                        ; -- End function
	.set _ZN2at6native16triu_tril_kernelIslLb1ELi4ELb0EEEvNS_4cuda6detail10TensorInfoIT_T0_EENS4_IKS5_S6_EEllS6_.num_vgpr, 28
	.set _ZN2at6native16triu_tril_kernelIslLb1ELi4ELb0EEEvNS_4cuda6detail10TensorInfoIT_T0_EENS4_IKS5_S6_EEllS6_.num_agpr, 0
	.set _ZN2at6native16triu_tril_kernelIslLb1ELi4ELb0EEEvNS_4cuda6detail10TensorInfoIT_T0_EENS4_IKS5_S6_EEllS6_.numbered_sgpr, 88
	.set _ZN2at6native16triu_tril_kernelIslLb1ELi4ELb0EEEvNS_4cuda6detail10TensorInfoIT_T0_EENS4_IKS5_S6_EEllS6_.num_named_barrier, 0
	.set _ZN2at6native16triu_tril_kernelIslLb1ELi4ELb0EEEvNS_4cuda6detail10TensorInfoIT_T0_EENS4_IKS5_S6_EEllS6_.private_seg_size, 0
	.set _ZN2at6native16triu_tril_kernelIslLb1ELi4ELb0EEEvNS_4cuda6detail10TensorInfoIT_T0_EENS4_IKS5_S6_EEllS6_.uses_vcc, 1
	.set _ZN2at6native16triu_tril_kernelIslLb1ELi4ELb0EEEvNS_4cuda6detail10TensorInfoIT_T0_EENS4_IKS5_S6_EEllS6_.uses_flat_scratch, 0
	.set _ZN2at6native16triu_tril_kernelIslLb1ELi4ELb0EEEvNS_4cuda6detail10TensorInfoIT_T0_EENS4_IKS5_S6_EEllS6_.has_dyn_sized_stack, 0
	.set _ZN2at6native16triu_tril_kernelIslLb1ELi4ELb0EEEvNS_4cuda6detail10TensorInfoIT_T0_EENS4_IKS5_S6_EEllS6_.has_recursion, 0
	.set _ZN2at6native16triu_tril_kernelIslLb1ELi4ELb0EEEvNS_4cuda6detail10TensorInfoIT_T0_EENS4_IKS5_S6_EEllS6_.has_indirect_call, 0
	.section	.AMDGPU.csdata,"",@progbits
; Kernel info:
; codeLenInByte = 6996
; TotalNumSgprs: 90
; NumVgprs: 28
; ScratchSize: 0
; MemoryBound: 0
; FloatMode: 240
; IeeeMode: 1
; LDSByteSize: 0 bytes/workgroup (compile time only)
; SGPRBlocks: 0
; VGPRBlocks: 3
; NumSGPRsForWavesPerEU: 90
; NumVGPRsForWavesPerEU: 28
; Occupancy: 16
; WaveLimiterHint : 0
; COMPUTE_PGM_RSRC2:SCRATCH_EN: 0
; COMPUTE_PGM_RSRC2:USER_SGPR: 2
; COMPUTE_PGM_RSRC2:TRAP_HANDLER: 0
; COMPUTE_PGM_RSRC2:TGID_X_EN: 1
; COMPUTE_PGM_RSRC2:TGID_Y_EN: 0
; COMPUTE_PGM_RSRC2:TGID_Z_EN: 0
; COMPUTE_PGM_RSRC2:TIDIG_COMP_CNT: 0
	.section	.text._ZN2at6native16triu_tril_kernelIdiLb1ELi2ELb1EEEvNS_4cuda6detail10TensorInfoIT_T0_EENS4_IKS5_S6_EEllS6_,"axG",@progbits,_ZN2at6native16triu_tril_kernelIdiLb1ELi2ELb1EEEvNS_4cuda6detail10TensorInfoIT_T0_EENS4_IKS5_S6_EEllS6_,comdat
	.protected	_ZN2at6native16triu_tril_kernelIdiLb1ELi2ELb1EEEvNS_4cuda6detail10TensorInfoIT_T0_EENS4_IKS5_S6_EEllS6_ ; -- Begin function _ZN2at6native16triu_tril_kernelIdiLb1ELi2ELb1EEEvNS_4cuda6detail10TensorInfoIT_T0_EENS4_IKS5_S6_EEllS6_
	.globl	_ZN2at6native16triu_tril_kernelIdiLb1ELi2ELb1EEEvNS_4cuda6detail10TensorInfoIT_T0_EENS4_IKS5_S6_EEllS6_
	.p2align	8
	.type	_ZN2at6native16triu_tril_kernelIdiLb1ELi2ELb1EEEvNS_4cuda6detail10TensorInfoIT_T0_EENS4_IKS5_S6_EEllS6_,@function
_ZN2at6native16triu_tril_kernelIdiLb1ELi2ELb1EEEvNS_4cuda6detail10TensorInfoIT_T0_EENS4_IKS5_S6_EEllS6_: ; @_ZN2at6native16triu_tril_kernelIdiLb1ELi2ELb1EEEvNS_4cuda6detail10TensorInfoIT_T0_EENS4_IKS5_S6_EEllS6_
; %bb.0:
	s_clause 0x1
	s_load_b32 s2, s[0:1], 0x1d4
	s_load_b128 s[4:7], s[0:1], 0x1b0
	v_mov_b32_e32 v2, 0
	s_mov_b32 s3, exec_lo
	s_delay_alu instid0(VALU_DEP_1)
	v_mov_b32_e32 v1, v2
	s_wait_kmcnt 0x0
	s_and_b32 s2, s2, 0xffff
	s_delay_alu instid0(VALU_DEP_1) | instid1(SALU_CYCLE_1)
	v_mad_co_u64_u32 v[0:1], null, s2, ttmp9, v[0:1]
	s_delay_alu instid0(VALU_DEP_1) | instskip(NEXT) | instid1(VALU_DEP_1)
	v_lshlrev_b64_e32 v[0:1], 1, v[0:1]
	v_cmpx_gt_i64_e64 s[6:7], v[0:1]
	s_cbranch_execz .LBB72_60
; %bb.1:
	s_clause 0x1
	s_load_b32 s20, s[0:1], 0x1a8
	s_load_b32 s8, s[0:1], 0x1c0
	s_add_nc_u64 s[12:13], s[0:1], 0x1c8
	s_add_nc_u64 s[10:11], s[0:1], 0xd8
	s_load_b32 s3, s[12:13], 0x0
	s_mov_b32 s19, 0
	s_mov_b32 s57, 0
	s_wait_kmcnt 0x0
	s_ashr_i32 s21, s20, 31
	v_cvt_f32_u32_e32 v3, s8
	s_lshl_b64 s[22:23], s[20:21], 2
	s_add_co_i32 s9, s20, 6
	s_add_nc_u64 s[12:13], s[10:11], s[22:23]
	s_mul_i32 s3, s3, s2
	s_clause 0x1
	s_load_b32 s14, s[12:13], 0x0
	s_load_b64 s[16:17], s[0:1], 0x0
	v_rcp_iflag_f32_e32 v3, v3
	s_and_b32 s18, s20, 7
	s_add_co_i32 s33, s20, -3
	s_and_b32 s52, s9, 7
	s_lshl_b32 s53, s3, 1
	s_ashr_i32 s9, s8, 31
	v_cmp_gt_i64_e64 s56, s[20:21], 2
	s_add_nc_u64 s[20:21], s[0:1], s[22:23]
	s_wait_kmcnt 0x0
	v_cvt_f32_u32_e32 v4, s14
	s_ashr_i32 s15, s14, 31
	s_cmp_lg_u32 s18, 2
	s_cselect_b32 s54, -1, 0
	s_delay_alu instid0(VALU_DEP_1)
	v_rcp_iflag_f32_e32 v4, v4
	v_mul_f32_e32 v3, 0x4f7ffffe, v3
	s_cmp_gt_u32 s33, 6
	s_cselect_b32 s55, -1, 0
	s_sub_co_i32 s2, 0, s8
	s_wait_alu 0xfffe
	s_ashr_i32 s22, s9, 31
	s_ashr_i32 s24, s15, 31
	s_delay_alu instid0(TRANS32_DEP_1) | instskip(SKIP_1) | instid1(VALU_DEP_2)
	v_mul_f32_e32 v4, 0x4f7ffffe, v4
	v_cvt_u32_f32_e32 v3, v3
	v_cvt_u32_f32_e32 v24, v4
	s_delay_alu instid0(VALU_DEP_2) | instskip(NEXT) | instid1(VALU_DEP_1)
	v_mul_lo_u32 v5, s2, v3
	v_mul_hi_u32 v5, v3, v5
	s_delay_alu instid0(VALU_DEP_1)
	v_add_nc_u32_e32 v25, v3, v5
	s_branch .LBB72_3
.LBB72_2:                               ;   in Loop: Header=BB72_3 Depth=1
	s_wait_alu 0xfffe
	s_or_b32 exec_lo, exec_lo, s23
	v_add_co_u32 v0, vcc_lo, v0, s53
	s_wait_alu 0xfffd
	v_add_co_ci_u32_e64 v1, null, 0, v1, vcc_lo
	s_delay_alu instid0(VALU_DEP_1) | instskip(SKIP_1) | instid1(SALU_CYCLE_1)
	v_cmp_le_i64_e32 vcc_lo, s[6:7], v[0:1]
	s_or_b32 s57, vcc_lo, s57
	s_and_not1_b32 exec_lo, exec_lo, s57
	s_cbranch_execz .LBB72_60
.LBB72_3:                               ; =>This Loop Header: Depth=1
                                        ;     Child Loop BB72_16 Depth 2
                                        ;     Child Loop BB72_22 Depth 2
	v_or_b32_e32 v3, s9, v1
                                        ; implicit-def: $vgpr4_vgpr5
	s_mov_b32 s2, exec_lo
	s_delay_alu instid0(VALU_DEP_1)
	v_cmpx_ne_u64_e32 0, v[2:3]
	s_wait_alu 0xfffe
	s_xor_b32 s3, exec_lo, s2
	s_cbranch_execz .LBB72_5
; %bb.4:                                ;   in Loop: Header=BB72_3 Depth=1
	s_mov_b32 s23, s22
	v_ashrrev_i32_e32 v9, 31, v1
	s_wait_alu 0xfffe
	s_add_nc_u64 s[26:27], s[8:9], s[22:23]
	s_wait_alu 0xfffe
	s_xor_b64 s[26:27], s[26:27], s[22:23]
	v_add_co_u32 v3, vcc_lo, v0, v9
	s_wait_alu 0xfffe
	s_cvt_f32_u32 s2, s26
	s_cvt_f32_u32 s18, s27
	s_sub_nc_u64 s[30:31], 0, s[26:27]
	s_wait_alu 0xfffd
	v_add_co_ci_u32_e64 v4, null, v1, v9, vcc_lo
	s_wait_alu 0xfffe
	s_fmamk_f32 s2, s18, 0x4f800000, s2
	v_xor_b32_e32 v10, v3, v9
	s_delay_alu instid0(VALU_DEP_2) | instskip(SKIP_2) | instid1(TRANS32_DEP_1)
	v_xor_b32_e32 v11, v4, v9
	s_wait_alu 0xfffe
	v_s_rcp_f32 s2, s2
	s_mul_f32 s2, s2, 0x5f7ffffc
	s_wait_alu 0xfffe
	s_delay_alu instid0(SALU_CYCLE_2) | instskip(SKIP_1) | instid1(SALU_CYCLE_2)
	s_mul_f32 s18, s2, 0x2f800000
	s_wait_alu 0xfffe
	s_trunc_f32 s18, s18
	s_wait_alu 0xfffe
	s_delay_alu instid0(SALU_CYCLE_2) | instskip(SKIP_2) | instid1(SALU_CYCLE_1)
	s_fmamk_f32 s2, s18, 0xcf800000, s2
	s_cvt_u32_f32 s29, s18
	s_wait_alu 0xfffe
	s_cvt_u32_f32 s28, s2
	s_wait_alu 0xfffe
	s_delay_alu instid0(SALU_CYCLE_2)
	s_mul_u64 s[34:35], s[30:31], s[28:29]
	s_wait_alu 0xfffe
	s_mul_hi_u32 s37, s28, s35
	s_mul_i32 s36, s28, s35
	s_mul_hi_u32 s18, s28, s34
	s_mul_i32 s23, s29, s34
	s_wait_alu 0xfffe
	s_add_nc_u64 s[36:37], s[18:19], s[36:37]
	s_mul_hi_u32 s2, s29, s34
	s_mul_hi_u32 s25, s29, s35
	s_wait_alu 0xfffe
	s_add_co_u32 s18, s36, s23
	s_add_co_ci_u32 s18, s37, s2
	s_mul_i32 s34, s29, s35
	s_add_co_ci_u32 s35, s25, 0
	s_wait_alu 0xfffe
	s_add_nc_u64 s[34:35], s[18:19], s[34:35]
	s_wait_alu 0xfffe
	s_add_co_u32 s28, s28, s34
	s_cselect_b32 s2, -1, 0
	s_wait_alu 0xfffe
	s_cmp_lg_u32 s2, 0
	s_add_co_ci_u32 s29, s29, s35
	s_wait_alu 0xfffe
	s_mul_u64 s[30:31], s[30:31], s[28:29]
	s_wait_alu 0xfffe
	s_mul_hi_u32 s35, s28, s31
	s_mul_i32 s34, s28, s31
	s_mul_hi_u32 s18, s28, s30
	s_mul_i32 s23, s29, s30
	s_wait_alu 0xfffe
	s_add_nc_u64 s[34:35], s[18:19], s[34:35]
	s_mul_hi_u32 s2, s29, s30
	s_mul_hi_u32 s25, s29, s31
	s_wait_alu 0xfffe
	s_add_co_u32 s18, s34, s23
	s_add_co_ci_u32 s18, s35, s2
	s_mul_i32 s30, s29, s31
	s_add_co_ci_u32 s31, s25, 0
	s_wait_alu 0xfffe
	s_add_nc_u64 s[30:31], s[18:19], s[30:31]
	s_wait_alu 0xfffe
	s_add_co_u32 s2, s28, s30
	s_cselect_b32 s18, -1, 0
	s_wait_alu 0xfffe
	v_mul_hi_u32 v12, v10, s2
	s_cmp_lg_u32 s18, 0
	v_mad_co_u64_u32 v[5:6], null, v11, s2, 0
	s_add_co_ci_u32 s18, s29, s31
	s_wait_alu 0xfffe
	v_mad_co_u64_u32 v[3:4], null, v10, s18, 0
	v_mad_co_u64_u32 v[7:8], null, v11, s18, 0
	s_delay_alu instid0(VALU_DEP_2) | instskip(SKIP_1) | instid1(VALU_DEP_3)
	v_add_co_u32 v3, vcc_lo, v12, v3
	s_wait_alu 0xfffd
	v_add_co_ci_u32_e64 v4, null, 0, v4, vcc_lo
	s_delay_alu instid0(VALU_DEP_2) | instskip(SKIP_1) | instid1(VALU_DEP_2)
	v_add_co_u32 v3, vcc_lo, v3, v5
	s_wait_alu 0xfffd
	v_add_co_ci_u32_e32 v3, vcc_lo, v4, v6, vcc_lo
	s_wait_alu 0xfffd
	v_add_co_ci_u32_e32 v4, vcc_lo, 0, v8, vcc_lo
	s_delay_alu instid0(VALU_DEP_2) | instskip(SKIP_1) | instid1(VALU_DEP_2)
	v_add_co_u32 v5, vcc_lo, v3, v7
	s_wait_alu 0xfffd
	v_add_co_ci_u32_e64 v6, null, 0, v4, vcc_lo
	s_delay_alu instid0(VALU_DEP_2) | instskip(SKIP_1) | instid1(VALU_DEP_3)
	v_mul_lo_u32 v7, s27, v5
	v_mad_co_u64_u32 v[3:4], null, s26, v5, 0
	v_mul_lo_u32 v8, s26, v6
	s_delay_alu instid0(VALU_DEP_2) | instskip(NEXT) | instid1(VALU_DEP_2)
	v_sub_co_u32 v3, vcc_lo, v10, v3
	v_add3_u32 v4, v4, v8, v7
	v_add_co_u32 v8, s2, v5, 2
	s_wait_alu 0xf1ff
	v_add_co_ci_u32_e64 v10, null, 0, v6, s2
	s_delay_alu instid0(VALU_DEP_3) | instskip(SKIP_3) | instid1(VALU_DEP_3)
	v_sub_nc_u32_e32 v7, v11, v4
	v_sub_co_u32 v12, s2, v3, s26
	s_wait_alu 0xfffd
	v_sub_co_ci_u32_e64 v4, null, v11, v4, vcc_lo
	v_subrev_co_ci_u32_e64 v7, null, s27, v7, vcc_lo
	s_delay_alu instid0(VALU_DEP_3) | instskip(SKIP_1) | instid1(VALU_DEP_2)
	v_cmp_le_u32_e32 vcc_lo, s26, v12
	s_wait_alu 0xf1ff
	v_subrev_co_ci_u32_e64 v7, null, 0, v7, s2
	s_wait_alu 0xfffd
	v_cndmask_b32_e64 v11, 0, -1, vcc_lo
	s_delay_alu instid0(VALU_DEP_2)
	v_cmp_le_u32_e32 vcc_lo, s27, v7
	s_wait_alu 0xfffd
	v_cndmask_b32_e64 v12, 0, -1, vcc_lo
	v_cmp_le_u32_e32 vcc_lo, s26, v3
	s_wait_alu 0xfffd
	v_cndmask_b32_e64 v3, 0, -1, vcc_lo
	;; [unrolled: 3-line block ×3, first 2 shown]
	v_cmp_eq_u32_e32 vcc_lo, s27, v7
	s_wait_alu 0xfffd
	v_cndmask_b32_e32 v7, v12, v11, vcc_lo
	v_add_co_u32 v11, vcc_lo, v5, 1
	s_wait_alu 0xfffd
	v_add_co_ci_u32_e64 v12, null, 0, v6, vcc_lo
	v_cmp_eq_u32_e32 vcc_lo, s27, v4
	s_wait_alu 0xfffd
	v_cndmask_b32_e32 v3, v13, v3, vcc_lo
	v_cmp_ne_u32_e32 vcc_lo, 0, v7
	v_xor_b32_e32 v7, s22, v9
	s_wait_alu 0xfffd
	v_cndmask_b32_e32 v4, v12, v10, vcc_lo
	v_cmp_ne_u32_e64 s2, 0, v3
	v_cndmask_b32_e32 v3, v11, v8, vcc_lo
	s_wait_alu 0xf1ff
	s_delay_alu instid0(VALU_DEP_2) | instskip(NEXT) | instid1(VALU_DEP_2)
	v_cndmask_b32_e64 v4, v6, v4, s2
	v_cndmask_b32_e64 v3, v5, v3, s2
	s_delay_alu instid0(VALU_DEP_2) | instskip(NEXT) | instid1(VALU_DEP_2)
	v_xor_b32_e32 v5, v4, v7
	v_xor_b32_e32 v3, v3, v7
	s_delay_alu instid0(VALU_DEP_1) | instskip(SKIP_1) | instid1(VALU_DEP_3)
	v_sub_co_u32 v4, vcc_lo, v3, v7
	s_wait_alu 0xfffd
	v_sub_co_ci_u32_e64 v5, null, v5, v7, vcc_lo
.LBB72_5:                               ;   in Loop: Header=BB72_3 Depth=1
	s_wait_alu 0xfffe
	s_and_not1_saveexec_b32 s2, s3
	s_cbranch_execz .LBB72_7
; %bb.6:                                ;   in Loop: Header=BB72_3 Depth=1
	v_mul_hi_u32 v3, v0, v25
	s_delay_alu instid0(VALU_DEP_1) | instskip(NEXT) | instid1(VALU_DEP_1)
	v_mul_lo_u32 v4, v3, s8
	v_sub_nc_u32_e32 v4, v0, v4
	s_delay_alu instid0(VALU_DEP_1) | instskip(SKIP_2) | instid1(VALU_DEP_2)
	v_subrev_nc_u32_e32 v6, s8, v4
	v_cmp_le_u32_e32 vcc_lo, s8, v4
	s_wait_alu 0xfffd
	v_dual_cndmask_b32 v4, v4, v6 :: v_dual_add_nc_u32 v5, 1, v3
	s_delay_alu instid0(VALU_DEP_1) | instskip(NEXT) | instid1(VALU_DEP_2)
	v_cndmask_b32_e32 v3, v3, v5, vcc_lo
	v_cmp_le_u32_e32 vcc_lo, s8, v4
	s_delay_alu instid0(VALU_DEP_2) | instskip(SKIP_1) | instid1(VALU_DEP_1)
	v_add_nc_u32_e32 v5, 1, v3
	s_wait_alu 0xfffd
	v_dual_cndmask_b32 v4, v3, v5 :: v_dual_mov_b32 v5, v2
.LBB72_7:                               ;   in Loop: Header=BB72_3 Depth=1
	s_wait_alu 0xfffe
	s_or_b32 exec_lo, exec_lo, s2
	s_delay_alu instid0(VALU_DEP_1) | instskip(SKIP_1) | instid1(VALU_DEP_1)
	v_or_b32_e32 v3, s15, v5
                                        ; implicit-def: $vgpr6_vgpr7
	s_mov_b32 s2, exec_lo
	v_cmpx_ne_u64_e32 0, v[2:3]
	s_wait_alu 0xfffe
	s_xor_b32 s3, exec_lo, s2
	s_cbranch_execz .LBB72_9
; %bb.8:                                ;   in Loop: Header=BB72_3 Depth=1
	s_mov_b32 s25, s24
	v_ashrrev_i32_e32 v3, 31, v5
	s_wait_alu 0xfffe
	s_add_nc_u64 s[26:27], s[14:15], s[24:25]
	s_wait_alu 0xfffe
	s_xor_b64 s[26:27], s[26:27], s[24:25]
	v_add_co_u32 v6, vcc_lo, v4, v3
	s_wait_alu 0xfffe
	s_cvt_f32_u32 s2, s26
	s_cvt_f32_u32 s18, s27
	s_sub_nc_u64 s[30:31], 0, s[26:27]
	s_wait_alu 0xfffd
	v_add_co_ci_u32_e64 v5, null, v5, v3, vcc_lo
	s_wait_alu 0xfffe
	s_fmamk_f32 s2, s18, 0x4f800000, s2
	v_xor_b32_e32 v11, v6, v3
	s_delay_alu instid0(VALU_DEP_2) | instskip(SKIP_3) | instid1(TRANS32_DEP_1)
	v_xor_b32_e32 v12, v5, v3
	s_wait_alu 0xfffe
	v_s_rcp_f32 s2, s2
	v_xor_b32_e32 v3, s24, v3
	s_mul_f32 s2, s2, 0x5f7ffffc
	s_wait_alu 0xfffe
	s_delay_alu instid0(SALU_CYCLE_2) | instskip(SKIP_1) | instid1(SALU_CYCLE_2)
	s_mul_f32 s18, s2, 0x2f800000
	s_wait_alu 0xfffe
	s_trunc_f32 s18, s18
	s_wait_alu 0xfffe
	s_delay_alu instid0(SALU_CYCLE_2) | instskip(SKIP_2) | instid1(SALU_CYCLE_1)
	s_fmamk_f32 s2, s18, 0xcf800000, s2
	s_cvt_u32_f32 s29, s18
	s_wait_alu 0xfffe
	s_cvt_u32_f32 s28, s2
	s_wait_alu 0xfffe
	s_delay_alu instid0(SALU_CYCLE_2)
	s_mul_u64 s[34:35], s[30:31], s[28:29]
	s_wait_alu 0xfffe
	s_mul_hi_u32 s37, s28, s35
	s_mul_i32 s36, s28, s35
	s_mul_hi_u32 s18, s28, s34
	s_mul_i32 s23, s29, s34
	s_wait_alu 0xfffe
	s_add_nc_u64 s[36:37], s[18:19], s[36:37]
	s_mul_hi_u32 s2, s29, s34
	s_mul_hi_u32 s25, s29, s35
	s_wait_alu 0xfffe
	s_add_co_u32 s18, s36, s23
	s_add_co_ci_u32 s18, s37, s2
	s_mul_i32 s34, s29, s35
	s_add_co_ci_u32 s35, s25, 0
	s_wait_alu 0xfffe
	s_add_nc_u64 s[34:35], s[18:19], s[34:35]
	s_wait_alu 0xfffe
	s_add_co_u32 s28, s28, s34
	s_cselect_b32 s2, -1, 0
	s_wait_alu 0xfffe
	s_cmp_lg_u32 s2, 0
	s_add_co_ci_u32 s29, s29, s35
	s_wait_alu 0xfffe
	s_mul_u64 s[30:31], s[30:31], s[28:29]
	s_wait_alu 0xfffe
	s_mul_hi_u32 s35, s28, s31
	s_mul_i32 s34, s28, s31
	s_mul_hi_u32 s18, s28, s30
	s_mul_i32 s23, s29, s30
	s_wait_alu 0xfffe
	s_add_nc_u64 s[34:35], s[18:19], s[34:35]
	s_mul_hi_u32 s2, s29, s30
	s_mul_hi_u32 s25, s29, s31
	s_wait_alu 0xfffe
	s_add_co_u32 s18, s34, s23
	s_add_co_ci_u32 s18, s35, s2
	s_mul_i32 s30, s29, s31
	s_add_co_ci_u32 s31, s25, 0
	s_wait_alu 0xfffe
	s_add_nc_u64 s[30:31], s[18:19], s[30:31]
	s_wait_alu 0xfffe
	s_add_co_u32 s2, s28, s30
	s_cselect_b32 s18, -1, 0
	s_wait_alu 0xfffe
	v_mul_hi_u32 v13, v11, s2
	s_cmp_lg_u32 s18, 0
	v_mad_co_u64_u32 v[7:8], null, v12, s2, 0
	s_add_co_ci_u32 s18, s29, s31
	s_wait_alu 0xfffe
	v_mad_co_u64_u32 v[5:6], null, v11, s18, 0
	v_mad_co_u64_u32 v[9:10], null, v12, s18, 0
	s_delay_alu instid0(VALU_DEP_2) | instskip(SKIP_1) | instid1(VALU_DEP_3)
	v_add_co_u32 v5, vcc_lo, v13, v5
	s_wait_alu 0xfffd
	v_add_co_ci_u32_e64 v6, null, 0, v6, vcc_lo
	s_delay_alu instid0(VALU_DEP_2) | instskip(SKIP_1) | instid1(VALU_DEP_2)
	v_add_co_u32 v5, vcc_lo, v5, v7
	s_wait_alu 0xfffd
	v_add_co_ci_u32_e32 v5, vcc_lo, v6, v8, vcc_lo
	s_wait_alu 0xfffd
	v_add_co_ci_u32_e32 v6, vcc_lo, 0, v10, vcc_lo
	s_delay_alu instid0(VALU_DEP_2) | instskip(SKIP_1) | instid1(VALU_DEP_2)
	v_add_co_u32 v7, vcc_lo, v5, v9
	s_wait_alu 0xfffd
	v_add_co_ci_u32_e64 v8, null, 0, v6, vcc_lo
	s_delay_alu instid0(VALU_DEP_2) | instskip(SKIP_1) | instid1(VALU_DEP_3)
	v_mul_lo_u32 v9, s27, v7
	v_mad_co_u64_u32 v[5:6], null, s26, v7, 0
	v_mul_lo_u32 v10, s26, v8
	s_delay_alu instid0(VALU_DEP_2) | instskip(NEXT) | instid1(VALU_DEP_2)
	v_sub_co_u32 v5, vcc_lo, v11, v5
	v_add3_u32 v6, v6, v10, v9
	v_add_co_u32 v10, s2, v7, 2
	s_wait_alu 0xf1ff
	v_add_co_ci_u32_e64 v11, null, 0, v8, s2
	s_delay_alu instid0(VALU_DEP_3) | instskip(SKIP_3) | instid1(VALU_DEP_3)
	v_sub_nc_u32_e32 v9, v12, v6
	v_sub_co_u32 v13, s2, v5, s26
	s_wait_alu 0xfffd
	v_sub_co_ci_u32_e64 v6, null, v12, v6, vcc_lo
	v_subrev_co_ci_u32_e64 v9, null, s27, v9, vcc_lo
	s_delay_alu instid0(VALU_DEP_3) | instskip(SKIP_1) | instid1(VALU_DEP_2)
	v_cmp_le_u32_e32 vcc_lo, s26, v13
	s_wait_alu 0xf1ff
	v_subrev_co_ci_u32_e64 v9, null, 0, v9, s2
	s_wait_alu 0xfffd
	v_cndmask_b32_e64 v12, 0, -1, vcc_lo
	s_delay_alu instid0(VALU_DEP_2)
	v_cmp_le_u32_e32 vcc_lo, s27, v9
	s_wait_alu 0xfffd
	v_cndmask_b32_e64 v13, 0, -1, vcc_lo
	v_cmp_le_u32_e32 vcc_lo, s26, v5
	s_wait_alu 0xfffd
	v_cndmask_b32_e64 v5, 0, -1, vcc_lo
	;; [unrolled: 3-line block ×3, first 2 shown]
	v_cmp_eq_u32_e32 vcc_lo, s27, v9
	s_wait_alu 0xfffd
	v_cndmask_b32_e32 v9, v13, v12, vcc_lo
	v_add_co_u32 v12, vcc_lo, v7, 1
	s_wait_alu 0xfffd
	v_add_co_ci_u32_e64 v13, null, 0, v8, vcc_lo
	v_cmp_eq_u32_e32 vcc_lo, s27, v6
	s_wait_alu 0xfffd
	v_cndmask_b32_e32 v5, v14, v5, vcc_lo
	v_cmp_ne_u32_e32 vcc_lo, 0, v9
	s_wait_alu 0xfffd
	v_cndmask_b32_e32 v6, v13, v11, vcc_lo
	s_delay_alu instid0(VALU_DEP_3) | instskip(SKIP_2) | instid1(VALU_DEP_2)
	v_cmp_ne_u32_e64 s2, 0, v5
	v_cndmask_b32_e32 v5, v12, v10, vcc_lo
	s_wait_alu 0xf1ff
	v_cndmask_b32_e64 v6, v8, v6, s2
	s_delay_alu instid0(VALU_DEP_2) | instskip(NEXT) | instid1(VALU_DEP_2)
	v_cndmask_b32_e64 v5, v7, v5, s2
	v_xor_b32_e32 v7, v6, v3
	s_delay_alu instid0(VALU_DEP_2) | instskip(NEXT) | instid1(VALU_DEP_1)
	v_xor_b32_e32 v5, v5, v3
	v_sub_co_u32 v6, vcc_lo, v5, v3
	s_wait_alu 0xfffd
	s_delay_alu instid0(VALU_DEP_3)
	v_sub_co_ci_u32_e64 v7, null, v7, v3, vcc_lo
.LBB72_9:                               ;   in Loop: Header=BB72_3 Depth=1
	s_wait_alu 0xfffe
	s_and_not1_saveexec_b32 s2, s3
	s_cbranch_execz .LBB72_11
; %bb.10:                               ;   in Loop: Header=BB72_3 Depth=1
	s_sub_co_i32 s3, 0, s14
	s_wait_alu 0xfffe
	v_mul_lo_u32 v3, s3, v24
	s_delay_alu instid0(VALU_DEP_1) | instskip(NEXT) | instid1(VALU_DEP_1)
	v_mul_hi_u32 v3, v24, v3
	v_add_nc_u32_e32 v3, v24, v3
	s_delay_alu instid0(VALU_DEP_1) | instskip(NEXT) | instid1(VALU_DEP_1)
	v_mul_hi_u32 v3, v4, v3
	v_mul_lo_u32 v5, v3, s14
	v_add_nc_u32_e32 v6, 1, v3
	s_delay_alu instid0(VALU_DEP_2) | instskip(NEXT) | instid1(VALU_DEP_1)
	v_sub_nc_u32_e32 v5, v4, v5
	v_subrev_nc_u32_e32 v7, s14, v5
	v_cmp_le_u32_e32 vcc_lo, s14, v5
	s_wait_alu 0xfffd
	s_delay_alu instid0(VALU_DEP_2) | instskip(SKIP_2) | instid1(VALU_DEP_3)
	v_cndmask_b32_e32 v5, v5, v7, vcc_lo
	v_mov_b32_e32 v7, v2
	v_cndmask_b32_e32 v3, v3, v6, vcc_lo
	v_cmp_le_u32_e32 vcc_lo, s14, v5
	s_delay_alu instid0(VALU_DEP_2) | instskip(SKIP_1) | instid1(VALU_DEP_1)
	v_add_nc_u32_e32 v6, 1, v3
	s_wait_alu 0xfffd
	v_cndmask_b32_e32 v6, v3, v6, vcc_lo
.LBB72_11:                              ;   in Loop: Header=BB72_3 Depth=1
	s_wait_alu 0xfffe
	s_or_b32 exec_lo, exec_lo, s2
	v_mad_co_u64_u32 v[8:9], null, v4, s8, 0
	s_delay_alu instid0(VALU_DEP_2) | instskip(SKIP_3) | instid1(VALU_DEP_1)
	v_mad_co_u64_u32 v[9:10], null, v6, s14, 0
	s_mov_b32 s23, exec_lo
	v_sub_co_u32 v27, null, v0, v8
	v_sub_co_u32 v26, null, v4, v9
	v_sub_nc_u32_e32 v3, v27, v26
	s_delay_alu instid0(VALU_DEP_1) | instskip(NEXT) | instid1(VALU_DEP_1)
	v_ashrrev_i32_e32 v4, 31, v3
	v_cmpx_gt_i64_e64 s[4:5], v[3:4]
	s_cbranch_execz .LBB72_2
; %bb.12:                               ;   in Loop: Header=BB72_3 Depth=1
	s_load_b64 s[2:3], s[20:21], 0x64
	s_and_not1_b32 vcc_lo, exec_lo, s56
	s_wait_kmcnt 0x0
	v_mul_lo_u32 v3, s3, v27
	s_delay_alu instid0(VALU_DEP_1)
	v_mad_co_u64_u32 v[4:5], null, s2, v26, v[3:4]
	s_wait_alu 0xfffe
	s_cbranch_vccnz .LBB72_56
; %bb.13:                               ;   in Loop: Header=BB72_3 Depth=1
	s_mov_b32 s25, s52
	s_and_not1_b32 vcc_lo, exec_lo, s54
	s_mov_b32 s18, s33
	s_mov_b32 s2, s33
	s_wait_alu 0xfffe
	s_cbranch_vccz .LBB72_16
; %bb.14:                               ;   in Loop: Header=BB72_3 Depth=1
	s_and_not1_b32 vcc_lo, exec_lo, s55
	s_wait_alu 0xfffe
	s_cbranch_vccz .LBB72_21
	s_branch .LBB72_56
.LBB72_15:                              ;   in Loop: Header=BB72_16 Depth=2
	s_wait_alu 0xfffe
	s_or_b32 exec_lo, exec_lo, s2
	s_add_nc_u64 s[26:27], s[0:1], s[26:27]
	v_mul_lo_u32 v3, v8, s28
	s_load_b32 s2, s[26:27], 0x6c
	s_add_co_i32 s25, s25, -1
	s_add_co_i32 s18, s18, -1
	s_wait_alu 0xfffe
	s_cmp_lg_u32 s25, 0
	s_delay_alu instid0(VALU_DEP_1) | instskip(SKIP_2) | instid1(VALU_DEP_2)
	v_sub_nc_u32_e32 v3, v6, v3
	v_dual_mov_b32 v6, v8 :: v_dual_mov_b32 v7, v9
	s_wait_kmcnt 0x0
	v_mad_co_u64_u32 v[4:5], null, s2, v3, v[4:5]
	s_cbranch_scc0 .LBB72_20
.LBB72_16:                              ;   Parent Loop BB72_3 Depth=1
                                        ; =>  This Inner Loop Header: Depth=2
	s_lshl_b64 s[26:27], s[18:19], 2
                                        ; implicit-def: $vgpr8_vgpr9
	s_mov_b32 s2, exec_lo
	s_wait_alu 0xfffe
	s_add_nc_u64 s[28:29], s[10:11], s[26:27]
	s_load_b32 s28, s[28:29], 0x8
	s_wait_kmcnt 0x0
	s_ashr_i32 s29, s28, 31
	s_wait_alu 0xfffe
	v_or_b32_e32 v3, s29, v7
	s_delay_alu instid0(VALU_DEP_1)
	v_cmpx_ne_u64_e32 0, v[2:3]
	s_xor_b32 s36, exec_lo, s2
	s_cbranch_execz .LBB72_18
; %bb.17:                               ;   in Loop: Header=BB72_16 Depth=2
	s_ashr_i32 s30, s29, 31
	s_mov_b32 s43, s19
	s_wait_alu 0xfffe
	s_mov_b32 s31, s30
	s_mov_b32 s47, s19
	s_wait_alu 0xfffe
	s_add_nc_u64 s[34:35], s[28:29], s[30:31]
	v_ashrrev_i32_e32 v3, 31, v7
	s_wait_alu 0xfffe
	s_xor_b64 s[34:35], s[34:35], s[30:31]
	s_wait_alu 0xfffe
	s_cvt_f32_u32 s2, s34
	s_cvt_f32_u32 s29, s35
	s_sub_nc_u64 s[40:41], 0, s[34:35]
	v_add_co_u32 v5, vcc_lo, v6, v3
	s_wait_alu 0xfffe
	s_fmamk_f32 s2, s29, 0x4f800000, s2
	s_wait_alu 0xfffd
	v_add_co_ci_u32_e64 v7, null, v7, v3, vcc_lo
	v_xor_b32_e32 v5, v5, v3
	s_wait_alu 0xfffe
	v_s_rcp_f32 s2, s2
	s_delay_alu instid0(VALU_DEP_2) | instskip(SKIP_1) | instid1(TRANS32_DEP_1)
	v_xor_b32_e32 v13, v7, v3
	v_xor_b32_e32 v3, s30, v3
	s_mul_f32 s2, s2, 0x5f7ffffc
	s_wait_alu 0xfffe
	s_delay_alu instid0(SALU_CYCLE_2) | instskip(SKIP_1) | instid1(SALU_CYCLE_2)
	s_mul_f32 s29, s2, 0x2f800000
	s_wait_alu 0xfffe
	s_trunc_f32 s29, s29
	s_wait_alu 0xfffe
	s_delay_alu instid0(SALU_CYCLE_2) | instskip(SKIP_2) | instid1(SALU_CYCLE_1)
	s_fmamk_f32 s2, s29, 0xcf800000, s2
	s_cvt_u32_f32 s39, s29
	s_wait_alu 0xfffe
	s_cvt_u32_f32 s38, s2
	s_wait_alu 0xfffe
	s_delay_alu instid0(SALU_CYCLE_2)
	s_mul_u64 s[44:45], s[40:41], s[38:39]
	s_wait_alu 0xfffe
	s_mul_hi_u32 s49, s38, s45
	s_mul_i32 s48, s38, s45
	s_mul_hi_u32 s42, s38, s44
	s_mul_i32 s29, s39, s44
	s_wait_alu 0xfffe
	s_add_nc_u64 s[42:43], s[42:43], s[48:49]
	s_mul_hi_u32 s2, s39, s44
	s_mul_hi_u32 s31, s39, s45
	s_wait_alu 0xfffe
	s_add_co_u32 s29, s42, s29
	s_add_co_ci_u32 s46, s43, s2
	s_mul_i32 s44, s39, s45
	s_add_co_ci_u32 s45, s31, 0
	s_wait_alu 0xfffe
	s_add_nc_u64 s[42:43], s[46:47], s[44:45]
	s_mov_b32 s45, s19
	s_wait_alu 0xfffe
	s_add_co_u32 s38, s38, s42
	s_cselect_b32 s2, -1, 0
	s_wait_alu 0xfffe
	s_cmp_lg_u32 s2, 0
	s_add_co_ci_u32 s39, s39, s43
	s_mov_b32 s43, s19
	s_wait_alu 0xfffe
	s_mul_u64 s[40:41], s[40:41], s[38:39]
	s_wait_alu 0xfffe
	s_mul_hi_u32 s47, s38, s41
	s_mul_i32 s46, s38, s41
	s_mul_hi_u32 s44, s38, s40
	s_mul_i32 s29, s39, s40
	s_wait_alu 0xfffe
	s_add_nc_u64 s[44:45], s[44:45], s[46:47]
	s_mul_hi_u32 s2, s39, s40
	s_mul_hi_u32 s31, s39, s41
	s_wait_alu 0xfffe
	s_add_co_u32 s29, s44, s29
	s_add_co_ci_u32 s42, s45, s2
	s_mul_i32 s40, s39, s41
	s_add_co_ci_u32 s41, s31, 0
	s_wait_alu 0xfffe
	s_add_nc_u64 s[40:41], s[42:43], s[40:41]
	s_wait_alu 0xfffe
	s_add_co_u32 s2, s38, s40
	s_cselect_b32 s29, -1, 0
	s_wait_alu 0xfffe
	v_mul_hi_u32 v14, v5, s2
	s_cmp_lg_u32 s29, 0
	v_mad_co_u64_u32 v[9:10], null, v13, s2, 0
	s_add_co_ci_u32 s29, s39, s41
	s_wait_alu 0xfffe
	v_mad_co_u64_u32 v[7:8], null, v5, s29, 0
	v_mad_co_u64_u32 v[11:12], null, v13, s29, 0
	s_delay_alu instid0(VALU_DEP_2) | instskip(SKIP_1) | instid1(VALU_DEP_3)
	v_add_co_u32 v7, vcc_lo, v14, v7
	s_wait_alu 0xfffd
	v_add_co_ci_u32_e64 v8, null, 0, v8, vcc_lo
	s_delay_alu instid0(VALU_DEP_2) | instskip(SKIP_1) | instid1(VALU_DEP_2)
	v_add_co_u32 v7, vcc_lo, v7, v9
	s_wait_alu 0xfffd
	v_add_co_ci_u32_e32 v7, vcc_lo, v8, v10, vcc_lo
	s_wait_alu 0xfffd
	v_add_co_ci_u32_e32 v8, vcc_lo, 0, v12, vcc_lo
	s_delay_alu instid0(VALU_DEP_2) | instskip(SKIP_1) | instid1(VALU_DEP_2)
	v_add_co_u32 v9, vcc_lo, v7, v11
	s_wait_alu 0xfffd
	v_add_co_ci_u32_e64 v10, null, 0, v8, vcc_lo
	s_delay_alu instid0(VALU_DEP_2) | instskip(SKIP_1) | instid1(VALU_DEP_3)
	v_mul_lo_u32 v11, s35, v9
	v_mad_co_u64_u32 v[7:8], null, s34, v9, 0
	v_mul_lo_u32 v12, s34, v10
	s_delay_alu instid0(VALU_DEP_2) | instskip(NEXT) | instid1(VALU_DEP_2)
	v_sub_co_u32 v5, vcc_lo, v5, v7
	v_add3_u32 v8, v8, v12, v11
	s_delay_alu instid0(VALU_DEP_1) | instskip(SKIP_2) | instid1(VALU_DEP_2)
	v_sub_nc_u32_e32 v11, v13, v8
	s_wait_alu 0xfffd
	v_sub_co_ci_u32_e64 v8, null, v13, v8, vcc_lo
	v_subrev_co_ci_u32_e64 v7, null, s35, v11, vcc_lo
	v_add_co_u32 v11, s2, v9, 2
	s_wait_alu 0xf1ff
	v_add_co_ci_u32_e64 v12, null, 0, v10, s2
	v_sub_co_u32 v14, s2, v5, s34
	s_wait_alu 0xf1ff
	v_subrev_co_ci_u32_e64 v7, null, 0, v7, s2
	s_delay_alu instid0(VALU_DEP_2) | instskip(SKIP_2) | instid1(VALU_DEP_3)
	v_cmp_le_u32_e32 vcc_lo, s34, v14
	s_wait_alu 0xfffd
	v_cndmask_b32_e64 v13, 0, -1, vcc_lo
	v_cmp_le_u32_e32 vcc_lo, s35, v7
	s_wait_alu 0xfffd
	v_cndmask_b32_e64 v14, 0, -1, vcc_lo
	;; [unrolled: 3-line block ×4, first 2 shown]
	v_cmp_eq_u32_e32 vcc_lo, s35, v7
	s_wait_alu 0xfffd
	v_cndmask_b32_e32 v7, v14, v13, vcc_lo
	v_add_co_u32 v13, vcc_lo, v9, 1
	s_wait_alu 0xfffd
	v_add_co_ci_u32_e64 v14, null, 0, v10, vcc_lo
	v_cmp_eq_u32_e32 vcc_lo, s35, v8
	s_wait_alu 0xfffd
	v_cndmask_b32_e32 v5, v15, v5, vcc_lo
	v_cmp_ne_u32_e32 vcc_lo, 0, v7
	s_delay_alu instid0(VALU_DEP_2) | instskip(SKIP_4) | instid1(VALU_DEP_2)
	v_cmp_ne_u32_e64 s2, 0, v5
	s_wait_alu 0xfffd
	v_cndmask_b32_e32 v5, v13, v11, vcc_lo
	v_cndmask_b32_e32 v7, v14, v12, vcc_lo
	s_wait_alu 0xf1ff
	v_cndmask_b32_e64 v5, v9, v5, s2
	s_delay_alu instid0(VALU_DEP_2) | instskip(NEXT) | instid1(VALU_DEP_2)
	v_cndmask_b32_e64 v7, v10, v7, s2
	v_xor_b32_e32 v5, v5, v3
	s_delay_alu instid0(VALU_DEP_2) | instskip(NEXT) | instid1(VALU_DEP_2)
	v_xor_b32_e32 v7, v7, v3
	v_sub_co_u32 v8, vcc_lo, v5, v3
	s_wait_alu 0xfffd
	s_delay_alu instid0(VALU_DEP_2)
	v_sub_co_ci_u32_e64 v9, null, v7, v3, vcc_lo
.LBB72_18:                              ;   in Loop: Header=BB72_16 Depth=2
	s_wait_alu 0xfffe
	s_and_not1_saveexec_b32 s2, s36
	s_cbranch_execz .LBB72_15
; %bb.19:                               ;   in Loop: Header=BB72_16 Depth=2
	v_cvt_f32_u32_e32 v3, s28
	s_sub_co_i32 s29, 0, s28
	v_mov_b32_e32 v9, v2
	s_delay_alu instid0(VALU_DEP_2) | instskip(NEXT) | instid1(TRANS32_DEP_1)
	v_rcp_iflag_f32_e32 v3, v3
	v_mul_f32_e32 v3, 0x4f7ffffe, v3
	s_delay_alu instid0(VALU_DEP_1) | instskip(SKIP_1) | instid1(VALU_DEP_1)
	v_cvt_u32_f32_e32 v3, v3
	s_wait_alu 0xfffe
	v_mul_lo_u32 v5, s29, v3
	s_delay_alu instid0(VALU_DEP_1) | instskip(NEXT) | instid1(VALU_DEP_1)
	v_mul_hi_u32 v5, v3, v5
	v_add_nc_u32_e32 v3, v3, v5
	s_delay_alu instid0(VALU_DEP_1) | instskip(NEXT) | instid1(VALU_DEP_1)
	v_mul_hi_u32 v3, v6, v3
	v_mul_lo_u32 v5, v3, s28
	v_add_nc_u32_e32 v7, 1, v3
	s_delay_alu instid0(VALU_DEP_2) | instskip(NEXT) | instid1(VALU_DEP_1)
	v_sub_nc_u32_e32 v5, v6, v5
	v_cmp_le_u32_e32 vcc_lo, s28, v5
	v_subrev_nc_u32_e32 v8, s28, v5
	s_wait_alu 0xfffd
	v_cndmask_b32_e32 v3, v3, v7, vcc_lo
	s_delay_alu instid0(VALU_DEP_1) | instskip(NEXT) | instid1(VALU_DEP_3)
	v_add_nc_u32_e32 v7, 1, v3
	v_cndmask_b32_e32 v5, v5, v8, vcc_lo
	s_delay_alu instid0(VALU_DEP_1) | instskip(SKIP_1) | instid1(VALU_DEP_3)
	v_cmp_le_u32_e32 vcc_lo, s28, v5
	s_wait_alu 0xfffd
	v_cndmask_b32_e32 v8, v3, v7, vcc_lo
	s_branch .LBB72_15
.LBB72_20:                              ;   in Loop: Header=BB72_3 Depth=1
	s_mov_b32 s2, s18
	s_and_not1_b32 vcc_lo, exec_lo, s55
	s_wait_alu 0xfffe
	s_cbranch_vccnz .LBB72_56
.LBB72_21:                              ;   in Loop: Header=BB72_3 Depth=1
	s_add_co_i32 s26, s2, -7
.LBB72_22:                              ;   Parent Loop BB72_3 Depth=1
                                        ; =>  This Inner Loop Header: Depth=2
	s_wait_alu 0xfffe
	s_add_co_i32 s18, s26, 7
                                        ; implicit-def: $vgpr8_vgpr9
	s_mov_b32 s2, exec_lo
	s_wait_alu 0xfffe
	s_lshl_b64 s[34:35], s[18:19], 2
	s_wait_alu 0xfffe
	s_add_nc_u64 s[28:29], s[10:11], s[34:35]
	s_load_b32 s28, s[28:29], 0x8
	s_wait_kmcnt 0x0
	s_ashr_i32 s29, s28, 31
	s_wait_alu 0xfffe
	v_or_b32_e32 v3, s29, v7
	s_delay_alu instid0(VALU_DEP_1)
	v_cmpx_ne_u64_e32 0, v[2:3]
	s_xor_b32 s25, exec_lo, s2
	s_cbranch_execz .LBB72_24
; %bb.23:                               ;   in Loop: Header=BB72_22 Depth=2
	s_ashr_i32 s30, s29, 31
	v_ashrrev_i32_e32 v3, 31, v7
	s_wait_alu 0xfffe
	s_mov_b32 s31, s30
	s_wait_alu 0xfffe
	s_add_nc_u64 s[36:37], s[28:29], s[30:31]
	v_add_co_u32 v5, vcc_lo, v6, v3
	s_wait_alu 0xfffe
	s_xor_b64 s[36:37], s[36:37], s[30:31]
	s_wait_alu 0xfffd
	v_add_co_ci_u32_e64 v7, null, v7, v3, vcc_lo
	s_wait_alu 0xfffe
	s_cvt_f32_u32 s2, s36
	s_cvt_f32_u32 s18, s37
	s_sub_nc_u64 s[40:41], 0, s[36:37]
	v_xor_b32_e32 v5, v5, v3
	v_xor_b32_e32 v13, v7, v3
	s_wait_alu 0xfffe
	s_fmamk_f32 s2, s18, 0x4f800000, s2
	v_xor_b32_e32 v3, s30, v3
	s_wait_alu 0xfffe
	s_delay_alu instid0(SALU_CYCLE_1) | instskip(NEXT) | instid1(TRANS32_DEP_1)
	v_s_rcp_f32 s2, s2
	s_mul_f32 s2, s2, 0x5f7ffffc
	s_wait_alu 0xfffe
	s_delay_alu instid0(SALU_CYCLE_2) | instskip(SKIP_1) | instid1(SALU_CYCLE_2)
	s_mul_f32 s18, s2, 0x2f800000
	s_wait_alu 0xfffe
	s_trunc_f32 s18, s18
	s_wait_alu 0xfffe
	s_delay_alu instid0(SALU_CYCLE_2) | instskip(SKIP_2) | instid1(SALU_CYCLE_1)
	s_fmamk_f32 s2, s18, 0xcf800000, s2
	s_cvt_u32_f32 s39, s18
	s_wait_alu 0xfffe
	s_cvt_u32_f32 s38, s2
	s_wait_alu 0xfffe
	s_delay_alu instid0(SALU_CYCLE_2)
	s_mul_u64 s[42:43], s[40:41], s[38:39]
	s_wait_alu 0xfffe
	s_mul_hi_u32 s45, s38, s43
	s_mul_i32 s44, s38, s43
	s_mul_hi_u32 s18, s38, s42
	s_mul_i32 s27, s39, s42
	s_wait_alu 0xfffe
	s_add_nc_u64 s[44:45], s[18:19], s[44:45]
	s_mul_hi_u32 s2, s39, s42
	s_mul_hi_u32 s29, s39, s43
	s_wait_alu 0xfffe
	s_add_co_u32 s18, s44, s27
	s_add_co_ci_u32 s18, s45, s2
	s_mul_i32 s42, s39, s43
	s_add_co_ci_u32 s43, s29, 0
	s_wait_alu 0xfffe
	s_add_nc_u64 s[42:43], s[18:19], s[42:43]
	s_wait_alu 0xfffe
	s_add_co_u32 s38, s38, s42
	s_cselect_b32 s2, -1, 0
	s_wait_alu 0xfffe
	s_cmp_lg_u32 s2, 0
	s_add_co_ci_u32 s39, s39, s43
	s_wait_alu 0xfffe
	s_mul_u64 s[40:41], s[40:41], s[38:39]
	s_wait_alu 0xfffe
	s_mul_hi_u32 s43, s38, s41
	s_mul_i32 s42, s38, s41
	s_mul_hi_u32 s18, s38, s40
	s_mul_i32 s27, s39, s40
	s_wait_alu 0xfffe
	s_add_nc_u64 s[42:43], s[18:19], s[42:43]
	s_mul_hi_u32 s2, s39, s40
	s_mul_hi_u32 s29, s39, s41
	s_wait_alu 0xfffe
	s_add_co_u32 s18, s42, s27
	s_add_co_ci_u32 s18, s43, s2
	s_mul_i32 s40, s39, s41
	s_add_co_ci_u32 s41, s29, 0
	s_wait_alu 0xfffe
	s_add_nc_u64 s[40:41], s[18:19], s[40:41]
	s_wait_alu 0xfffe
	s_add_co_u32 s2, s38, s40
	s_cselect_b32 s18, -1, 0
	s_wait_alu 0xfffe
	v_mul_hi_u32 v14, v5, s2
	s_cmp_lg_u32 s18, 0
	v_mad_co_u64_u32 v[9:10], null, v13, s2, 0
	s_add_co_ci_u32 s18, s39, s41
	s_wait_alu 0xfffe
	v_mad_co_u64_u32 v[7:8], null, v5, s18, 0
	v_mad_co_u64_u32 v[11:12], null, v13, s18, 0
	s_delay_alu instid0(VALU_DEP_2) | instskip(SKIP_1) | instid1(VALU_DEP_3)
	v_add_co_u32 v7, vcc_lo, v14, v7
	s_wait_alu 0xfffd
	v_add_co_ci_u32_e64 v8, null, 0, v8, vcc_lo
	s_delay_alu instid0(VALU_DEP_2) | instskip(SKIP_1) | instid1(VALU_DEP_2)
	v_add_co_u32 v7, vcc_lo, v7, v9
	s_wait_alu 0xfffd
	v_add_co_ci_u32_e32 v7, vcc_lo, v8, v10, vcc_lo
	s_wait_alu 0xfffd
	v_add_co_ci_u32_e32 v8, vcc_lo, 0, v12, vcc_lo
	s_delay_alu instid0(VALU_DEP_2) | instskip(SKIP_1) | instid1(VALU_DEP_2)
	v_add_co_u32 v9, vcc_lo, v7, v11
	s_wait_alu 0xfffd
	v_add_co_ci_u32_e64 v10, null, 0, v8, vcc_lo
	s_delay_alu instid0(VALU_DEP_2) | instskip(SKIP_1) | instid1(VALU_DEP_3)
	v_mul_lo_u32 v11, s37, v9
	v_mad_co_u64_u32 v[7:8], null, s36, v9, 0
	v_mul_lo_u32 v12, s36, v10
	s_delay_alu instid0(VALU_DEP_2) | instskip(NEXT) | instid1(VALU_DEP_2)
	v_sub_co_u32 v5, vcc_lo, v5, v7
	v_add3_u32 v8, v8, v12, v11
	s_delay_alu instid0(VALU_DEP_1) | instskip(SKIP_2) | instid1(VALU_DEP_2)
	v_sub_nc_u32_e32 v11, v13, v8
	s_wait_alu 0xfffd
	v_sub_co_ci_u32_e64 v8, null, v13, v8, vcc_lo
	v_subrev_co_ci_u32_e64 v7, null, s37, v11, vcc_lo
	v_add_co_u32 v11, s2, v9, 2
	s_wait_alu 0xf1ff
	v_add_co_ci_u32_e64 v12, null, 0, v10, s2
	v_sub_co_u32 v14, s2, v5, s36
	s_wait_alu 0xf1ff
	v_subrev_co_ci_u32_e64 v7, null, 0, v7, s2
	s_delay_alu instid0(VALU_DEP_2) | instskip(SKIP_2) | instid1(VALU_DEP_3)
	v_cmp_le_u32_e32 vcc_lo, s36, v14
	s_wait_alu 0xfffd
	v_cndmask_b32_e64 v13, 0, -1, vcc_lo
	v_cmp_le_u32_e32 vcc_lo, s37, v7
	s_wait_alu 0xfffd
	v_cndmask_b32_e64 v14, 0, -1, vcc_lo
	;; [unrolled: 3-line block ×4, first 2 shown]
	v_cmp_eq_u32_e32 vcc_lo, s37, v7
	s_wait_alu 0xfffd
	v_cndmask_b32_e32 v7, v14, v13, vcc_lo
	v_add_co_u32 v13, vcc_lo, v9, 1
	s_wait_alu 0xfffd
	v_add_co_ci_u32_e64 v14, null, 0, v10, vcc_lo
	v_cmp_eq_u32_e32 vcc_lo, s37, v8
	s_wait_alu 0xfffd
	v_cndmask_b32_e32 v5, v15, v5, vcc_lo
	v_cmp_ne_u32_e32 vcc_lo, 0, v7
	s_delay_alu instid0(VALU_DEP_2) | instskip(SKIP_4) | instid1(VALU_DEP_2)
	v_cmp_ne_u32_e64 s2, 0, v5
	s_wait_alu 0xfffd
	v_cndmask_b32_e32 v5, v13, v11, vcc_lo
	v_cndmask_b32_e32 v7, v14, v12, vcc_lo
	s_wait_alu 0xf1ff
	v_cndmask_b32_e64 v5, v9, v5, s2
	s_delay_alu instid0(VALU_DEP_2) | instskip(NEXT) | instid1(VALU_DEP_2)
	v_cndmask_b32_e64 v7, v10, v7, s2
	v_xor_b32_e32 v5, v5, v3
	s_delay_alu instid0(VALU_DEP_2) | instskip(NEXT) | instid1(VALU_DEP_2)
	v_xor_b32_e32 v7, v7, v3
	v_sub_co_u32 v8, vcc_lo, v5, v3
	s_wait_alu 0xfffd
	s_delay_alu instid0(VALU_DEP_2)
	v_sub_co_ci_u32_e64 v9, null, v7, v3, vcc_lo
.LBB72_24:                              ;   in Loop: Header=BB72_22 Depth=2
	s_wait_alu 0xfffe
	s_and_not1_saveexec_b32 s2, s25
	s_cbranch_execz .LBB72_26
; %bb.25:                               ;   in Loop: Header=BB72_22 Depth=2
	v_cvt_f32_u32_e32 v3, s28
	s_sub_co_i32 s18, 0, s28
	v_mov_b32_e32 v9, v2
	s_delay_alu instid0(VALU_DEP_2) | instskip(NEXT) | instid1(TRANS32_DEP_1)
	v_rcp_iflag_f32_e32 v3, v3
	v_mul_f32_e32 v3, 0x4f7ffffe, v3
	s_delay_alu instid0(VALU_DEP_1) | instskip(SKIP_1) | instid1(VALU_DEP_1)
	v_cvt_u32_f32_e32 v3, v3
	s_wait_alu 0xfffe
	v_mul_lo_u32 v5, s18, v3
	s_delay_alu instid0(VALU_DEP_1) | instskip(NEXT) | instid1(VALU_DEP_1)
	v_mul_hi_u32 v5, v3, v5
	v_add_nc_u32_e32 v3, v3, v5
	s_delay_alu instid0(VALU_DEP_1) | instskip(NEXT) | instid1(VALU_DEP_1)
	v_mul_hi_u32 v3, v6, v3
	v_mul_lo_u32 v5, v3, s28
	v_add_nc_u32_e32 v7, 1, v3
	s_delay_alu instid0(VALU_DEP_2) | instskip(NEXT) | instid1(VALU_DEP_1)
	v_sub_nc_u32_e32 v5, v6, v5
	v_cmp_le_u32_e32 vcc_lo, s28, v5
	v_subrev_nc_u32_e32 v8, s28, v5
	s_wait_alu 0xfffd
	v_cndmask_b32_e32 v3, v3, v7, vcc_lo
	s_delay_alu instid0(VALU_DEP_1) | instskip(NEXT) | instid1(VALU_DEP_3)
	v_add_nc_u32_e32 v7, 1, v3
	v_cndmask_b32_e32 v5, v5, v8, vcc_lo
	s_delay_alu instid0(VALU_DEP_1) | instskip(SKIP_1) | instid1(VALU_DEP_3)
	v_cmp_le_u32_e32 vcc_lo, s28, v5
	s_wait_alu 0xfffd
	v_cndmask_b32_e32 v8, v3, v7, vcc_lo
.LBB72_26:                              ;   in Loop: Header=BB72_22 Depth=2
	s_wait_alu 0xfffe
	s_or_b32 exec_lo, exec_lo, s2
	s_add_co_i32 s18, s26, 6
	s_add_nc_u64 s[34:35], s[0:1], s[34:35]
	s_wait_alu 0xfffe
	s_lshl_b64 s[36:37], s[18:19], 2
                                        ; implicit-def: $vgpr10_vgpr11
	s_mov_b32 s2, exec_lo
	s_wait_alu 0xfffe
	s_add_nc_u64 s[30:31], s[10:11], s[36:37]
	s_clause 0x1
	s_load_b32 s25, s[34:35], 0x6c
	s_load_b32 s30, s[30:31], 0x8
	s_wait_kmcnt 0x0
	s_ashr_i32 s31, s30, 31
	s_wait_alu 0xfffe
	v_or_b32_e32 v3, s31, v9
	s_delay_alu instid0(VALU_DEP_1)
	v_cmpx_ne_u64_e32 0, v[2:3]
	s_xor_b32 s27, exec_lo, s2
	s_cbranch_execz .LBB72_28
; %bb.27:                               ;   in Loop: Header=BB72_22 Depth=2
	s_ashr_i32 s34, s31, 31
	v_ashrrev_i32_e32 v3, 31, v9
	s_wait_alu 0xfffe
	s_mov_b32 s35, s34
	s_wait_alu 0xfffe
	s_add_nc_u64 s[38:39], s[30:31], s[34:35]
	v_add_co_u32 v5, vcc_lo, v8, v3
	s_wait_alu 0xfffe
	s_xor_b64 s[38:39], s[38:39], s[34:35]
	s_wait_alu 0xfffd
	v_add_co_ci_u32_e64 v7, null, v9, v3, vcc_lo
	s_wait_alu 0xfffe
	s_cvt_f32_u32 s2, s38
	s_cvt_f32_u32 s18, s39
	s_sub_nc_u64 s[42:43], 0, s[38:39]
	v_xor_b32_e32 v5, v5, v3
	v_xor_b32_e32 v7, v7, v3
	s_wait_alu 0xfffe
	s_fmamk_f32 s2, s18, 0x4f800000, s2
	v_xor_b32_e32 v3, s34, v3
	s_wait_alu 0xfffe
	s_delay_alu instid0(SALU_CYCLE_1) | instskip(NEXT) | instid1(TRANS32_DEP_1)
	v_s_rcp_f32 s2, s2
	s_mul_f32 s2, s2, 0x5f7ffffc
	s_wait_alu 0xfffe
	s_delay_alu instid0(SALU_CYCLE_2) | instskip(SKIP_1) | instid1(SALU_CYCLE_2)
	s_mul_f32 s18, s2, 0x2f800000
	s_wait_alu 0xfffe
	s_trunc_f32 s18, s18
	s_wait_alu 0xfffe
	s_delay_alu instid0(SALU_CYCLE_2) | instskip(SKIP_2) | instid1(SALU_CYCLE_1)
	s_fmamk_f32 s2, s18, 0xcf800000, s2
	s_cvt_u32_f32 s41, s18
	s_wait_alu 0xfffe
	s_cvt_u32_f32 s40, s2
	s_wait_alu 0xfffe
	s_delay_alu instid0(SALU_CYCLE_2)
	s_mul_u64 s[44:45], s[42:43], s[40:41]
	s_wait_alu 0xfffe
	s_mul_hi_u32 s47, s40, s45
	s_mul_i32 s46, s40, s45
	s_mul_hi_u32 s18, s40, s44
	s_mul_i32 s29, s41, s44
	s_wait_alu 0xfffe
	s_add_nc_u64 s[46:47], s[18:19], s[46:47]
	s_mul_hi_u32 s2, s41, s44
	s_mul_hi_u32 s31, s41, s45
	s_wait_alu 0xfffe
	s_add_co_u32 s18, s46, s29
	s_add_co_ci_u32 s18, s47, s2
	s_mul_i32 s44, s41, s45
	s_add_co_ci_u32 s45, s31, 0
	s_wait_alu 0xfffe
	s_add_nc_u64 s[44:45], s[18:19], s[44:45]
	s_wait_alu 0xfffe
	s_add_co_u32 s40, s40, s44
	s_cselect_b32 s2, -1, 0
	s_wait_alu 0xfffe
	s_cmp_lg_u32 s2, 0
	s_add_co_ci_u32 s41, s41, s45
	s_wait_alu 0xfffe
	s_mul_u64 s[42:43], s[42:43], s[40:41]
	s_wait_alu 0xfffe
	s_mul_hi_u32 s45, s40, s43
	s_mul_i32 s44, s40, s43
	s_mul_hi_u32 s18, s40, s42
	s_mul_i32 s29, s41, s42
	s_wait_alu 0xfffe
	s_add_nc_u64 s[44:45], s[18:19], s[44:45]
	s_mul_hi_u32 s2, s41, s42
	s_mul_hi_u32 s31, s41, s43
	s_wait_alu 0xfffe
	s_add_co_u32 s18, s44, s29
	s_add_co_ci_u32 s18, s45, s2
	s_mul_i32 s42, s41, s43
	s_add_co_ci_u32 s43, s31, 0
	s_wait_alu 0xfffe
	s_add_nc_u64 s[42:43], s[18:19], s[42:43]
	s_wait_alu 0xfffe
	s_add_co_u32 s2, s40, s42
	s_cselect_b32 s18, -1, 0
	s_wait_alu 0xfffe
	v_mul_hi_u32 v15, v5, s2
	s_cmp_lg_u32 s18, 0
	v_mad_co_u64_u32 v[11:12], null, v7, s2, 0
	s_add_co_ci_u32 s18, s41, s43
	s_wait_alu 0xfffe
	v_mad_co_u64_u32 v[9:10], null, v5, s18, 0
	v_mad_co_u64_u32 v[13:14], null, v7, s18, 0
	s_delay_alu instid0(VALU_DEP_2) | instskip(SKIP_1) | instid1(VALU_DEP_3)
	v_add_co_u32 v9, vcc_lo, v15, v9
	s_wait_alu 0xfffd
	v_add_co_ci_u32_e64 v10, null, 0, v10, vcc_lo
	s_delay_alu instid0(VALU_DEP_2) | instskip(SKIP_1) | instid1(VALU_DEP_2)
	v_add_co_u32 v9, vcc_lo, v9, v11
	s_wait_alu 0xfffd
	v_add_co_ci_u32_e32 v9, vcc_lo, v10, v12, vcc_lo
	s_wait_alu 0xfffd
	v_add_co_ci_u32_e32 v10, vcc_lo, 0, v14, vcc_lo
	s_delay_alu instid0(VALU_DEP_2) | instskip(SKIP_1) | instid1(VALU_DEP_2)
	v_add_co_u32 v11, vcc_lo, v9, v13
	s_wait_alu 0xfffd
	v_add_co_ci_u32_e64 v12, null, 0, v10, vcc_lo
	s_delay_alu instid0(VALU_DEP_2) | instskip(SKIP_1) | instid1(VALU_DEP_3)
	v_mul_lo_u32 v13, s39, v11
	v_mad_co_u64_u32 v[9:10], null, s38, v11, 0
	v_mul_lo_u32 v14, s38, v12
	s_delay_alu instid0(VALU_DEP_2) | instskip(NEXT) | instid1(VALU_DEP_2)
	v_sub_co_u32 v5, vcc_lo, v5, v9
	v_add3_u32 v10, v10, v14, v13
	s_delay_alu instid0(VALU_DEP_1) | instskip(SKIP_2) | instid1(VALU_DEP_2)
	v_sub_nc_u32_e32 v13, v7, v10
	s_wait_alu 0xfffd
	v_sub_co_ci_u32_e64 v7, null, v7, v10, vcc_lo
	v_subrev_co_ci_u32_e64 v9, null, s39, v13, vcc_lo
	v_add_co_u32 v13, s2, v11, 2
	s_wait_alu 0xf1ff
	v_add_co_ci_u32_e64 v14, null, 0, v12, s2
	v_sub_co_u32 v15, s2, v5, s38
	s_wait_alu 0xf1ff
	v_subrev_co_ci_u32_e64 v9, null, 0, v9, s2
	s_delay_alu instid0(VALU_DEP_2) | instskip(SKIP_2) | instid1(VALU_DEP_3)
	v_cmp_le_u32_e32 vcc_lo, s38, v15
	s_wait_alu 0xfffd
	v_cndmask_b32_e64 v10, 0, -1, vcc_lo
	v_cmp_le_u32_e32 vcc_lo, s39, v9
	s_wait_alu 0xfffd
	v_cndmask_b32_e64 v15, 0, -1, vcc_lo
	;; [unrolled: 3-line block ×4, first 2 shown]
	v_cmp_eq_u32_e32 vcc_lo, s39, v9
	s_wait_alu 0xfffd
	v_cndmask_b32_e32 v9, v15, v10, vcc_lo
	v_add_co_u32 v10, vcc_lo, v11, 1
	s_wait_alu 0xfffd
	v_add_co_ci_u32_e64 v15, null, 0, v12, vcc_lo
	v_cmp_eq_u32_e32 vcc_lo, s39, v7
	s_wait_alu 0xfffd
	v_cndmask_b32_e32 v5, v16, v5, vcc_lo
	v_cmp_ne_u32_e32 vcc_lo, 0, v9
	s_delay_alu instid0(VALU_DEP_2) | instskip(SKIP_4) | instid1(VALU_DEP_2)
	v_cmp_ne_u32_e64 s2, 0, v5
	s_wait_alu 0xfffd
	v_cndmask_b32_e32 v5, v10, v13, vcc_lo
	v_cndmask_b32_e32 v7, v15, v14, vcc_lo
	s_wait_alu 0xf1ff
	v_cndmask_b32_e64 v5, v11, v5, s2
	s_delay_alu instid0(VALU_DEP_2) | instskip(NEXT) | instid1(VALU_DEP_2)
	v_cndmask_b32_e64 v7, v12, v7, s2
	v_xor_b32_e32 v5, v5, v3
	s_delay_alu instid0(VALU_DEP_2) | instskip(NEXT) | instid1(VALU_DEP_2)
	v_xor_b32_e32 v7, v7, v3
	v_sub_co_u32 v10, vcc_lo, v5, v3
	s_wait_alu 0xfffd
	s_delay_alu instid0(VALU_DEP_2)
	v_sub_co_ci_u32_e64 v11, null, v7, v3, vcc_lo
.LBB72_28:                              ;   in Loop: Header=BB72_22 Depth=2
	s_wait_alu 0xfffe
	s_and_not1_saveexec_b32 s2, s27
	s_cbranch_execz .LBB72_30
; %bb.29:                               ;   in Loop: Header=BB72_22 Depth=2
	v_cvt_f32_u32_e32 v3, s30
	s_sub_co_i32 s18, 0, s30
	v_mov_b32_e32 v11, v2
	s_delay_alu instid0(VALU_DEP_2) | instskip(NEXT) | instid1(TRANS32_DEP_1)
	v_rcp_iflag_f32_e32 v3, v3
	v_mul_f32_e32 v3, 0x4f7ffffe, v3
	s_delay_alu instid0(VALU_DEP_1) | instskip(SKIP_1) | instid1(VALU_DEP_1)
	v_cvt_u32_f32_e32 v3, v3
	s_wait_alu 0xfffe
	v_mul_lo_u32 v5, s18, v3
	s_delay_alu instid0(VALU_DEP_1) | instskip(NEXT) | instid1(VALU_DEP_1)
	v_mul_hi_u32 v5, v3, v5
	v_add_nc_u32_e32 v3, v3, v5
	s_delay_alu instid0(VALU_DEP_1) | instskip(NEXT) | instid1(VALU_DEP_1)
	v_mul_hi_u32 v3, v8, v3
	v_mul_lo_u32 v5, v3, s30
	v_add_nc_u32_e32 v7, 1, v3
	s_delay_alu instid0(VALU_DEP_2) | instskip(NEXT) | instid1(VALU_DEP_1)
	v_sub_nc_u32_e32 v5, v8, v5
	v_cmp_le_u32_e32 vcc_lo, s30, v5
	v_subrev_nc_u32_e32 v9, s30, v5
	s_wait_alu 0xfffd
	v_cndmask_b32_e32 v3, v3, v7, vcc_lo
	s_delay_alu instid0(VALU_DEP_1) | instskip(NEXT) | instid1(VALU_DEP_3)
	v_add_nc_u32_e32 v7, 1, v3
	v_cndmask_b32_e32 v5, v5, v9, vcc_lo
	s_delay_alu instid0(VALU_DEP_1) | instskip(SKIP_1) | instid1(VALU_DEP_3)
	v_cmp_le_u32_e32 vcc_lo, s30, v5
	s_wait_alu 0xfffd
	v_cndmask_b32_e32 v10, v3, v7, vcc_lo
.LBB72_30:                              ;   in Loop: Header=BB72_22 Depth=2
	s_wait_alu 0xfffe
	s_or_b32 exec_lo, exec_lo, s2
	s_add_co_i32 s18, s26, 5
	s_add_nc_u64 s[36:37], s[0:1], s[36:37]
	s_wait_alu 0xfffe
	s_lshl_b64 s[38:39], s[18:19], 2
                                        ; implicit-def: $vgpr12_vgpr13
	s_mov_b32 s2, exec_lo
	s_wait_alu 0xfffe
	s_add_nc_u64 s[34:35], s[10:11], s[38:39]
	s_clause 0x1
	s_load_b32 s29, s[36:37], 0x6c
	s_load_b32 s34, s[34:35], 0x8
	s_wait_kmcnt 0x0
	s_ashr_i32 s35, s34, 31
	s_wait_alu 0xfffe
	v_or_b32_e32 v3, s35, v11
	s_delay_alu instid0(VALU_DEP_1)
	v_cmpx_ne_u64_e32 0, v[2:3]
	s_xor_b32 s27, exec_lo, s2
	s_cbranch_execz .LBB72_32
; %bb.31:                               ;   in Loop: Header=BB72_22 Depth=2
	s_ashr_i32 s36, s35, 31
	v_ashrrev_i32_e32 v3, 31, v11
	s_wait_alu 0xfffe
	s_mov_b32 s37, s36
	s_wait_alu 0xfffe
	s_add_nc_u64 s[40:41], s[34:35], s[36:37]
	v_add_co_u32 v5, vcc_lo, v10, v3
	s_wait_alu 0xfffe
	s_xor_b64 s[40:41], s[40:41], s[36:37]
	s_wait_alu 0xfffd
	v_add_co_ci_u32_e64 v7, null, v11, v3, vcc_lo
	s_wait_alu 0xfffe
	s_cvt_f32_u32 s2, s40
	s_cvt_f32_u32 s18, s41
	s_sub_nc_u64 s[44:45], 0, s[40:41]
	v_xor_b32_e32 v5, v5, v3
	v_xor_b32_e32 v7, v7, v3
	s_wait_alu 0xfffe
	s_fmamk_f32 s2, s18, 0x4f800000, s2
	v_xor_b32_e32 v3, s36, v3
	s_wait_alu 0xfffe
	s_delay_alu instid0(SALU_CYCLE_1) | instskip(NEXT) | instid1(TRANS32_DEP_1)
	v_s_rcp_f32 s2, s2
	s_mul_f32 s2, s2, 0x5f7ffffc
	s_wait_alu 0xfffe
	s_delay_alu instid0(SALU_CYCLE_2) | instskip(SKIP_1) | instid1(SALU_CYCLE_2)
	s_mul_f32 s18, s2, 0x2f800000
	s_wait_alu 0xfffe
	s_trunc_f32 s18, s18
	s_wait_alu 0xfffe
	s_delay_alu instid0(SALU_CYCLE_2) | instskip(SKIP_2) | instid1(SALU_CYCLE_1)
	s_fmamk_f32 s2, s18, 0xcf800000, s2
	s_cvt_u32_f32 s43, s18
	s_wait_alu 0xfffe
	s_cvt_u32_f32 s42, s2
	s_wait_alu 0xfffe
	s_delay_alu instid0(SALU_CYCLE_2)
	s_mul_u64 s[46:47], s[44:45], s[42:43]
	s_wait_alu 0xfffe
	s_mul_hi_u32 s49, s42, s47
	s_mul_i32 s48, s42, s47
	s_mul_hi_u32 s18, s42, s46
	s_mul_i32 s31, s43, s46
	s_wait_alu 0xfffe
	s_add_nc_u64 s[48:49], s[18:19], s[48:49]
	s_mul_hi_u32 s2, s43, s46
	s_mul_hi_u32 s35, s43, s47
	s_wait_alu 0xfffe
	s_add_co_u32 s18, s48, s31
	s_add_co_ci_u32 s18, s49, s2
	s_mul_i32 s46, s43, s47
	s_add_co_ci_u32 s47, s35, 0
	s_wait_alu 0xfffe
	s_add_nc_u64 s[46:47], s[18:19], s[46:47]
	s_wait_alu 0xfffe
	s_add_co_u32 s42, s42, s46
	s_cselect_b32 s2, -1, 0
	s_wait_alu 0xfffe
	s_cmp_lg_u32 s2, 0
	s_add_co_ci_u32 s43, s43, s47
	s_wait_alu 0xfffe
	s_mul_u64 s[44:45], s[44:45], s[42:43]
	s_wait_alu 0xfffe
	s_mul_hi_u32 s47, s42, s45
	s_mul_i32 s46, s42, s45
	s_mul_hi_u32 s18, s42, s44
	s_mul_i32 s31, s43, s44
	s_wait_alu 0xfffe
	s_add_nc_u64 s[46:47], s[18:19], s[46:47]
	s_mul_hi_u32 s2, s43, s44
	s_mul_hi_u32 s35, s43, s45
	s_wait_alu 0xfffe
	s_add_co_u32 s18, s46, s31
	s_add_co_ci_u32 s18, s47, s2
	s_mul_i32 s44, s43, s45
	s_add_co_ci_u32 s45, s35, 0
	s_wait_alu 0xfffe
	s_add_nc_u64 s[44:45], s[18:19], s[44:45]
	s_wait_alu 0xfffe
	s_add_co_u32 s2, s42, s44
	s_cselect_b32 s18, -1, 0
	s_wait_alu 0xfffe
	v_mul_hi_u32 v9, v5, s2
	s_cmp_lg_u32 s18, 0
	v_mad_co_u64_u32 v[13:14], null, v7, s2, 0
	s_add_co_ci_u32 s18, s43, s45
	s_wait_alu 0xfffe
	v_mad_co_u64_u32 v[11:12], null, v5, s18, 0
	v_mad_co_u64_u32 v[15:16], null, v7, s18, 0
	s_delay_alu instid0(VALU_DEP_2) | instskip(SKIP_1) | instid1(VALU_DEP_3)
	v_add_co_u32 v9, vcc_lo, v9, v11
	s_wait_alu 0xfffd
	v_add_co_ci_u32_e64 v11, null, 0, v12, vcc_lo
	s_delay_alu instid0(VALU_DEP_2) | instskip(SKIP_1) | instid1(VALU_DEP_2)
	v_add_co_u32 v9, vcc_lo, v9, v13
	s_wait_alu 0xfffd
	v_add_co_ci_u32_e32 v9, vcc_lo, v11, v14, vcc_lo
	s_wait_alu 0xfffd
	v_add_co_ci_u32_e32 v11, vcc_lo, 0, v16, vcc_lo
	s_delay_alu instid0(VALU_DEP_2) | instskip(SKIP_1) | instid1(VALU_DEP_2)
	v_add_co_u32 v9, vcc_lo, v9, v15
	s_wait_alu 0xfffd
	v_add_co_ci_u32_e64 v13, null, 0, v11, vcc_lo
	s_delay_alu instid0(VALU_DEP_2) | instskip(SKIP_1) | instid1(VALU_DEP_3)
	v_mul_lo_u32 v14, s41, v9
	v_mad_co_u64_u32 v[11:12], null, s40, v9, 0
	v_mul_lo_u32 v15, s40, v13
	s_delay_alu instid0(VALU_DEP_2) | instskip(NEXT) | instid1(VALU_DEP_2)
	v_sub_co_u32 v5, vcc_lo, v5, v11
	v_add3_u32 v12, v12, v15, v14
	s_delay_alu instid0(VALU_DEP_1) | instskip(SKIP_2) | instid1(VALU_DEP_2)
	v_sub_nc_u32_e32 v14, v7, v12
	s_wait_alu 0xfffd
	v_sub_co_ci_u32_e64 v7, null, v7, v12, vcc_lo
	v_subrev_co_ci_u32_e64 v11, null, s41, v14, vcc_lo
	v_add_co_u32 v14, s2, v9, 2
	s_wait_alu 0xf1ff
	v_add_co_ci_u32_e64 v15, null, 0, v13, s2
	v_sub_co_u32 v16, s2, v5, s40
	s_wait_alu 0xf1ff
	v_subrev_co_ci_u32_e64 v11, null, 0, v11, s2
	s_delay_alu instid0(VALU_DEP_2) | instskip(SKIP_2) | instid1(VALU_DEP_3)
	v_cmp_le_u32_e32 vcc_lo, s40, v16
	s_wait_alu 0xfffd
	v_cndmask_b32_e64 v12, 0, -1, vcc_lo
	v_cmp_le_u32_e32 vcc_lo, s41, v11
	s_wait_alu 0xfffd
	v_cndmask_b32_e64 v16, 0, -1, vcc_lo
	v_cmp_le_u32_e32 vcc_lo, s40, v5
	s_wait_alu 0xfffd
	v_cndmask_b32_e64 v5, 0, -1, vcc_lo
	v_cmp_le_u32_e32 vcc_lo, s41, v7
	s_wait_alu 0xfffd
	v_cndmask_b32_e64 v17, 0, -1, vcc_lo
	v_cmp_eq_u32_e32 vcc_lo, s41, v11
	s_wait_alu 0xfffd
	v_cndmask_b32_e32 v11, v16, v12, vcc_lo
	v_add_co_u32 v12, vcc_lo, v9, 1
	s_wait_alu 0xfffd
	v_add_co_ci_u32_e64 v16, null, 0, v13, vcc_lo
	v_cmp_eq_u32_e32 vcc_lo, s41, v7
	s_wait_alu 0xfffd
	v_cndmask_b32_e32 v5, v17, v5, vcc_lo
	v_cmp_ne_u32_e32 vcc_lo, 0, v11
	s_delay_alu instid0(VALU_DEP_2) | instskip(SKIP_4) | instid1(VALU_DEP_2)
	v_cmp_ne_u32_e64 s2, 0, v5
	s_wait_alu 0xfffd
	v_cndmask_b32_e32 v5, v12, v14, vcc_lo
	v_cndmask_b32_e32 v7, v16, v15, vcc_lo
	s_wait_alu 0xf1ff
	v_cndmask_b32_e64 v5, v9, v5, s2
	s_delay_alu instid0(VALU_DEP_2) | instskip(NEXT) | instid1(VALU_DEP_2)
	v_cndmask_b32_e64 v7, v13, v7, s2
	v_xor_b32_e32 v5, v5, v3
	s_delay_alu instid0(VALU_DEP_2) | instskip(NEXT) | instid1(VALU_DEP_2)
	v_xor_b32_e32 v7, v7, v3
	v_sub_co_u32 v12, vcc_lo, v5, v3
	s_wait_alu 0xfffd
	s_delay_alu instid0(VALU_DEP_2)
	v_sub_co_ci_u32_e64 v13, null, v7, v3, vcc_lo
.LBB72_32:                              ;   in Loop: Header=BB72_22 Depth=2
	s_wait_alu 0xfffe
	s_and_not1_saveexec_b32 s2, s27
	s_cbranch_execz .LBB72_34
; %bb.33:                               ;   in Loop: Header=BB72_22 Depth=2
	v_cvt_f32_u32_e32 v3, s34
	s_sub_co_i32 s18, 0, s34
	v_mov_b32_e32 v13, v2
	s_delay_alu instid0(VALU_DEP_2) | instskip(NEXT) | instid1(TRANS32_DEP_1)
	v_rcp_iflag_f32_e32 v3, v3
	v_mul_f32_e32 v3, 0x4f7ffffe, v3
	s_delay_alu instid0(VALU_DEP_1) | instskip(SKIP_1) | instid1(VALU_DEP_1)
	v_cvt_u32_f32_e32 v3, v3
	s_wait_alu 0xfffe
	v_mul_lo_u32 v5, s18, v3
	s_delay_alu instid0(VALU_DEP_1) | instskip(NEXT) | instid1(VALU_DEP_1)
	v_mul_hi_u32 v5, v3, v5
	v_add_nc_u32_e32 v3, v3, v5
	s_delay_alu instid0(VALU_DEP_1) | instskip(NEXT) | instid1(VALU_DEP_1)
	v_mul_hi_u32 v3, v10, v3
	v_mul_lo_u32 v5, v3, s34
	v_add_nc_u32_e32 v7, 1, v3
	s_delay_alu instid0(VALU_DEP_2) | instskip(NEXT) | instid1(VALU_DEP_1)
	v_sub_nc_u32_e32 v5, v10, v5
	v_cmp_le_u32_e32 vcc_lo, s34, v5
	v_subrev_nc_u32_e32 v9, s34, v5
	s_wait_alu 0xfffd
	v_cndmask_b32_e32 v3, v3, v7, vcc_lo
	s_delay_alu instid0(VALU_DEP_1) | instskip(NEXT) | instid1(VALU_DEP_3)
	v_add_nc_u32_e32 v7, 1, v3
	v_cndmask_b32_e32 v5, v5, v9, vcc_lo
	s_delay_alu instid0(VALU_DEP_1) | instskip(SKIP_1) | instid1(VALU_DEP_3)
	v_cmp_le_u32_e32 vcc_lo, s34, v5
	s_wait_alu 0xfffd
	v_cndmask_b32_e32 v12, v3, v7, vcc_lo
.LBB72_34:                              ;   in Loop: Header=BB72_22 Depth=2
	s_wait_alu 0xfffe
	s_or_b32 exec_lo, exec_lo, s2
	s_add_co_i32 s18, s26, 4
	s_add_nc_u64 s[38:39], s[0:1], s[38:39]
	s_wait_alu 0xfffe
	s_lshl_b64 s[40:41], s[18:19], 2
                                        ; implicit-def: $vgpr14_vgpr15
	s_mov_b32 s2, exec_lo
	s_wait_alu 0xfffe
	s_add_nc_u64 s[36:37], s[10:11], s[40:41]
	s_clause 0x1
	s_load_b32 s31, s[38:39], 0x6c
	s_load_b32 s36, s[36:37], 0x8
	s_wait_kmcnt 0x0
	s_ashr_i32 s37, s36, 31
	s_wait_alu 0xfffe
	v_or_b32_e32 v3, s37, v13
	s_delay_alu instid0(VALU_DEP_1)
	v_cmpx_ne_u64_e32 0, v[2:3]
	s_xor_b32 s27, exec_lo, s2
	s_cbranch_execz .LBB72_36
; %bb.35:                               ;   in Loop: Header=BB72_22 Depth=2
	s_ashr_i32 s38, s37, 31
	v_ashrrev_i32_e32 v3, 31, v13
	s_wait_alu 0xfffe
	s_mov_b32 s39, s38
	s_wait_alu 0xfffe
	s_add_nc_u64 s[42:43], s[36:37], s[38:39]
	v_add_co_u32 v5, vcc_lo, v12, v3
	s_wait_alu 0xfffe
	s_xor_b64 s[42:43], s[42:43], s[38:39]
	s_wait_alu 0xfffd
	v_add_co_ci_u32_e64 v7, null, v13, v3, vcc_lo
	s_wait_alu 0xfffe
	s_cvt_f32_u32 s2, s42
	s_cvt_f32_u32 s18, s43
	s_sub_nc_u64 s[46:47], 0, s[42:43]
	v_xor_b32_e32 v5, v5, v3
	v_xor_b32_e32 v7, v7, v3
	s_wait_alu 0xfffe
	s_fmamk_f32 s2, s18, 0x4f800000, s2
	v_xor_b32_e32 v3, s38, v3
	s_wait_alu 0xfffe
	s_delay_alu instid0(SALU_CYCLE_1) | instskip(NEXT) | instid1(TRANS32_DEP_1)
	v_s_rcp_f32 s2, s2
	s_mul_f32 s2, s2, 0x5f7ffffc
	s_wait_alu 0xfffe
	s_delay_alu instid0(SALU_CYCLE_2) | instskip(SKIP_1) | instid1(SALU_CYCLE_2)
	s_mul_f32 s18, s2, 0x2f800000
	s_wait_alu 0xfffe
	s_trunc_f32 s18, s18
	s_wait_alu 0xfffe
	s_delay_alu instid0(SALU_CYCLE_2) | instskip(SKIP_2) | instid1(SALU_CYCLE_1)
	s_fmamk_f32 s2, s18, 0xcf800000, s2
	s_cvt_u32_f32 s45, s18
	s_wait_alu 0xfffe
	s_cvt_u32_f32 s44, s2
	s_wait_alu 0xfffe
	s_delay_alu instid0(SALU_CYCLE_2)
	s_mul_u64 s[48:49], s[46:47], s[44:45]
	s_wait_alu 0xfffe
	s_mul_hi_u32 s51, s44, s49
	s_mul_i32 s50, s44, s49
	s_mul_hi_u32 s18, s44, s48
	s_mul_i32 s35, s45, s48
	s_wait_alu 0xfffe
	s_add_nc_u64 s[50:51], s[18:19], s[50:51]
	s_mul_hi_u32 s2, s45, s48
	s_mul_hi_u32 s37, s45, s49
	s_wait_alu 0xfffe
	s_add_co_u32 s18, s50, s35
	s_add_co_ci_u32 s18, s51, s2
	s_mul_i32 s48, s45, s49
	s_add_co_ci_u32 s49, s37, 0
	s_wait_alu 0xfffe
	s_add_nc_u64 s[48:49], s[18:19], s[48:49]
	s_wait_alu 0xfffe
	s_add_co_u32 s44, s44, s48
	s_cselect_b32 s2, -1, 0
	s_wait_alu 0xfffe
	s_cmp_lg_u32 s2, 0
	s_add_co_ci_u32 s45, s45, s49
	s_wait_alu 0xfffe
	s_mul_u64 s[46:47], s[46:47], s[44:45]
	s_wait_alu 0xfffe
	s_mul_hi_u32 s49, s44, s47
	s_mul_i32 s48, s44, s47
	s_mul_hi_u32 s18, s44, s46
	s_mul_i32 s35, s45, s46
	s_wait_alu 0xfffe
	s_add_nc_u64 s[48:49], s[18:19], s[48:49]
	s_mul_hi_u32 s2, s45, s46
	s_mul_hi_u32 s37, s45, s47
	s_wait_alu 0xfffe
	s_add_co_u32 s18, s48, s35
	s_add_co_ci_u32 s18, s49, s2
	s_mul_i32 s46, s45, s47
	s_add_co_ci_u32 s47, s37, 0
	s_wait_alu 0xfffe
	s_add_nc_u64 s[46:47], s[18:19], s[46:47]
	s_wait_alu 0xfffe
	s_add_co_u32 s2, s44, s46
	s_cselect_b32 s18, -1, 0
	s_wait_alu 0xfffe
	v_mul_hi_u32 v9, v5, s2
	s_cmp_lg_u32 s18, 0
	v_mad_co_u64_u32 v[15:16], null, v7, s2, 0
	s_add_co_ci_u32 s18, s45, s47
	s_wait_alu 0xfffe
	v_mad_co_u64_u32 v[13:14], null, v5, s18, 0
	v_mad_co_u64_u32 v[17:18], null, v7, s18, 0
	s_delay_alu instid0(VALU_DEP_2) | instskip(SKIP_1) | instid1(VALU_DEP_3)
	v_add_co_u32 v9, vcc_lo, v9, v13
	s_wait_alu 0xfffd
	v_add_co_ci_u32_e64 v11, null, 0, v14, vcc_lo
	s_delay_alu instid0(VALU_DEP_2) | instskip(SKIP_1) | instid1(VALU_DEP_2)
	v_add_co_u32 v9, vcc_lo, v9, v15
	s_wait_alu 0xfffd
	v_add_co_ci_u32_e32 v9, vcc_lo, v11, v16, vcc_lo
	s_wait_alu 0xfffd
	v_add_co_ci_u32_e32 v11, vcc_lo, 0, v18, vcc_lo
	s_delay_alu instid0(VALU_DEP_2) | instskip(SKIP_1) | instid1(VALU_DEP_2)
	v_add_co_u32 v9, vcc_lo, v9, v17
	s_wait_alu 0xfffd
	v_add_co_ci_u32_e64 v11, null, 0, v11, vcc_lo
	s_delay_alu instid0(VALU_DEP_2) | instskip(SKIP_1) | instid1(VALU_DEP_3)
	v_mul_lo_u32 v15, s43, v9
	v_mad_co_u64_u32 v[13:14], null, s42, v9, 0
	v_mul_lo_u32 v16, s42, v11
	s_delay_alu instid0(VALU_DEP_2) | instskip(NEXT) | instid1(VALU_DEP_2)
	v_sub_co_u32 v5, vcc_lo, v5, v13
	v_add3_u32 v14, v14, v16, v15
	s_delay_alu instid0(VALU_DEP_1) | instskip(SKIP_2) | instid1(VALU_DEP_2)
	v_sub_nc_u32_e32 v15, v7, v14
	s_wait_alu 0xfffd
	v_sub_co_ci_u32_e64 v7, null, v7, v14, vcc_lo
	v_subrev_co_ci_u32_e64 v13, null, s43, v15, vcc_lo
	v_add_co_u32 v15, s2, v9, 2
	s_wait_alu 0xf1ff
	v_add_co_ci_u32_e64 v16, null, 0, v11, s2
	v_sub_co_u32 v17, s2, v5, s42
	s_wait_alu 0xf1ff
	v_subrev_co_ci_u32_e64 v13, null, 0, v13, s2
	s_delay_alu instid0(VALU_DEP_2) | instskip(SKIP_2) | instid1(VALU_DEP_3)
	v_cmp_le_u32_e32 vcc_lo, s42, v17
	s_wait_alu 0xfffd
	v_cndmask_b32_e64 v14, 0, -1, vcc_lo
	v_cmp_le_u32_e32 vcc_lo, s43, v13
	s_wait_alu 0xfffd
	v_cndmask_b32_e64 v17, 0, -1, vcc_lo
	;; [unrolled: 3-line block ×4, first 2 shown]
	v_cmp_eq_u32_e32 vcc_lo, s43, v13
	s_wait_alu 0xfffd
	v_cndmask_b32_e32 v13, v17, v14, vcc_lo
	v_add_co_u32 v14, vcc_lo, v9, 1
	s_wait_alu 0xfffd
	v_add_co_ci_u32_e64 v17, null, 0, v11, vcc_lo
	v_cmp_eq_u32_e32 vcc_lo, s43, v7
	s_wait_alu 0xfffd
	v_cndmask_b32_e32 v5, v18, v5, vcc_lo
	v_cmp_ne_u32_e32 vcc_lo, 0, v13
	s_delay_alu instid0(VALU_DEP_2) | instskip(SKIP_4) | instid1(VALU_DEP_2)
	v_cmp_ne_u32_e64 s2, 0, v5
	s_wait_alu 0xfffd
	v_cndmask_b32_e32 v5, v14, v15, vcc_lo
	v_cndmask_b32_e32 v7, v17, v16, vcc_lo
	s_wait_alu 0xf1ff
	v_cndmask_b32_e64 v5, v9, v5, s2
	s_delay_alu instid0(VALU_DEP_2) | instskip(NEXT) | instid1(VALU_DEP_2)
	v_cndmask_b32_e64 v7, v11, v7, s2
	v_xor_b32_e32 v5, v5, v3
	s_delay_alu instid0(VALU_DEP_2) | instskip(NEXT) | instid1(VALU_DEP_2)
	v_xor_b32_e32 v7, v7, v3
	v_sub_co_u32 v14, vcc_lo, v5, v3
	s_wait_alu 0xfffd
	s_delay_alu instid0(VALU_DEP_2)
	v_sub_co_ci_u32_e64 v15, null, v7, v3, vcc_lo
.LBB72_36:                              ;   in Loop: Header=BB72_22 Depth=2
	s_wait_alu 0xfffe
	s_and_not1_saveexec_b32 s2, s27
	s_cbranch_execz .LBB72_38
; %bb.37:                               ;   in Loop: Header=BB72_22 Depth=2
	v_cvt_f32_u32_e32 v3, s36
	s_sub_co_i32 s18, 0, s36
	v_mov_b32_e32 v15, v2
	s_delay_alu instid0(VALU_DEP_2) | instskip(NEXT) | instid1(TRANS32_DEP_1)
	v_rcp_iflag_f32_e32 v3, v3
	v_mul_f32_e32 v3, 0x4f7ffffe, v3
	s_delay_alu instid0(VALU_DEP_1) | instskip(SKIP_1) | instid1(VALU_DEP_1)
	v_cvt_u32_f32_e32 v3, v3
	s_wait_alu 0xfffe
	v_mul_lo_u32 v5, s18, v3
	s_delay_alu instid0(VALU_DEP_1) | instskip(NEXT) | instid1(VALU_DEP_1)
	v_mul_hi_u32 v5, v3, v5
	v_add_nc_u32_e32 v3, v3, v5
	s_delay_alu instid0(VALU_DEP_1) | instskip(NEXT) | instid1(VALU_DEP_1)
	v_mul_hi_u32 v3, v12, v3
	v_mul_lo_u32 v5, v3, s36
	v_add_nc_u32_e32 v7, 1, v3
	s_delay_alu instid0(VALU_DEP_2) | instskip(NEXT) | instid1(VALU_DEP_1)
	v_sub_nc_u32_e32 v5, v12, v5
	v_cmp_le_u32_e32 vcc_lo, s36, v5
	v_subrev_nc_u32_e32 v9, s36, v5
	s_wait_alu 0xfffd
	v_cndmask_b32_e32 v3, v3, v7, vcc_lo
	s_delay_alu instid0(VALU_DEP_1) | instskip(NEXT) | instid1(VALU_DEP_3)
	v_add_nc_u32_e32 v7, 1, v3
	v_cndmask_b32_e32 v5, v5, v9, vcc_lo
	s_delay_alu instid0(VALU_DEP_1) | instskip(SKIP_1) | instid1(VALU_DEP_3)
	v_cmp_le_u32_e32 vcc_lo, s36, v5
	s_wait_alu 0xfffd
	v_cndmask_b32_e32 v14, v3, v7, vcc_lo
.LBB72_38:                              ;   in Loop: Header=BB72_22 Depth=2
	s_wait_alu 0xfffe
	s_or_b32 exec_lo, exec_lo, s2
	s_add_co_i32 s18, s26, 3
	s_add_nc_u64 s[40:41], s[0:1], s[40:41]
	s_wait_alu 0xfffe
	s_lshl_b64 s[42:43], s[18:19], 2
                                        ; implicit-def: $vgpr16_vgpr17
	s_mov_b32 s2, exec_lo
	s_wait_alu 0xfffe
	s_add_nc_u64 s[38:39], s[10:11], s[42:43]
	s_clause 0x1
	s_load_b32 s35, s[40:41], 0x6c
	s_load_b32 s38, s[38:39], 0x8
	s_wait_kmcnt 0x0
	s_ashr_i32 s39, s38, 31
	s_wait_alu 0xfffe
	v_or_b32_e32 v3, s39, v15
	s_delay_alu instid0(VALU_DEP_1)
	v_cmpx_ne_u64_e32 0, v[2:3]
	s_xor_b32 s27, exec_lo, s2
	s_cbranch_execz .LBB72_40
; %bb.39:                               ;   in Loop: Header=BB72_22 Depth=2
	s_ashr_i32 s40, s39, 31
	v_ashrrev_i32_e32 v3, 31, v15
	s_wait_alu 0xfffe
	s_mov_b32 s41, s40
	s_wait_alu 0xfffe
	s_add_nc_u64 s[44:45], s[38:39], s[40:41]
	v_add_co_u32 v5, vcc_lo, v14, v3
	s_wait_alu 0xfffe
	s_xor_b64 s[44:45], s[44:45], s[40:41]
	s_wait_alu 0xfffd
	v_add_co_ci_u32_e64 v7, null, v15, v3, vcc_lo
	s_wait_alu 0xfffe
	s_cvt_f32_u32 s2, s44
	s_cvt_f32_u32 s18, s45
	s_sub_nc_u64 s[48:49], 0, s[44:45]
	v_xor_b32_e32 v5, v5, v3
	v_xor_b32_e32 v7, v7, v3
	s_wait_alu 0xfffe
	s_fmamk_f32 s2, s18, 0x4f800000, s2
	v_xor_b32_e32 v3, s40, v3
	s_wait_alu 0xfffe
	s_delay_alu instid0(SALU_CYCLE_1) | instskip(NEXT) | instid1(TRANS32_DEP_1)
	v_s_rcp_f32 s2, s2
	s_mul_f32 s2, s2, 0x5f7ffffc
	s_wait_alu 0xfffe
	s_delay_alu instid0(SALU_CYCLE_2) | instskip(SKIP_1) | instid1(SALU_CYCLE_2)
	s_mul_f32 s18, s2, 0x2f800000
	s_wait_alu 0xfffe
	s_trunc_f32 s18, s18
	s_wait_alu 0xfffe
	s_delay_alu instid0(SALU_CYCLE_2) | instskip(SKIP_2) | instid1(SALU_CYCLE_1)
	s_fmamk_f32 s2, s18, 0xcf800000, s2
	s_cvt_u32_f32 s47, s18
	s_wait_alu 0xfffe
	s_cvt_u32_f32 s46, s2
	s_wait_alu 0xfffe
	s_delay_alu instid0(SALU_CYCLE_2)
	s_mul_u64 s[50:51], s[48:49], s[46:47]
	s_wait_alu 0xfffe
	s_mul_hi_u32 s59, s46, s51
	s_mul_i32 s58, s46, s51
	s_mul_hi_u32 s18, s46, s50
	s_mul_i32 s37, s47, s50
	s_wait_alu 0xfffe
	s_add_nc_u64 s[58:59], s[18:19], s[58:59]
	s_mul_hi_u32 s2, s47, s50
	s_mul_hi_u32 s39, s47, s51
	s_add_co_u32 s18, s58, s37
	s_wait_alu 0xfffe
	s_add_co_ci_u32 s18, s59, s2
	s_mul_i32 s50, s47, s51
	s_add_co_ci_u32 s51, s39, 0
	s_wait_alu 0xfffe
	s_add_nc_u64 s[50:51], s[18:19], s[50:51]
	s_wait_alu 0xfffe
	s_add_co_u32 s46, s46, s50
	s_cselect_b32 s2, -1, 0
	s_wait_alu 0xfffe
	s_cmp_lg_u32 s2, 0
	s_add_co_ci_u32 s47, s47, s51
	s_wait_alu 0xfffe
	s_mul_u64 s[48:49], s[48:49], s[46:47]
	s_wait_alu 0xfffe
	s_mul_hi_u32 s51, s46, s49
	s_mul_i32 s50, s46, s49
	s_mul_hi_u32 s18, s46, s48
	s_mul_i32 s37, s47, s48
	s_wait_alu 0xfffe
	s_add_nc_u64 s[50:51], s[18:19], s[50:51]
	s_mul_hi_u32 s2, s47, s48
	s_mul_hi_u32 s39, s47, s49
	s_wait_alu 0xfffe
	s_add_co_u32 s18, s50, s37
	s_add_co_ci_u32 s18, s51, s2
	s_mul_i32 s48, s47, s49
	s_add_co_ci_u32 s49, s39, 0
	s_wait_alu 0xfffe
	s_add_nc_u64 s[48:49], s[18:19], s[48:49]
	s_wait_alu 0xfffe
	s_add_co_u32 s2, s46, s48
	s_cselect_b32 s18, -1, 0
	s_wait_alu 0xfffe
	v_mul_hi_u32 v9, v5, s2
	s_cmp_lg_u32 s18, 0
	v_mad_co_u64_u32 v[17:18], null, v7, s2, 0
	s_add_co_ci_u32 s18, s47, s49
	s_wait_alu 0xfffe
	v_mad_co_u64_u32 v[15:16], null, v5, s18, 0
	v_mad_co_u64_u32 v[19:20], null, v7, s18, 0
	s_delay_alu instid0(VALU_DEP_2) | instskip(SKIP_1) | instid1(VALU_DEP_3)
	v_add_co_u32 v9, vcc_lo, v9, v15
	s_wait_alu 0xfffd
	v_add_co_ci_u32_e64 v11, null, 0, v16, vcc_lo
	s_delay_alu instid0(VALU_DEP_2) | instskip(SKIP_1) | instid1(VALU_DEP_2)
	v_add_co_u32 v9, vcc_lo, v9, v17
	s_wait_alu 0xfffd
	v_add_co_ci_u32_e32 v9, vcc_lo, v11, v18, vcc_lo
	s_wait_alu 0xfffd
	v_add_co_ci_u32_e32 v11, vcc_lo, 0, v20, vcc_lo
	s_delay_alu instid0(VALU_DEP_2) | instskip(SKIP_1) | instid1(VALU_DEP_2)
	v_add_co_u32 v9, vcc_lo, v9, v19
	s_wait_alu 0xfffd
	v_add_co_ci_u32_e64 v11, null, 0, v11, vcc_lo
	s_delay_alu instid0(VALU_DEP_2) | instskip(SKIP_1) | instid1(VALU_DEP_3)
	v_mul_lo_u32 v13, s45, v9
	v_mad_co_u64_u32 v[15:16], null, s44, v9, 0
	v_mul_lo_u32 v17, s44, v11
	s_delay_alu instid0(VALU_DEP_2) | instskip(NEXT) | instid1(VALU_DEP_2)
	v_sub_co_u32 v5, vcc_lo, v5, v15
	v_add3_u32 v13, v16, v17, v13
	s_delay_alu instid0(VALU_DEP_1) | instskip(SKIP_2) | instid1(VALU_DEP_2)
	v_sub_nc_u32_e32 v16, v7, v13
	s_wait_alu 0xfffd
	v_sub_co_ci_u32_e64 v7, null, v7, v13, vcc_lo
	v_subrev_co_ci_u32_e64 v15, null, s45, v16, vcc_lo
	v_add_co_u32 v16, s2, v9, 2
	s_wait_alu 0xf1ff
	v_add_co_ci_u32_e64 v17, null, 0, v11, s2
	v_sub_co_u32 v18, s2, v5, s44
	s_wait_alu 0xf1ff
	v_subrev_co_ci_u32_e64 v15, null, 0, v15, s2
	s_delay_alu instid0(VALU_DEP_2) | instskip(SKIP_2) | instid1(VALU_DEP_3)
	v_cmp_le_u32_e32 vcc_lo, s44, v18
	s_wait_alu 0xfffd
	v_cndmask_b32_e64 v13, 0, -1, vcc_lo
	v_cmp_le_u32_e32 vcc_lo, s45, v15
	s_wait_alu 0xfffd
	v_cndmask_b32_e64 v18, 0, -1, vcc_lo
	;; [unrolled: 3-line block ×4, first 2 shown]
	v_cmp_eq_u32_e32 vcc_lo, s45, v15
	s_wait_alu 0xfffd
	v_cndmask_b32_e32 v13, v18, v13, vcc_lo
	v_add_co_u32 v15, vcc_lo, v9, 1
	s_wait_alu 0xfffd
	v_add_co_ci_u32_e64 v18, null, 0, v11, vcc_lo
	v_cmp_eq_u32_e32 vcc_lo, s45, v7
	s_wait_alu 0xfffd
	v_cndmask_b32_e32 v5, v19, v5, vcc_lo
	v_cmp_ne_u32_e32 vcc_lo, 0, v13
	s_delay_alu instid0(VALU_DEP_2) | instskip(SKIP_4) | instid1(VALU_DEP_2)
	v_cmp_ne_u32_e64 s2, 0, v5
	s_wait_alu 0xfffd
	v_cndmask_b32_e32 v5, v15, v16, vcc_lo
	v_cndmask_b32_e32 v7, v18, v17, vcc_lo
	s_wait_alu 0xf1ff
	v_cndmask_b32_e64 v5, v9, v5, s2
	s_delay_alu instid0(VALU_DEP_2) | instskip(NEXT) | instid1(VALU_DEP_2)
	v_cndmask_b32_e64 v7, v11, v7, s2
	v_xor_b32_e32 v5, v5, v3
	s_delay_alu instid0(VALU_DEP_2) | instskip(NEXT) | instid1(VALU_DEP_2)
	v_xor_b32_e32 v7, v7, v3
	v_sub_co_u32 v16, vcc_lo, v5, v3
	s_wait_alu 0xfffd
	s_delay_alu instid0(VALU_DEP_2)
	v_sub_co_ci_u32_e64 v17, null, v7, v3, vcc_lo
.LBB72_40:                              ;   in Loop: Header=BB72_22 Depth=2
	s_wait_alu 0xfffe
	s_and_not1_saveexec_b32 s2, s27
	s_cbranch_execz .LBB72_42
; %bb.41:                               ;   in Loop: Header=BB72_22 Depth=2
	v_cvt_f32_u32_e32 v3, s38
	s_sub_co_i32 s18, 0, s38
	v_mov_b32_e32 v17, v2
	s_delay_alu instid0(VALU_DEP_2) | instskip(NEXT) | instid1(TRANS32_DEP_1)
	v_rcp_iflag_f32_e32 v3, v3
	v_mul_f32_e32 v3, 0x4f7ffffe, v3
	s_delay_alu instid0(VALU_DEP_1) | instskip(SKIP_1) | instid1(VALU_DEP_1)
	v_cvt_u32_f32_e32 v3, v3
	s_wait_alu 0xfffe
	v_mul_lo_u32 v5, s18, v3
	s_delay_alu instid0(VALU_DEP_1) | instskip(NEXT) | instid1(VALU_DEP_1)
	v_mul_hi_u32 v5, v3, v5
	v_add_nc_u32_e32 v3, v3, v5
	s_delay_alu instid0(VALU_DEP_1) | instskip(NEXT) | instid1(VALU_DEP_1)
	v_mul_hi_u32 v3, v14, v3
	v_mul_lo_u32 v5, v3, s38
	v_add_nc_u32_e32 v7, 1, v3
	s_delay_alu instid0(VALU_DEP_2) | instskip(NEXT) | instid1(VALU_DEP_1)
	v_sub_nc_u32_e32 v5, v14, v5
	v_cmp_le_u32_e32 vcc_lo, s38, v5
	v_subrev_nc_u32_e32 v9, s38, v5
	s_wait_alu 0xfffd
	v_cndmask_b32_e32 v3, v3, v7, vcc_lo
	s_delay_alu instid0(VALU_DEP_1) | instskip(NEXT) | instid1(VALU_DEP_3)
	v_add_nc_u32_e32 v7, 1, v3
	v_cndmask_b32_e32 v5, v5, v9, vcc_lo
	s_delay_alu instid0(VALU_DEP_1) | instskip(SKIP_1) | instid1(VALU_DEP_3)
	v_cmp_le_u32_e32 vcc_lo, s38, v5
	s_wait_alu 0xfffd
	v_cndmask_b32_e32 v16, v3, v7, vcc_lo
.LBB72_42:                              ;   in Loop: Header=BB72_22 Depth=2
	s_wait_alu 0xfffe
	s_or_b32 exec_lo, exec_lo, s2
	s_add_co_i32 s18, s26, 2
	s_add_nc_u64 s[42:43], s[0:1], s[42:43]
	s_wait_alu 0xfffe
	s_lshl_b64 s[44:45], s[18:19], 2
                                        ; implicit-def: $vgpr18_vgpr19
	s_mov_b32 s2, exec_lo
	s_wait_alu 0xfffe
	s_add_nc_u64 s[40:41], s[10:11], s[44:45]
	s_clause 0x1
	s_load_b32 s37, s[42:43], 0x6c
	s_load_b32 s40, s[40:41], 0x8
	s_wait_kmcnt 0x0
	s_ashr_i32 s41, s40, 31
	s_wait_alu 0xfffe
	v_or_b32_e32 v3, s41, v17
	s_delay_alu instid0(VALU_DEP_1)
	v_cmpx_ne_u64_e32 0, v[2:3]
	s_xor_b32 s27, exec_lo, s2
	s_cbranch_execz .LBB72_44
; %bb.43:                               ;   in Loop: Header=BB72_22 Depth=2
	s_ashr_i32 s42, s41, 31
	v_ashrrev_i32_e32 v3, 31, v17
	s_wait_alu 0xfffe
	s_mov_b32 s43, s42
	s_wait_alu 0xfffe
	s_add_nc_u64 s[46:47], s[40:41], s[42:43]
	v_add_co_u32 v5, vcc_lo, v16, v3
	s_wait_alu 0xfffe
	s_xor_b64 s[46:47], s[46:47], s[42:43]
	s_wait_alu 0xfffd
	v_add_co_ci_u32_e64 v7, null, v17, v3, vcc_lo
	s_wait_alu 0xfffe
	s_cvt_f32_u32 s2, s46
	s_cvt_f32_u32 s18, s47
	s_sub_nc_u64 s[50:51], 0, s[46:47]
	v_xor_b32_e32 v5, v5, v3
	v_xor_b32_e32 v7, v7, v3
	s_wait_alu 0xfffe
	s_fmamk_f32 s2, s18, 0x4f800000, s2
	v_xor_b32_e32 v3, s42, v3
	s_wait_alu 0xfffe
	s_delay_alu instid0(SALU_CYCLE_1) | instskip(NEXT) | instid1(TRANS32_DEP_1)
	v_s_rcp_f32 s2, s2
	s_mul_f32 s2, s2, 0x5f7ffffc
	s_wait_alu 0xfffe
	s_delay_alu instid0(SALU_CYCLE_2) | instskip(SKIP_1) | instid1(SALU_CYCLE_2)
	s_mul_f32 s18, s2, 0x2f800000
	s_wait_alu 0xfffe
	s_trunc_f32 s18, s18
	s_wait_alu 0xfffe
	s_delay_alu instid0(SALU_CYCLE_2) | instskip(SKIP_2) | instid1(SALU_CYCLE_1)
	s_fmamk_f32 s2, s18, 0xcf800000, s2
	s_cvt_u32_f32 s49, s18
	s_wait_alu 0xfffe
	s_cvt_u32_f32 s48, s2
	s_wait_alu 0xfffe
	s_delay_alu instid0(SALU_CYCLE_2) | instskip(NEXT) | instid1(SALU_CYCLE_1)
	s_mul_u64 s[58:59], s[50:51], s[48:49]
	s_mul_hi_u32 s61, s48, s59
	s_mul_i32 s60, s48, s59
	s_mul_hi_u32 s18, s48, s58
	s_mul_i32 s39, s49, s58
	s_wait_alu 0xfffe
	s_add_nc_u64 s[60:61], s[18:19], s[60:61]
	s_mul_hi_u32 s2, s49, s58
	s_mul_hi_u32 s41, s49, s59
	s_add_co_u32 s18, s60, s39
	s_wait_alu 0xfffe
	s_add_co_ci_u32 s18, s61, s2
	s_mul_i32 s58, s49, s59
	s_add_co_ci_u32 s59, s41, 0
	s_wait_alu 0xfffe
	s_add_nc_u64 s[58:59], s[18:19], s[58:59]
	s_delay_alu instid0(SALU_CYCLE_1)
	s_add_co_u32 s48, s48, s58
	s_cselect_b32 s2, -1, 0
	s_wait_alu 0xfffe
	s_cmp_lg_u32 s2, 0
	s_add_co_ci_u32 s49, s49, s59
	s_wait_alu 0xfffe
	s_mul_u64 s[50:51], s[50:51], s[48:49]
	s_wait_alu 0xfffe
	s_mul_hi_u32 s59, s48, s51
	s_mul_i32 s58, s48, s51
	s_mul_hi_u32 s18, s48, s50
	s_mul_i32 s39, s49, s50
	s_wait_alu 0xfffe
	s_add_nc_u64 s[58:59], s[18:19], s[58:59]
	s_mul_hi_u32 s2, s49, s50
	s_mul_hi_u32 s41, s49, s51
	s_add_co_u32 s18, s58, s39
	s_wait_alu 0xfffe
	s_add_co_ci_u32 s18, s59, s2
	s_mul_i32 s50, s49, s51
	s_add_co_ci_u32 s51, s41, 0
	s_wait_alu 0xfffe
	s_add_nc_u64 s[50:51], s[18:19], s[50:51]
	s_wait_alu 0xfffe
	s_add_co_u32 s2, s48, s50
	s_cselect_b32 s18, -1, 0
	s_wait_alu 0xfffe
	v_mul_hi_u32 v9, v5, s2
	s_cmp_lg_u32 s18, 0
	v_mad_co_u64_u32 v[19:20], null, v7, s2, 0
	s_add_co_ci_u32 s18, s49, s51
	s_wait_alu 0xfffe
	v_mad_co_u64_u32 v[17:18], null, v5, s18, 0
	v_mad_co_u64_u32 v[21:22], null, v7, s18, 0
	s_delay_alu instid0(VALU_DEP_2) | instskip(SKIP_1) | instid1(VALU_DEP_3)
	v_add_co_u32 v9, vcc_lo, v9, v17
	s_wait_alu 0xfffd
	v_add_co_ci_u32_e64 v11, null, 0, v18, vcc_lo
	s_delay_alu instid0(VALU_DEP_2) | instskip(SKIP_1) | instid1(VALU_DEP_2)
	v_add_co_u32 v9, vcc_lo, v9, v19
	s_wait_alu 0xfffd
	v_add_co_ci_u32_e32 v9, vcc_lo, v11, v20, vcc_lo
	s_wait_alu 0xfffd
	v_add_co_ci_u32_e32 v11, vcc_lo, 0, v22, vcc_lo
	s_delay_alu instid0(VALU_DEP_2) | instskip(SKIP_1) | instid1(VALU_DEP_2)
	v_add_co_u32 v9, vcc_lo, v9, v21
	s_wait_alu 0xfffd
	v_add_co_ci_u32_e64 v11, null, 0, v11, vcc_lo
	s_delay_alu instid0(VALU_DEP_2) | instskip(SKIP_1) | instid1(VALU_DEP_3)
	v_mul_lo_u32 v13, s47, v9
	v_mad_co_u64_u32 v[17:18], null, s46, v9, 0
	v_mul_lo_u32 v15, s46, v11
	s_delay_alu instid0(VALU_DEP_2) | instskip(NEXT) | instid1(VALU_DEP_2)
	v_sub_co_u32 v5, vcc_lo, v5, v17
	v_add3_u32 v13, v18, v15, v13
	v_add_co_u32 v17, s2, v9, 2
	s_wait_alu 0xf1ff
	v_add_co_ci_u32_e64 v18, null, 0, v11, s2
	s_delay_alu instid0(VALU_DEP_3) | instskip(SKIP_3) | instid1(VALU_DEP_3)
	v_sub_nc_u32_e32 v15, v7, v13
	v_sub_co_u32 v19, s2, v5, s46
	s_wait_alu 0xfffd
	v_sub_co_ci_u32_e64 v7, null, v7, v13, vcc_lo
	v_subrev_co_ci_u32_e64 v15, null, s47, v15, vcc_lo
	s_delay_alu instid0(VALU_DEP_3) | instskip(SKIP_1) | instid1(VALU_DEP_2)
	v_cmp_le_u32_e32 vcc_lo, s46, v19
	s_wait_alu 0xf1ff
	v_subrev_co_ci_u32_e64 v15, null, 0, v15, s2
	s_wait_alu 0xfffd
	v_cndmask_b32_e64 v13, 0, -1, vcc_lo
	s_delay_alu instid0(VALU_DEP_2)
	v_cmp_le_u32_e32 vcc_lo, s47, v15
	s_wait_alu 0xfffd
	v_cndmask_b32_e64 v19, 0, -1, vcc_lo
	v_cmp_le_u32_e32 vcc_lo, s46, v5
	s_wait_alu 0xfffd
	v_cndmask_b32_e64 v5, 0, -1, vcc_lo
	;; [unrolled: 3-line block ×3, first 2 shown]
	v_cmp_eq_u32_e32 vcc_lo, s47, v15
	s_wait_alu 0xfffd
	v_cndmask_b32_e32 v13, v19, v13, vcc_lo
	v_add_co_u32 v15, vcc_lo, v9, 1
	s_wait_alu 0xfffd
	v_add_co_ci_u32_e64 v19, null, 0, v11, vcc_lo
	v_cmp_eq_u32_e32 vcc_lo, s47, v7
	s_wait_alu 0xfffd
	v_cndmask_b32_e32 v5, v20, v5, vcc_lo
	v_cmp_ne_u32_e32 vcc_lo, 0, v13
	s_delay_alu instid0(VALU_DEP_2) | instskip(SKIP_4) | instid1(VALU_DEP_2)
	v_cmp_ne_u32_e64 s2, 0, v5
	s_wait_alu 0xfffd
	v_cndmask_b32_e32 v5, v15, v17, vcc_lo
	v_cndmask_b32_e32 v7, v19, v18, vcc_lo
	s_wait_alu 0xf1ff
	v_cndmask_b32_e64 v5, v9, v5, s2
	s_delay_alu instid0(VALU_DEP_2) | instskip(NEXT) | instid1(VALU_DEP_2)
	v_cndmask_b32_e64 v7, v11, v7, s2
	v_xor_b32_e32 v5, v5, v3
	s_delay_alu instid0(VALU_DEP_2) | instskip(NEXT) | instid1(VALU_DEP_2)
	v_xor_b32_e32 v7, v7, v3
	v_sub_co_u32 v18, vcc_lo, v5, v3
	s_wait_alu 0xfffd
	s_delay_alu instid0(VALU_DEP_2)
	v_sub_co_ci_u32_e64 v19, null, v7, v3, vcc_lo
.LBB72_44:                              ;   in Loop: Header=BB72_22 Depth=2
	s_wait_alu 0xfffe
	s_and_not1_saveexec_b32 s2, s27
	s_cbranch_execz .LBB72_46
; %bb.45:                               ;   in Loop: Header=BB72_22 Depth=2
	v_cvt_f32_u32_e32 v3, s40
	s_sub_co_i32 s18, 0, s40
	v_mov_b32_e32 v19, v2
	s_delay_alu instid0(VALU_DEP_2) | instskip(NEXT) | instid1(TRANS32_DEP_1)
	v_rcp_iflag_f32_e32 v3, v3
	v_mul_f32_e32 v3, 0x4f7ffffe, v3
	s_delay_alu instid0(VALU_DEP_1) | instskip(SKIP_1) | instid1(VALU_DEP_1)
	v_cvt_u32_f32_e32 v3, v3
	s_wait_alu 0xfffe
	v_mul_lo_u32 v5, s18, v3
	s_delay_alu instid0(VALU_DEP_1) | instskip(NEXT) | instid1(VALU_DEP_1)
	v_mul_hi_u32 v5, v3, v5
	v_add_nc_u32_e32 v3, v3, v5
	s_delay_alu instid0(VALU_DEP_1) | instskip(NEXT) | instid1(VALU_DEP_1)
	v_mul_hi_u32 v3, v16, v3
	v_mul_lo_u32 v5, v3, s40
	v_add_nc_u32_e32 v7, 1, v3
	s_delay_alu instid0(VALU_DEP_2) | instskip(NEXT) | instid1(VALU_DEP_1)
	v_sub_nc_u32_e32 v5, v16, v5
	v_cmp_le_u32_e32 vcc_lo, s40, v5
	v_subrev_nc_u32_e32 v9, s40, v5
	s_wait_alu 0xfffd
	v_cndmask_b32_e32 v3, v3, v7, vcc_lo
	s_delay_alu instid0(VALU_DEP_1) | instskip(NEXT) | instid1(VALU_DEP_3)
	v_add_nc_u32_e32 v7, 1, v3
	v_cndmask_b32_e32 v5, v5, v9, vcc_lo
	s_delay_alu instid0(VALU_DEP_1) | instskip(SKIP_1) | instid1(VALU_DEP_3)
	v_cmp_le_u32_e32 vcc_lo, s40, v5
	s_wait_alu 0xfffd
	v_cndmask_b32_e32 v18, v3, v7, vcc_lo
.LBB72_46:                              ;   in Loop: Header=BB72_22 Depth=2
	s_wait_alu 0xfffe
	s_or_b32 exec_lo, exec_lo, s2
	s_add_co_i32 s18, s26, 1
	s_add_nc_u64 s[44:45], s[0:1], s[44:45]
	s_wait_alu 0xfffe
	s_lshl_b64 s[48:49], s[18:19], 2
                                        ; implicit-def: $vgpr20_vgpr21
	s_mov_b32 s2, exec_lo
	s_wait_alu 0xfffe
	s_add_nc_u64 s[42:43], s[10:11], s[48:49]
	s_clause 0x1
	s_load_b32 s39, s[44:45], 0x6c
	s_load_b32 s42, s[42:43], 0x8
	s_wait_kmcnt 0x0
	s_ashr_i32 s43, s42, 31
	s_wait_alu 0xfffe
	v_or_b32_e32 v3, s43, v19
	s_delay_alu instid0(VALU_DEP_1)
	v_cmpx_ne_u64_e32 0, v[2:3]
	s_xor_b32 s27, exec_lo, s2
	s_cbranch_execz .LBB72_48
; %bb.47:                               ;   in Loop: Header=BB72_22 Depth=2
	s_ashr_i32 s44, s43, 31
	v_ashrrev_i32_e32 v3, 31, v19
	s_wait_alu 0xfffe
	s_mov_b32 s45, s44
	s_wait_alu 0xfffe
	s_add_nc_u64 s[46:47], s[42:43], s[44:45]
	v_add_co_u32 v5, vcc_lo, v18, v3
	s_wait_alu 0xfffe
	s_xor_b64 s[46:47], s[46:47], s[44:45]
	s_wait_alu 0xfffd
	v_add_co_ci_u32_e64 v7, null, v19, v3, vcc_lo
	s_wait_alu 0xfffe
	s_cvt_f32_u32 s2, s46
	s_cvt_f32_u32 s18, s47
	s_sub_nc_u64 s[58:59], 0, s[46:47]
	v_xor_b32_e32 v5, v5, v3
	v_xor_b32_e32 v7, v7, v3
	s_wait_alu 0xfffe
	s_fmamk_f32 s2, s18, 0x4f800000, s2
	v_xor_b32_e32 v3, s44, v3
	s_wait_alu 0xfffe
	s_delay_alu instid0(SALU_CYCLE_1) | instskip(NEXT) | instid1(TRANS32_DEP_1)
	v_s_rcp_f32 s2, s2
	s_mul_f32 s2, s2, 0x5f7ffffc
	s_wait_alu 0xfffe
	s_delay_alu instid0(SALU_CYCLE_2) | instskip(SKIP_1) | instid1(SALU_CYCLE_2)
	s_mul_f32 s18, s2, 0x2f800000
	s_wait_alu 0xfffe
	s_trunc_f32 s18, s18
	s_wait_alu 0xfffe
	s_delay_alu instid0(SALU_CYCLE_2) | instskip(SKIP_2) | instid1(SALU_CYCLE_1)
	s_fmamk_f32 s2, s18, 0xcf800000, s2
	s_cvt_u32_f32 s51, s18
	s_wait_alu 0xfffe
	s_cvt_u32_f32 s50, s2
	s_wait_alu 0xfffe
	s_delay_alu instid0(SALU_CYCLE_2) | instskip(NEXT) | instid1(SALU_CYCLE_1)
	s_mul_u64 s[60:61], s[58:59], s[50:51]
	s_mul_hi_u32 s63, s50, s61
	s_mul_i32 s62, s50, s61
	s_mul_hi_u32 s18, s50, s60
	s_mul_i32 s41, s51, s60
	s_wait_alu 0xfffe
	s_add_nc_u64 s[62:63], s[18:19], s[62:63]
	s_mul_hi_u32 s2, s51, s60
	s_mul_hi_u32 s43, s51, s61
	s_add_co_u32 s18, s62, s41
	s_wait_alu 0xfffe
	s_add_co_ci_u32 s18, s63, s2
	s_mul_i32 s60, s51, s61
	s_add_co_ci_u32 s61, s43, 0
	s_wait_alu 0xfffe
	s_add_nc_u64 s[60:61], s[18:19], s[60:61]
	s_delay_alu instid0(SALU_CYCLE_1)
	s_add_co_u32 s50, s50, s60
	s_cselect_b32 s2, -1, 0
	s_wait_alu 0xfffe
	s_cmp_lg_u32 s2, 0
	s_add_co_ci_u32 s51, s51, s61
	s_wait_alu 0xfffe
	s_mul_u64 s[58:59], s[58:59], s[50:51]
	s_delay_alu instid0(SALU_CYCLE_1)
	s_mul_hi_u32 s61, s50, s59
	s_mul_i32 s60, s50, s59
	s_mul_hi_u32 s18, s50, s58
	s_mul_i32 s41, s51, s58
	s_wait_alu 0xfffe
	s_add_nc_u64 s[60:61], s[18:19], s[60:61]
	s_mul_hi_u32 s2, s51, s58
	s_mul_hi_u32 s43, s51, s59
	s_add_co_u32 s18, s60, s41
	s_wait_alu 0xfffe
	s_add_co_ci_u32 s18, s61, s2
	s_mul_i32 s58, s51, s59
	s_add_co_ci_u32 s59, s43, 0
	s_wait_alu 0xfffe
	s_add_nc_u64 s[58:59], s[18:19], s[58:59]
	s_delay_alu instid0(SALU_CYCLE_1)
	s_add_co_u32 s2, s50, s58
	s_cselect_b32 s18, -1, 0
	s_wait_alu 0xfffe
	v_mul_hi_u32 v9, v5, s2
	s_cmp_lg_u32 s18, 0
	v_mad_co_u64_u32 v[21:22], null, v7, s2, 0
	s_add_co_ci_u32 s18, s51, s59
	s_wait_alu 0xfffe
	v_mad_co_u64_u32 v[19:20], null, v5, s18, 0
	v_mad_co_u64_u32 v[28:29], null, v7, s18, 0
	s_delay_alu instid0(VALU_DEP_2) | instskip(SKIP_1) | instid1(VALU_DEP_3)
	v_add_co_u32 v9, vcc_lo, v9, v19
	s_wait_alu 0xfffd
	v_add_co_ci_u32_e64 v11, null, 0, v20, vcc_lo
	s_delay_alu instid0(VALU_DEP_2) | instskip(SKIP_1) | instid1(VALU_DEP_2)
	v_add_co_u32 v9, vcc_lo, v9, v21
	s_wait_alu 0xfffd
	v_add_co_ci_u32_e32 v9, vcc_lo, v11, v22, vcc_lo
	s_wait_alu 0xfffd
	v_add_co_ci_u32_e32 v11, vcc_lo, 0, v29, vcc_lo
	s_delay_alu instid0(VALU_DEP_2) | instskip(SKIP_1) | instid1(VALU_DEP_2)
	v_add_co_u32 v9, vcc_lo, v9, v28
	s_wait_alu 0xfffd
	v_add_co_ci_u32_e64 v11, null, 0, v11, vcc_lo
	s_delay_alu instid0(VALU_DEP_2) | instskip(SKIP_1) | instid1(VALU_DEP_3)
	v_mul_lo_u32 v13, s47, v9
	v_mad_co_u64_u32 v[19:20], null, s46, v9, 0
	v_mul_lo_u32 v15, s46, v11
	v_add_co_u32 v17, s2, v9, 2
	s_delay_alu instid0(VALU_DEP_3) | instskip(NEXT) | instid1(VALU_DEP_3)
	v_sub_co_u32 v5, vcc_lo, v5, v19
	v_add3_u32 v13, v20, v15, v13
	s_wait_alu 0xf1ff
	v_add_co_ci_u32_e64 v19, null, 0, v11, s2
	s_delay_alu instid0(VALU_DEP_3) | instskip(NEXT) | instid1(VALU_DEP_3)
	v_sub_co_u32 v20, s2, v5, s46
	v_sub_nc_u32_e32 v15, v7, v13
	s_wait_alu 0xfffd
	v_sub_co_ci_u32_e64 v7, null, v7, v13, vcc_lo
	s_delay_alu instid0(VALU_DEP_2) | instskip(SKIP_2) | instid1(VALU_DEP_2)
	v_subrev_co_ci_u32_e64 v15, null, s47, v15, vcc_lo
	v_cmp_le_u32_e32 vcc_lo, s46, v20
	s_wait_alu 0xf1ff
	v_subrev_co_ci_u32_e64 v15, null, 0, v15, s2
	s_wait_alu 0xfffd
	v_cndmask_b32_e64 v13, 0, -1, vcc_lo
	s_delay_alu instid0(VALU_DEP_2)
	v_cmp_le_u32_e32 vcc_lo, s47, v15
	s_wait_alu 0xfffd
	v_cndmask_b32_e64 v20, 0, -1, vcc_lo
	v_cmp_le_u32_e32 vcc_lo, s46, v5
	s_wait_alu 0xfffd
	v_cndmask_b32_e64 v5, 0, -1, vcc_lo
	;; [unrolled: 3-line block ×3, first 2 shown]
	v_cmp_eq_u32_e32 vcc_lo, s47, v15
	s_wait_alu 0xfffd
	v_cndmask_b32_e32 v13, v20, v13, vcc_lo
	v_add_co_u32 v15, vcc_lo, v9, 1
	s_wait_alu 0xfffd
	v_add_co_ci_u32_e64 v20, null, 0, v11, vcc_lo
	v_cmp_eq_u32_e32 vcc_lo, s47, v7
	s_wait_alu 0xfffd
	v_cndmask_b32_e32 v5, v21, v5, vcc_lo
	v_cmp_ne_u32_e32 vcc_lo, 0, v13
	s_delay_alu instid0(VALU_DEP_2) | instskip(SKIP_4) | instid1(VALU_DEP_2)
	v_cmp_ne_u32_e64 s2, 0, v5
	s_wait_alu 0xfffd
	v_cndmask_b32_e32 v5, v15, v17, vcc_lo
	v_cndmask_b32_e32 v7, v20, v19, vcc_lo
	s_wait_alu 0xf1ff
	v_cndmask_b32_e64 v5, v9, v5, s2
	s_delay_alu instid0(VALU_DEP_2) | instskip(NEXT) | instid1(VALU_DEP_2)
	v_cndmask_b32_e64 v7, v11, v7, s2
	v_xor_b32_e32 v5, v5, v3
	s_delay_alu instid0(VALU_DEP_2) | instskip(NEXT) | instid1(VALU_DEP_2)
	v_xor_b32_e32 v7, v7, v3
	v_sub_co_u32 v20, vcc_lo, v5, v3
	s_wait_alu 0xfffd
	s_delay_alu instid0(VALU_DEP_2)
	v_sub_co_ci_u32_e64 v21, null, v7, v3, vcc_lo
.LBB72_48:                              ;   in Loop: Header=BB72_22 Depth=2
	s_wait_alu 0xfffe
	s_and_not1_saveexec_b32 s2, s27
	s_cbranch_execz .LBB72_50
; %bb.49:                               ;   in Loop: Header=BB72_22 Depth=2
	v_cvt_f32_u32_e32 v3, s42
	s_sub_co_i32 s18, 0, s42
	v_mov_b32_e32 v21, v2
	s_delay_alu instid0(VALU_DEP_2) | instskip(NEXT) | instid1(TRANS32_DEP_1)
	v_rcp_iflag_f32_e32 v3, v3
	v_mul_f32_e32 v3, 0x4f7ffffe, v3
	s_delay_alu instid0(VALU_DEP_1) | instskip(SKIP_1) | instid1(VALU_DEP_1)
	v_cvt_u32_f32_e32 v3, v3
	s_wait_alu 0xfffe
	v_mul_lo_u32 v5, s18, v3
	s_delay_alu instid0(VALU_DEP_1) | instskip(NEXT) | instid1(VALU_DEP_1)
	v_mul_hi_u32 v5, v3, v5
	v_add_nc_u32_e32 v3, v3, v5
	s_delay_alu instid0(VALU_DEP_1) | instskip(NEXT) | instid1(VALU_DEP_1)
	v_mul_hi_u32 v3, v18, v3
	v_mul_lo_u32 v5, v3, s42
	v_add_nc_u32_e32 v7, 1, v3
	s_delay_alu instid0(VALU_DEP_2) | instskip(NEXT) | instid1(VALU_DEP_1)
	v_sub_nc_u32_e32 v5, v18, v5
	v_cmp_le_u32_e32 vcc_lo, s42, v5
	v_subrev_nc_u32_e32 v9, s42, v5
	s_wait_alu 0xfffd
	v_cndmask_b32_e32 v3, v3, v7, vcc_lo
	s_delay_alu instid0(VALU_DEP_1) | instskip(NEXT) | instid1(VALU_DEP_3)
	v_add_nc_u32_e32 v7, 1, v3
	v_cndmask_b32_e32 v5, v5, v9, vcc_lo
	s_delay_alu instid0(VALU_DEP_1) | instskip(SKIP_1) | instid1(VALU_DEP_3)
	v_cmp_le_u32_e32 vcc_lo, s42, v5
	s_wait_alu 0xfffd
	v_cndmask_b32_e32 v20, v3, v7, vcc_lo
.LBB72_50:                              ;   in Loop: Header=BB72_22 Depth=2
	s_wait_alu 0xfffe
	s_or_b32 exec_lo, exec_lo, s2
	s_mov_b32 s27, s19
	s_add_nc_u64 s[48:49], s[0:1], s[48:49]
	s_wait_alu 0xfffe
	s_lshl_b64 s[46:47], s[26:27], 2
                                        ; implicit-def: $vgpr22_vgpr23
	s_mov_b32 s2, exec_lo
	s_wait_alu 0xfffe
	s_add_nc_u64 s[44:45], s[10:11], s[46:47]
	s_clause 0x1
	s_load_b32 s27, s[48:49], 0x6c
	s_load_b32 s44, s[44:45], 0x8
	s_wait_kmcnt 0x0
	s_ashr_i32 s45, s44, 31
	s_wait_alu 0xfffe
	v_or_b32_e32 v3, s45, v21
	s_delay_alu instid0(VALU_DEP_1)
	v_cmpx_ne_u64_e32 0, v[2:3]
	s_xor_b32 s41, exec_lo, s2
	s_cbranch_execz .LBB72_52
; %bb.51:                               ;   in Loop: Header=BB72_22 Depth=2
	s_ashr_i32 s48, s45, 31
	v_ashrrev_i32_e32 v3, 31, v21
	s_wait_alu 0xfffe
	s_mov_b32 s49, s48
	s_wait_alu 0xfffe
	s_add_nc_u64 s[50:51], s[44:45], s[48:49]
	v_add_co_u32 v5, vcc_lo, v20, v3
	s_wait_alu 0xfffe
	s_xor_b64 s[50:51], s[50:51], s[48:49]
	s_wait_alu 0xfffd
	v_add_co_ci_u32_e64 v7, null, v21, v3, vcc_lo
	s_wait_alu 0xfffe
	s_cvt_f32_u32 s2, s50
	s_cvt_f32_u32 s18, s51
	s_sub_nc_u64 s[60:61], 0, s[50:51]
	v_xor_b32_e32 v5, v5, v3
	v_xor_b32_e32 v7, v7, v3
	s_wait_alu 0xfffe
	s_fmamk_f32 s2, s18, 0x4f800000, s2
	v_xor_b32_e32 v3, s48, v3
	s_wait_alu 0xfffe
	s_delay_alu instid0(SALU_CYCLE_1) | instskip(NEXT) | instid1(TRANS32_DEP_1)
	v_s_rcp_f32 s2, s2
	s_mul_f32 s2, s2, 0x5f7ffffc
	s_wait_alu 0xfffe
	s_delay_alu instid0(SALU_CYCLE_2) | instskip(SKIP_1) | instid1(SALU_CYCLE_2)
	s_mul_f32 s18, s2, 0x2f800000
	s_wait_alu 0xfffe
	s_trunc_f32 s18, s18
	s_wait_alu 0xfffe
	s_delay_alu instid0(SALU_CYCLE_2) | instskip(SKIP_2) | instid1(SALU_CYCLE_1)
	s_fmamk_f32 s2, s18, 0xcf800000, s2
	s_cvt_u32_f32 s59, s18
	s_wait_alu 0xfffe
	s_cvt_u32_f32 s58, s2
	s_delay_alu instid0(SALU_CYCLE_3) | instskip(NEXT) | instid1(SALU_CYCLE_1)
	s_mul_u64 s[62:63], s[60:61], s[58:59]
	s_mul_hi_u32 s65, s58, s63
	s_mul_i32 s64, s58, s63
	s_mul_hi_u32 s18, s58, s62
	s_mul_i32 s43, s59, s62
	s_wait_alu 0xfffe
	s_add_nc_u64 s[64:65], s[18:19], s[64:65]
	s_mul_hi_u32 s2, s59, s62
	s_mul_hi_u32 s45, s59, s63
	s_add_co_u32 s18, s64, s43
	s_wait_alu 0xfffe
	s_add_co_ci_u32 s18, s65, s2
	s_mul_i32 s62, s59, s63
	s_add_co_ci_u32 s63, s45, 0
	s_wait_alu 0xfffe
	s_add_nc_u64 s[62:63], s[18:19], s[62:63]
	s_delay_alu instid0(SALU_CYCLE_1) | instskip(SKIP_4) | instid1(SALU_CYCLE_1)
	s_add_co_u32 s58, s58, s62
	s_cselect_b32 s2, -1, 0
	s_wait_alu 0xfffe
	s_cmp_lg_u32 s2, 0
	s_add_co_ci_u32 s59, s59, s63
	s_mul_u64 s[60:61], s[60:61], s[58:59]
	s_delay_alu instid0(SALU_CYCLE_1)
	s_mul_hi_u32 s63, s58, s61
	s_mul_i32 s62, s58, s61
	s_mul_hi_u32 s18, s58, s60
	s_mul_i32 s43, s59, s60
	s_wait_alu 0xfffe
	s_add_nc_u64 s[62:63], s[18:19], s[62:63]
	s_mul_hi_u32 s2, s59, s60
	s_mul_hi_u32 s45, s59, s61
	s_add_co_u32 s18, s62, s43
	s_wait_alu 0xfffe
	s_add_co_ci_u32 s18, s63, s2
	s_mul_i32 s60, s59, s61
	s_add_co_ci_u32 s61, s45, 0
	s_wait_alu 0xfffe
	s_add_nc_u64 s[60:61], s[18:19], s[60:61]
	s_delay_alu instid0(SALU_CYCLE_1)
	s_add_co_u32 s2, s58, s60
	s_cselect_b32 s18, -1, 0
	s_wait_alu 0xfffe
	v_mul_hi_u32 v9, v5, s2
	s_cmp_lg_u32 s18, 0
	v_mad_co_u64_u32 v[28:29], null, v7, s2, 0
	s_add_co_ci_u32 s18, s59, s61
	s_wait_alu 0xfffe
	v_mad_co_u64_u32 v[21:22], null, v5, s18, 0
	v_mad_co_u64_u32 v[30:31], null, v7, s18, 0
	s_delay_alu instid0(VALU_DEP_2) | instskip(SKIP_1) | instid1(VALU_DEP_3)
	v_add_co_u32 v9, vcc_lo, v9, v21
	s_wait_alu 0xfffd
	v_add_co_ci_u32_e64 v11, null, 0, v22, vcc_lo
	s_delay_alu instid0(VALU_DEP_2) | instskip(SKIP_1) | instid1(VALU_DEP_2)
	v_add_co_u32 v9, vcc_lo, v9, v28
	s_wait_alu 0xfffd
	v_add_co_ci_u32_e32 v9, vcc_lo, v11, v29, vcc_lo
	s_wait_alu 0xfffd
	v_add_co_ci_u32_e32 v11, vcc_lo, 0, v31, vcc_lo
	s_delay_alu instid0(VALU_DEP_2) | instskip(SKIP_1) | instid1(VALU_DEP_2)
	v_add_co_u32 v9, vcc_lo, v9, v30
	s_wait_alu 0xfffd
	v_add_co_ci_u32_e64 v11, null, 0, v11, vcc_lo
	s_delay_alu instid0(VALU_DEP_2) | instskip(SKIP_1) | instid1(VALU_DEP_3)
	v_mul_lo_u32 v13, s51, v9
	v_mad_co_u64_u32 v[21:22], null, s50, v9, 0
	v_mul_lo_u32 v15, s50, v11
	v_add_co_u32 v17, s2, v9, 2
	s_wait_alu 0xf1ff
	v_add_co_ci_u32_e64 v19, null, 0, v11, s2
	s_delay_alu instid0(VALU_DEP_4) | instskip(NEXT) | instid1(VALU_DEP_4)
	v_sub_co_u32 v5, vcc_lo, v5, v21
	v_add3_u32 v13, v22, v15, v13
	s_delay_alu instid0(VALU_DEP_2) | instskip(NEXT) | instid1(VALU_DEP_2)
	v_sub_co_u32 v21, s2, v5, s50
	v_sub_nc_u32_e32 v15, v7, v13
	s_wait_alu 0xfffd
	v_sub_co_ci_u32_e64 v7, null, v7, v13, vcc_lo
	s_delay_alu instid0(VALU_DEP_2) | instskip(SKIP_2) | instid1(VALU_DEP_2)
	v_subrev_co_ci_u32_e64 v15, null, s51, v15, vcc_lo
	v_cmp_le_u32_e32 vcc_lo, s50, v21
	s_wait_alu 0xf1ff
	v_subrev_co_ci_u32_e64 v15, null, 0, v15, s2
	s_wait_alu 0xfffd
	v_cndmask_b32_e64 v13, 0, -1, vcc_lo
	s_delay_alu instid0(VALU_DEP_2)
	v_cmp_le_u32_e32 vcc_lo, s51, v15
	s_wait_alu 0xfffd
	v_cndmask_b32_e64 v21, 0, -1, vcc_lo
	v_cmp_le_u32_e32 vcc_lo, s50, v5
	s_wait_alu 0xfffd
	v_cndmask_b32_e64 v5, 0, -1, vcc_lo
	;; [unrolled: 3-line block ×3, first 2 shown]
	v_cmp_eq_u32_e32 vcc_lo, s51, v15
	s_wait_alu 0xfffd
	v_cndmask_b32_e32 v13, v21, v13, vcc_lo
	v_add_co_u32 v15, vcc_lo, v9, 1
	s_wait_alu 0xfffd
	v_add_co_ci_u32_e64 v21, null, 0, v11, vcc_lo
	v_cmp_eq_u32_e32 vcc_lo, s51, v7
	s_wait_alu 0xfffd
	v_cndmask_b32_e32 v5, v22, v5, vcc_lo
	v_cmp_ne_u32_e32 vcc_lo, 0, v13
	s_delay_alu instid0(VALU_DEP_2) | instskip(SKIP_4) | instid1(VALU_DEP_2)
	v_cmp_ne_u32_e64 s2, 0, v5
	s_wait_alu 0xfffd
	v_cndmask_b32_e32 v5, v15, v17, vcc_lo
	v_cndmask_b32_e32 v7, v21, v19, vcc_lo
	s_wait_alu 0xf1ff
	v_cndmask_b32_e64 v5, v9, v5, s2
	s_delay_alu instid0(VALU_DEP_2) | instskip(NEXT) | instid1(VALU_DEP_2)
	v_cndmask_b32_e64 v7, v11, v7, s2
	v_xor_b32_e32 v5, v5, v3
	s_delay_alu instid0(VALU_DEP_2) | instskip(NEXT) | instid1(VALU_DEP_2)
	v_xor_b32_e32 v7, v7, v3
	v_sub_co_u32 v22, vcc_lo, v5, v3
	s_wait_alu 0xfffd
	s_delay_alu instid0(VALU_DEP_2)
	v_sub_co_ci_u32_e64 v23, null, v7, v3, vcc_lo
.LBB72_52:                              ;   in Loop: Header=BB72_22 Depth=2
	s_wait_alu 0xfffe
	s_and_not1_saveexec_b32 s2, s41
	s_cbranch_execz .LBB72_54
; %bb.53:                               ;   in Loop: Header=BB72_22 Depth=2
	v_cvt_f32_u32_e32 v3, s44
	s_sub_co_i32 s18, 0, s44
	v_mov_b32_e32 v23, v2
	s_delay_alu instid0(VALU_DEP_2) | instskip(NEXT) | instid1(TRANS32_DEP_1)
	v_rcp_iflag_f32_e32 v3, v3
	v_mul_f32_e32 v3, 0x4f7ffffe, v3
	s_delay_alu instid0(VALU_DEP_1) | instskip(SKIP_1) | instid1(VALU_DEP_1)
	v_cvt_u32_f32_e32 v3, v3
	s_wait_alu 0xfffe
	v_mul_lo_u32 v5, s18, v3
	s_delay_alu instid0(VALU_DEP_1) | instskip(NEXT) | instid1(VALU_DEP_1)
	v_mul_hi_u32 v5, v3, v5
	v_add_nc_u32_e32 v3, v3, v5
	s_delay_alu instid0(VALU_DEP_1) | instskip(NEXT) | instid1(VALU_DEP_1)
	v_mul_hi_u32 v3, v20, v3
	v_mul_lo_u32 v5, v3, s44
	v_add_nc_u32_e32 v7, 1, v3
	s_delay_alu instid0(VALU_DEP_2) | instskip(NEXT) | instid1(VALU_DEP_1)
	v_sub_nc_u32_e32 v5, v20, v5
	v_cmp_le_u32_e32 vcc_lo, s44, v5
	v_subrev_nc_u32_e32 v9, s44, v5
	s_wait_alu 0xfffd
	v_cndmask_b32_e32 v3, v3, v7, vcc_lo
	s_delay_alu instid0(VALU_DEP_1) | instskip(NEXT) | instid1(VALU_DEP_3)
	v_add_nc_u32_e32 v7, 1, v3
	v_cndmask_b32_e32 v5, v5, v9, vcc_lo
	s_delay_alu instid0(VALU_DEP_1) | instskip(SKIP_1) | instid1(VALU_DEP_3)
	v_cmp_le_u32_e32 vcc_lo, s44, v5
	s_wait_alu 0xfffd
	v_cndmask_b32_e32 v22, v3, v7, vcc_lo
.LBB72_54:                              ;   in Loop: Header=BB72_22 Depth=2
	s_wait_alu 0xfffe
	s_or_b32 exec_lo, exec_lo, s2
	v_mul_lo_u32 v3, v8, s28
	v_mul_lo_u32 v5, v10, s30
	;; [unrolled: 1-line block ×5, first 2 shown]
	s_add_nc_u64 s[40:41], s[0:1], s[46:47]
	v_mul_lo_u32 v11, v16, s38
	s_load_b32 s2, s[40:41], 0x6c
	v_sub_nc_u32_e32 v3, v6, v3
	v_sub_nc_u32_e32 v5, v8, v5
	;; [unrolled: 1-line block ×4, first 2 shown]
	v_mul_lo_u32 v8, v20, s42
	v_mul_lo_u32 v3, s25, v3
	;; [unrolled: 1-line block ×4, first 2 shown]
	v_sub_nc_u32_e32 v10, v14, v11
	v_sub_nc_u32_e32 v11, v16, v13
	v_mul_lo_u32 v6, s31, v6
	v_mul_lo_u32 v7, s35, v7
	s_add_co_i32 s26, s26, -8
	v_mul_lo_u32 v10, s37, v10
	v_add3_u32 v3, v3, v4, v5
	v_sub_nc_u32_e32 v4, v18, v8
	v_sub_nc_u32_e32 v5, v20, v9
	v_mul_lo_u32 v8, s39, v11
	s_wait_alu 0xfffe
	s_cmp_eq_u32 s26, -8
	v_add3_u32 v3, v6, v3, v7
	v_mul_lo_u32 v4, s27, v4
	s_wait_kmcnt 0x0
	v_mul_lo_u32 v5, s2, v5
	s_delay_alu instid0(VALU_DEP_3) | instskip(NEXT) | instid1(VALU_DEP_1)
	v_add3_u32 v3, v10, v3, v8
	v_add3_u32 v4, v4, v3, v5
	s_cbranch_scc1 .LBB72_56
; %bb.55:                               ;   in Loop: Header=BB72_22 Depth=2
	v_dual_mov_b32 v6, v22 :: v_dual_mov_b32 v7, v23
	s_branch .LBB72_22
.LBB72_56:                              ;   in Loop: Header=BB72_3 Depth=1
	s_load_b32 s2, s[12:13], 0x4
	s_wait_kmcnt 0x0
	v_cmp_gt_i32_e32 vcc_lo, s2, v27
	s_and_b32 exec_lo, exec_lo, vcc_lo
	s_cbranch_execz .LBB72_2
; %bb.57:                               ;   in Loop: Header=BB72_3 Depth=1
	v_ashrrev_i32_e32 v5, 31, v4
	v_mov_b32_e32 v3, v2
	s_delay_alu instid0(VALU_DEP_2) | instskip(SKIP_1) | instid1(VALU_DEP_2)
	v_lshlrev_b64_e32 v[6:7], 3, v[4:5]
	v_add_nc_u32_e32 v5, 1, v27
	v_add_co_u32 v6, vcc_lo, s16, v6
	s_wait_alu 0xfffd
	s_delay_alu instid0(VALU_DEP_3) | instskip(NEXT) | instid1(VALU_DEP_3)
	v_add_co_ci_u32_e64 v7, null, s17, v7, vcc_lo
	v_cmp_gt_i32_e32 vcc_lo, s2, v5
	global_store_b64 v[6:7], v[2:3], off
	s_and_b32 exec_lo, exec_lo, vcc_lo
	s_cbranch_execz .LBB72_2
; %bb.58:                               ;   in Loop: Header=BB72_3 Depth=1
	v_sub_nc_u32_e32 v5, v5, v26
	s_delay_alu instid0(VALU_DEP_1) | instskip(NEXT) | instid1(VALU_DEP_1)
	v_ashrrev_i32_e32 v6, 31, v5
	v_cmp_gt_i64_e32 vcc_lo, s[4:5], v[5:6]
	s_and_b32 exec_lo, exec_lo, vcc_lo
	s_cbranch_execz .LBB72_2
; %bb.59:                               ;   in Loop: Header=BB72_3 Depth=1
	v_add_nc_u32_e32 v3, s3, v4
	s_delay_alu instid0(VALU_DEP_1) | instskip(NEXT) | instid1(VALU_DEP_1)
	v_ashrrev_i32_e32 v4, 31, v3
	v_lshlrev_b64_e32 v[3:4], 3, v[3:4]
	s_delay_alu instid0(VALU_DEP_1) | instskip(SKIP_1) | instid1(VALU_DEP_2)
	v_add_co_u32 v5, vcc_lo, s16, v3
	s_wait_alu 0xfffd
	v_add_co_ci_u32_e64 v6, null, s17, v4, vcc_lo
	v_mov_b32_e32 v3, v2
	global_store_b64 v[5:6], v[2:3], off
	s_branch .LBB72_2
.LBB72_60:
	s_endpgm
	.section	.rodata,"a",@progbits
	.p2align	6, 0x0
	.amdhsa_kernel _ZN2at6native16triu_tril_kernelIdiLb1ELi2ELb1EEEvNS_4cuda6detail10TensorInfoIT_T0_EENS4_IKS5_S6_EEllS6_
		.amdhsa_group_segment_fixed_size 0
		.amdhsa_private_segment_fixed_size 0
		.amdhsa_kernarg_size 712
		.amdhsa_user_sgpr_count 2
		.amdhsa_user_sgpr_dispatch_ptr 0
		.amdhsa_user_sgpr_queue_ptr 0
		.amdhsa_user_sgpr_kernarg_segment_ptr 1
		.amdhsa_user_sgpr_dispatch_id 0
		.amdhsa_user_sgpr_private_segment_size 0
		.amdhsa_wavefront_size32 1
		.amdhsa_uses_dynamic_stack 0
		.amdhsa_enable_private_segment 0
		.amdhsa_system_sgpr_workgroup_id_x 1
		.amdhsa_system_sgpr_workgroup_id_y 0
		.amdhsa_system_sgpr_workgroup_id_z 0
		.amdhsa_system_sgpr_workgroup_info 0
		.amdhsa_system_vgpr_workitem_id 0
		.amdhsa_next_free_vgpr 32
		.amdhsa_next_free_sgpr 66
		.amdhsa_reserve_vcc 1
		.amdhsa_float_round_mode_32 0
		.amdhsa_float_round_mode_16_64 0
		.amdhsa_float_denorm_mode_32 3
		.amdhsa_float_denorm_mode_16_64 3
		.amdhsa_fp16_overflow 0
		.amdhsa_workgroup_processor_mode 1
		.amdhsa_memory_ordered 1
		.amdhsa_forward_progress 1
		.amdhsa_inst_pref_size 95
		.amdhsa_round_robin_scheduling 0
		.amdhsa_exception_fp_ieee_invalid_op 0
		.amdhsa_exception_fp_denorm_src 0
		.amdhsa_exception_fp_ieee_div_zero 0
		.amdhsa_exception_fp_ieee_overflow 0
		.amdhsa_exception_fp_ieee_underflow 0
		.amdhsa_exception_fp_ieee_inexact 0
		.amdhsa_exception_int_div_zero 0
	.end_amdhsa_kernel
	.section	.text._ZN2at6native16triu_tril_kernelIdiLb1ELi2ELb1EEEvNS_4cuda6detail10TensorInfoIT_T0_EENS4_IKS5_S6_EEllS6_,"axG",@progbits,_ZN2at6native16triu_tril_kernelIdiLb1ELi2ELb1EEEvNS_4cuda6detail10TensorInfoIT_T0_EENS4_IKS5_S6_EEllS6_,comdat
.Lfunc_end72:
	.size	_ZN2at6native16triu_tril_kernelIdiLb1ELi2ELb1EEEvNS_4cuda6detail10TensorInfoIT_T0_EENS4_IKS5_S6_EEllS6_, .Lfunc_end72-_ZN2at6native16triu_tril_kernelIdiLb1ELi2ELb1EEEvNS_4cuda6detail10TensorInfoIT_T0_EENS4_IKS5_S6_EEllS6_
                                        ; -- End function
	.set _ZN2at6native16triu_tril_kernelIdiLb1ELi2ELb1EEEvNS_4cuda6detail10TensorInfoIT_T0_EENS4_IKS5_S6_EEllS6_.num_vgpr, 32
	.set _ZN2at6native16triu_tril_kernelIdiLb1ELi2ELb1EEEvNS_4cuda6detail10TensorInfoIT_T0_EENS4_IKS5_S6_EEllS6_.num_agpr, 0
	.set _ZN2at6native16triu_tril_kernelIdiLb1ELi2ELb1EEEvNS_4cuda6detail10TensorInfoIT_T0_EENS4_IKS5_S6_EEllS6_.numbered_sgpr, 66
	.set _ZN2at6native16triu_tril_kernelIdiLb1ELi2ELb1EEEvNS_4cuda6detail10TensorInfoIT_T0_EENS4_IKS5_S6_EEllS6_.num_named_barrier, 0
	.set _ZN2at6native16triu_tril_kernelIdiLb1ELi2ELb1EEEvNS_4cuda6detail10TensorInfoIT_T0_EENS4_IKS5_S6_EEllS6_.private_seg_size, 0
	.set _ZN2at6native16triu_tril_kernelIdiLb1ELi2ELb1EEEvNS_4cuda6detail10TensorInfoIT_T0_EENS4_IKS5_S6_EEllS6_.uses_vcc, 1
	.set _ZN2at6native16triu_tril_kernelIdiLb1ELi2ELb1EEEvNS_4cuda6detail10TensorInfoIT_T0_EENS4_IKS5_S6_EEllS6_.uses_flat_scratch, 0
	.set _ZN2at6native16triu_tril_kernelIdiLb1ELi2ELb1EEEvNS_4cuda6detail10TensorInfoIT_T0_EENS4_IKS5_S6_EEllS6_.has_dyn_sized_stack, 0
	.set _ZN2at6native16triu_tril_kernelIdiLb1ELi2ELb1EEEvNS_4cuda6detail10TensorInfoIT_T0_EENS4_IKS5_S6_EEllS6_.has_recursion, 0
	.set _ZN2at6native16triu_tril_kernelIdiLb1ELi2ELb1EEEvNS_4cuda6detail10TensorInfoIT_T0_EENS4_IKS5_S6_EEllS6_.has_indirect_call, 0
	.section	.AMDGPU.csdata,"",@progbits
; Kernel info:
; codeLenInByte = 12156
; TotalNumSgprs: 68
; NumVgprs: 32
; ScratchSize: 0
; MemoryBound: 0
; FloatMode: 240
; IeeeMode: 1
; LDSByteSize: 0 bytes/workgroup (compile time only)
; SGPRBlocks: 0
; VGPRBlocks: 3
; NumSGPRsForWavesPerEU: 68
; NumVGPRsForWavesPerEU: 32
; Occupancy: 16
; WaveLimiterHint : 0
; COMPUTE_PGM_RSRC2:SCRATCH_EN: 0
; COMPUTE_PGM_RSRC2:USER_SGPR: 2
; COMPUTE_PGM_RSRC2:TRAP_HANDLER: 0
; COMPUTE_PGM_RSRC2:TGID_X_EN: 1
; COMPUTE_PGM_RSRC2:TGID_Y_EN: 0
; COMPUTE_PGM_RSRC2:TGID_Z_EN: 0
; COMPUTE_PGM_RSRC2:TIDIG_COMP_CNT: 0
	.section	.text._ZN2at6native16triu_tril_kernelIdiLb1ELi2ELb0EEEvNS_4cuda6detail10TensorInfoIT_T0_EENS4_IKS5_S6_EEllS6_,"axG",@progbits,_ZN2at6native16triu_tril_kernelIdiLb1ELi2ELb0EEEvNS_4cuda6detail10TensorInfoIT_T0_EENS4_IKS5_S6_EEllS6_,comdat
	.protected	_ZN2at6native16triu_tril_kernelIdiLb1ELi2ELb0EEEvNS_4cuda6detail10TensorInfoIT_T0_EENS4_IKS5_S6_EEllS6_ ; -- Begin function _ZN2at6native16triu_tril_kernelIdiLb1ELi2ELb0EEEvNS_4cuda6detail10TensorInfoIT_T0_EENS4_IKS5_S6_EEllS6_
	.globl	_ZN2at6native16triu_tril_kernelIdiLb1ELi2ELb0EEEvNS_4cuda6detail10TensorInfoIT_T0_EENS4_IKS5_S6_EEllS6_
	.p2align	8
	.type	_ZN2at6native16triu_tril_kernelIdiLb1ELi2ELb0EEEvNS_4cuda6detail10TensorInfoIT_T0_EENS4_IKS5_S6_EEllS6_,@function
_ZN2at6native16triu_tril_kernelIdiLb1ELi2ELb0EEEvNS_4cuda6detail10TensorInfoIT_T0_EENS4_IKS5_S6_EEllS6_: ; @_ZN2at6native16triu_tril_kernelIdiLb1ELi2ELb0EEEvNS_4cuda6detail10TensorInfoIT_T0_EENS4_IKS5_S6_EEllS6_
; %bb.0:
	s_clause 0x1
	s_load_b32 s2, s[0:1], 0x1d4
	s_load_b128 s[4:7], s[0:1], 0x1b0
	v_mov_b32_e32 v2, 0
	s_delay_alu instid0(VALU_DEP_1) | instskip(SKIP_3) | instid1(VALU_DEP_1)
	v_mov_b32_e32 v1, v2
	s_wait_kmcnt 0x0
	s_and_b32 s21, s2, 0xffff
	s_mov_b32 s2, exec_lo
	v_mad_co_u64_u32 v[0:1], null, s21, ttmp9, v[0:1]
	s_delay_alu instid0(VALU_DEP_1) | instskip(NEXT) | instid1(VALU_DEP_1)
	v_lshlrev_b64_e32 v[0:1], 1, v[0:1]
	v_cmpx_gt_i64_e64 s[6:7], v[0:1]
	s_cbranch_execz .LBB73_47
; %bb.1:
	s_clause 0x2
	s_load_b32 s24, s[0:1], 0x1a8
	s_load_b32 s8, s[0:1], 0x1c0
	s_load_b64 s[10:11], s[0:1], 0xd8
	s_add_nc_u64 s[12:13], s[0:1], 0xd8
	s_add_nc_u64 s[14:15], s[0:1], 0x1c8
	s_load_b32 s26, s[14:15], 0x0
	s_load_b64 s[14:15], s[0:1], 0x0
	s_wait_kmcnt 0x0
	s_ashr_i32 s25, s24, 31
	v_cvt_f32_u32_e32 v3, s8
	s_lshl_b64 s[16:17], s[24:25], 2
	s_and_b32 s48, s24, 3
	s_add_nc_u64 s[18:19], s[12:13], s[16:17]
	s_add_nc_u64 s[22:23], s[0:1], s[16:17]
	s_load_b64 s[2:3], s[18:19], 0x0
	v_rcp_iflag_f32_e32 v3, v3
	s_clause 0x1
	s_load_b64 s[16:17], s[18:19], 0x64
	s_load_b64 s[18:19], s[22:23], 0x64
	s_mul_i32 s26, s26, s21
	s_ashr_i32 s9, s8, 31
	s_add_co_i32 s33, s24, -3
	s_lshl_b32 s50, s26, 1
	v_cmp_gt_i64_e64 s49, s[24:25], 2
	s_mov_b32 s23, 0
	v_mul_f32_e32 v3, 0x4f7ffffe, v3
	s_delay_alu instid0(VALU_DEP_1)
	v_cvt_u32_f32_e32 v18, v3
	s_wait_kmcnt 0x0
	s_mov_b32 s20, s2
	s_ashr_i32 s21, s2, 31
	s_wait_alu 0xfffe
	v_cvt_f32_u32_e32 v4, s20
	s_cmp_lg_u32 s48, 2
	s_mov_b32 s24, s17
	s_cselect_b32 s51, -1, 0
	s_cmp_gt_u32 s33, 2
	v_rcp_iflag_f32_e32 v4, v4
	s_cselect_b32 s52, -1, 0
	s_ashr_i32 s25, s17, 31
	s_ashr_i32 s27, s19, 31
	s_mov_b32 s26, s19
	s_ashr_i32 s28, s9, 31
	s_mov_b32 s17, 0
	s_delay_alu instid0(TRANS32_DEP_1) | instskip(NEXT) | instid1(VALU_DEP_1)
	v_mul_f32_e32 v3, 0x4f7ffffe, v4
	v_cvt_u32_f32_e32 v19, v3
	s_branch .LBB73_3
.LBB73_2:                               ;   in Loop: Header=BB73_3 Depth=1
	s_wait_alu 0xfffe
	s_or_b32 exec_lo, exec_lo, s2
	v_add_co_u32 v0, vcc_lo, v0, s50
	s_wait_alu 0xfffd
	v_add_co_ci_u32_e64 v1, null, 0, v1, vcc_lo
	s_delay_alu instid0(VALU_DEP_1)
	v_cmp_le_i64_e32 vcc_lo, s[6:7], v[0:1]
	s_or_b32 s17, vcc_lo, s17
	s_wait_alu 0xfffe
	s_and_not1_b32 exec_lo, exec_lo, s17
	s_cbranch_execz .LBB73_47
.LBB73_3:                               ; =>This Loop Header: Depth=1
                                        ;     Child Loop BB73_15 Depth 2
                                        ;     Child Loop BB73_20 Depth 2
	v_or_b32_e32 v3, s9, v1
                                        ; implicit-def: $vgpr4_vgpr5
	s_mov_b32 s2, exec_lo
	s_delay_alu instid0(VALU_DEP_1)
	v_cmpx_ne_u64_e32 0, v[2:3]
	s_wait_alu 0xfffe
	s_xor_b32 s19, exec_lo, s2
	s_cbranch_execz .LBB73_5
; %bb.4:                                ;   in Loop: Header=BB73_3 Depth=1
	s_mov_b32 s29, s28
	v_ashrrev_i32_e32 v9, 31, v1
	s_wait_alu 0xfffe
	s_add_nc_u64 s[30:31], s[8:9], s[28:29]
	s_wait_alu 0xfffe
	s_xor_b64 s[30:31], s[30:31], s[28:29]
	v_add_co_u32 v3, vcc_lo, v0, v9
	s_wait_alu 0xfffe
	s_cvt_f32_u32 s2, s30
	s_cvt_f32_u32 s22, s31
	s_sub_nc_u64 s[36:37], 0, s[30:31]
	s_wait_alu 0xfffd
	v_add_co_ci_u32_e64 v4, null, v1, v9, vcc_lo
	s_wait_alu 0xfffe
	s_fmamk_f32 s2, s22, 0x4f800000, s2
	v_xor_b32_e32 v10, v3, v9
	s_delay_alu instid0(VALU_DEP_2) | instskip(SKIP_2) | instid1(TRANS32_DEP_1)
	v_xor_b32_e32 v11, v4, v9
	s_wait_alu 0xfffe
	v_s_rcp_f32 s2, s2
	s_mul_f32 s2, s2, 0x5f7ffffc
	s_wait_alu 0xfffe
	s_delay_alu instid0(SALU_CYCLE_2) | instskip(SKIP_1) | instid1(SALU_CYCLE_2)
	s_mul_f32 s22, s2, 0x2f800000
	s_wait_alu 0xfffe
	s_trunc_f32 s22, s22
	s_wait_alu 0xfffe
	s_delay_alu instid0(SALU_CYCLE_2) | instskip(SKIP_2) | instid1(SALU_CYCLE_1)
	s_fmamk_f32 s2, s22, 0xcf800000, s2
	s_cvt_u32_f32 s35, s22
	s_wait_alu 0xfffe
	s_cvt_u32_f32 s34, s2
	s_wait_alu 0xfffe
	s_delay_alu instid0(SALU_CYCLE_2)
	s_mul_u64 s[38:39], s[36:37], s[34:35]
	s_wait_alu 0xfffe
	s_mul_hi_u32 s41, s34, s39
	s_mul_i32 s40, s34, s39
	s_mul_hi_u32 s22, s34, s38
	s_mul_i32 s29, s35, s38
	s_wait_alu 0xfffe
	s_add_nc_u64 s[40:41], s[22:23], s[40:41]
	s_mul_hi_u32 s2, s35, s38
	s_mul_hi_u32 s42, s35, s39
	s_wait_alu 0xfffe
	s_add_co_u32 s22, s40, s29
	s_add_co_ci_u32 s22, s41, s2
	s_mul_i32 s38, s35, s39
	s_add_co_ci_u32 s39, s42, 0
	s_wait_alu 0xfffe
	s_add_nc_u64 s[38:39], s[22:23], s[38:39]
	s_wait_alu 0xfffe
	s_add_co_u32 s34, s34, s38
	s_cselect_b32 s2, -1, 0
	s_wait_alu 0xfffe
	s_cmp_lg_u32 s2, 0
	s_add_co_ci_u32 s35, s35, s39
	s_wait_alu 0xfffe
	s_mul_u64 s[36:37], s[36:37], s[34:35]
	s_wait_alu 0xfffe
	s_mul_hi_u32 s39, s34, s37
	s_mul_i32 s38, s34, s37
	s_mul_hi_u32 s22, s34, s36
	s_mul_i32 s29, s35, s36
	s_wait_alu 0xfffe
	s_add_nc_u64 s[38:39], s[22:23], s[38:39]
	s_mul_hi_u32 s2, s35, s36
	s_mul_hi_u32 s40, s35, s37
	s_wait_alu 0xfffe
	s_add_co_u32 s22, s38, s29
	s_add_co_ci_u32 s22, s39, s2
	s_mul_i32 s36, s35, s37
	s_add_co_ci_u32 s37, s40, 0
	s_wait_alu 0xfffe
	s_add_nc_u64 s[36:37], s[22:23], s[36:37]
	s_wait_alu 0xfffe
	s_add_co_u32 s2, s34, s36
	s_cselect_b32 s22, -1, 0
	s_wait_alu 0xfffe
	v_mul_hi_u32 v12, v10, s2
	s_cmp_lg_u32 s22, 0
	v_mad_co_u64_u32 v[5:6], null, v11, s2, 0
	s_add_co_ci_u32 s22, s35, s37
	s_wait_alu 0xfffe
	v_mad_co_u64_u32 v[3:4], null, v10, s22, 0
	v_mad_co_u64_u32 v[7:8], null, v11, s22, 0
	s_delay_alu instid0(VALU_DEP_2) | instskip(SKIP_1) | instid1(VALU_DEP_3)
	v_add_co_u32 v3, vcc_lo, v12, v3
	s_wait_alu 0xfffd
	v_add_co_ci_u32_e64 v4, null, 0, v4, vcc_lo
	s_delay_alu instid0(VALU_DEP_2) | instskip(SKIP_1) | instid1(VALU_DEP_2)
	v_add_co_u32 v3, vcc_lo, v3, v5
	s_wait_alu 0xfffd
	v_add_co_ci_u32_e32 v3, vcc_lo, v4, v6, vcc_lo
	s_wait_alu 0xfffd
	v_add_co_ci_u32_e32 v4, vcc_lo, 0, v8, vcc_lo
	s_delay_alu instid0(VALU_DEP_2) | instskip(SKIP_1) | instid1(VALU_DEP_2)
	v_add_co_u32 v5, vcc_lo, v3, v7
	s_wait_alu 0xfffd
	v_add_co_ci_u32_e64 v6, null, 0, v4, vcc_lo
	s_delay_alu instid0(VALU_DEP_2) | instskip(SKIP_1) | instid1(VALU_DEP_3)
	v_mul_lo_u32 v7, s31, v5
	v_mad_co_u64_u32 v[3:4], null, s30, v5, 0
	v_mul_lo_u32 v8, s30, v6
	s_delay_alu instid0(VALU_DEP_2) | instskip(NEXT) | instid1(VALU_DEP_2)
	v_sub_co_u32 v3, vcc_lo, v10, v3
	v_add3_u32 v4, v4, v8, v7
	v_add_co_u32 v8, s2, v5, 2
	s_wait_alu 0xf1ff
	v_add_co_ci_u32_e64 v10, null, 0, v6, s2
	s_delay_alu instid0(VALU_DEP_3) | instskip(SKIP_3) | instid1(VALU_DEP_3)
	v_sub_nc_u32_e32 v7, v11, v4
	v_sub_co_u32 v12, s2, v3, s30
	s_wait_alu 0xfffd
	v_sub_co_ci_u32_e64 v4, null, v11, v4, vcc_lo
	v_subrev_co_ci_u32_e64 v7, null, s31, v7, vcc_lo
	s_delay_alu instid0(VALU_DEP_3) | instskip(SKIP_1) | instid1(VALU_DEP_2)
	v_cmp_le_u32_e32 vcc_lo, s30, v12
	s_wait_alu 0xf1ff
	v_subrev_co_ci_u32_e64 v7, null, 0, v7, s2
	s_wait_alu 0xfffd
	v_cndmask_b32_e64 v11, 0, -1, vcc_lo
	s_delay_alu instid0(VALU_DEP_2)
	v_cmp_le_u32_e32 vcc_lo, s31, v7
	s_wait_alu 0xfffd
	v_cndmask_b32_e64 v12, 0, -1, vcc_lo
	v_cmp_le_u32_e32 vcc_lo, s30, v3
	s_wait_alu 0xfffd
	v_cndmask_b32_e64 v3, 0, -1, vcc_lo
	;; [unrolled: 3-line block ×3, first 2 shown]
	v_cmp_eq_u32_e32 vcc_lo, s31, v7
	s_wait_alu 0xfffd
	v_cndmask_b32_e32 v7, v12, v11, vcc_lo
	v_add_co_u32 v11, vcc_lo, v5, 1
	s_wait_alu 0xfffd
	v_add_co_ci_u32_e64 v12, null, 0, v6, vcc_lo
	v_cmp_eq_u32_e32 vcc_lo, s31, v4
	s_wait_alu 0xfffd
	v_cndmask_b32_e32 v3, v13, v3, vcc_lo
	v_cmp_ne_u32_e32 vcc_lo, 0, v7
	v_xor_b32_e32 v7, s28, v9
	s_wait_alu 0xfffd
	v_cndmask_b32_e32 v4, v12, v10, vcc_lo
	v_cmp_ne_u32_e64 s2, 0, v3
	v_cndmask_b32_e32 v3, v11, v8, vcc_lo
	s_wait_alu 0xf1ff
	s_delay_alu instid0(VALU_DEP_2) | instskip(NEXT) | instid1(VALU_DEP_2)
	v_cndmask_b32_e64 v4, v6, v4, s2
	v_cndmask_b32_e64 v3, v5, v3, s2
	s_delay_alu instid0(VALU_DEP_2) | instskip(NEXT) | instid1(VALU_DEP_2)
	v_xor_b32_e32 v5, v4, v7
	v_xor_b32_e32 v3, v3, v7
	s_delay_alu instid0(VALU_DEP_1) | instskip(SKIP_1) | instid1(VALU_DEP_3)
	v_sub_co_u32 v4, vcc_lo, v3, v7
	s_wait_alu 0xfffd
	v_sub_co_ci_u32_e64 v5, null, v5, v7, vcc_lo
.LBB73_5:                               ;   in Loop: Header=BB73_3 Depth=1
	s_wait_alu 0xfffe
	s_and_not1_saveexec_b32 s2, s19
	s_cbranch_execz .LBB73_7
; %bb.6:                                ;   in Loop: Header=BB73_3 Depth=1
	s_sub_co_i32 s19, 0, s8
	s_wait_alu 0xfffe
	v_mul_lo_u32 v3, s19, v18
	s_delay_alu instid0(VALU_DEP_1) | instskip(NEXT) | instid1(VALU_DEP_1)
	v_mul_hi_u32 v3, v18, v3
	v_add_nc_u32_e32 v3, v18, v3
	s_delay_alu instid0(VALU_DEP_1) | instskip(NEXT) | instid1(VALU_DEP_1)
	v_mul_hi_u32 v3, v0, v3
	v_mul_lo_u32 v4, v3, s8
	v_add_nc_u32_e32 v5, 1, v3
	s_delay_alu instid0(VALU_DEP_2) | instskip(NEXT) | instid1(VALU_DEP_1)
	v_sub_nc_u32_e32 v4, v0, v4
	v_subrev_nc_u32_e32 v6, s8, v4
	v_cmp_le_u32_e32 vcc_lo, s8, v4
	s_wait_alu 0xfffd
	s_delay_alu instid0(VALU_DEP_2) | instskip(NEXT) | instid1(VALU_DEP_1)
	v_dual_cndmask_b32 v4, v4, v6 :: v_dual_cndmask_b32 v3, v3, v5
	v_cmp_le_u32_e32 vcc_lo, s8, v4
	s_delay_alu instid0(VALU_DEP_2) | instskip(SKIP_1) | instid1(VALU_DEP_1)
	v_add_nc_u32_e32 v5, 1, v3
	s_wait_alu 0xfffd
	v_dual_cndmask_b32 v4, v3, v5 :: v_dual_mov_b32 v5, v2
.LBB73_7:                               ;   in Loop: Header=BB73_3 Depth=1
	s_wait_alu 0xfffe
	s_or_b32 exec_lo, exec_lo, s2
	s_delay_alu instid0(VALU_DEP_1) | instskip(SKIP_1) | instid1(VALU_DEP_1)
	v_or_b32_e32 v3, s21, v5
                                        ; implicit-def: $vgpr8_vgpr9
	s_mov_b32 s2, exec_lo
	v_cmpx_ne_u64_e32 0, v[2:3]
	s_wait_alu 0xfffe
	s_xor_b32 s19, exec_lo, s2
	s_cbranch_execz .LBB73_9
; %bb.8:                                ;   in Loop: Header=BB73_3 Depth=1
	s_ashr_i32 s30, s21, 31
	v_ashrrev_i32_e32 v3, 31, v5
	s_wait_alu 0xfffe
	s_mov_b32 s31, s30
	s_wait_alu 0xfffe
	s_add_nc_u64 s[34:35], s[20:21], s[30:31]
	v_add_co_u32 v6, vcc_lo, v4, v3
	s_wait_alu 0xfffe
	s_xor_b64 s[34:35], s[34:35], s[30:31]
	s_wait_alu 0xfffd
	v_add_co_ci_u32_e64 v5, null, v5, v3, vcc_lo
	s_wait_alu 0xfffe
	s_cvt_f32_u32 s2, s34
	s_cvt_f32_u32 s22, s35
	s_sub_nc_u64 s[38:39], 0, s[34:35]
	v_xor_b32_e32 v11, v6, v3
	v_xor_b32_e32 v12, v5, v3
	s_wait_alu 0xfffe
	s_fmamk_f32 s2, s22, 0x4f800000, s2
	v_xor_b32_e32 v3, s30, v3
	s_wait_alu 0xfffe
	s_delay_alu instid0(SALU_CYCLE_1) | instskip(NEXT) | instid1(TRANS32_DEP_1)
	v_s_rcp_f32 s2, s2
	s_mul_f32 s2, s2, 0x5f7ffffc
	s_wait_alu 0xfffe
	s_delay_alu instid0(SALU_CYCLE_2) | instskip(SKIP_1) | instid1(SALU_CYCLE_2)
	s_mul_f32 s22, s2, 0x2f800000
	s_wait_alu 0xfffe
	s_trunc_f32 s22, s22
	s_wait_alu 0xfffe
	s_delay_alu instid0(SALU_CYCLE_2) | instskip(SKIP_2) | instid1(SALU_CYCLE_1)
	s_fmamk_f32 s2, s22, 0xcf800000, s2
	s_cvt_u32_f32 s37, s22
	s_wait_alu 0xfffe
	s_cvt_u32_f32 s36, s2
	s_wait_alu 0xfffe
	s_delay_alu instid0(SALU_CYCLE_2)
	s_mul_u64 s[40:41], s[38:39], s[36:37]
	s_wait_alu 0xfffe
	s_mul_hi_u32 s43, s36, s41
	s_mul_i32 s42, s36, s41
	s_mul_hi_u32 s22, s36, s40
	s_mul_i32 s29, s37, s40
	s_wait_alu 0xfffe
	s_add_nc_u64 s[42:43], s[22:23], s[42:43]
	s_mul_hi_u32 s2, s37, s40
	s_mul_hi_u32 s31, s37, s41
	s_wait_alu 0xfffe
	s_add_co_u32 s22, s42, s29
	s_add_co_ci_u32 s22, s43, s2
	s_mul_i32 s40, s37, s41
	s_add_co_ci_u32 s41, s31, 0
	s_wait_alu 0xfffe
	s_add_nc_u64 s[40:41], s[22:23], s[40:41]
	s_wait_alu 0xfffe
	s_add_co_u32 s36, s36, s40
	s_cselect_b32 s2, -1, 0
	s_wait_alu 0xfffe
	s_cmp_lg_u32 s2, 0
	s_add_co_ci_u32 s37, s37, s41
	s_wait_alu 0xfffe
	s_mul_u64 s[38:39], s[38:39], s[36:37]
	s_wait_alu 0xfffe
	s_mul_hi_u32 s41, s36, s39
	s_mul_i32 s40, s36, s39
	s_mul_hi_u32 s22, s36, s38
	s_mul_i32 s29, s37, s38
	s_wait_alu 0xfffe
	s_add_nc_u64 s[40:41], s[22:23], s[40:41]
	s_mul_hi_u32 s2, s37, s38
	s_mul_hi_u32 s31, s37, s39
	s_wait_alu 0xfffe
	s_add_co_u32 s22, s40, s29
	s_add_co_ci_u32 s22, s41, s2
	s_mul_i32 s38, s37, s39
	s_add_co_ci_u32 s39, s31, 0
	s_wait_alu 0xfffe
	s_add_nc_u64 s[38:39], s[22:23], s[38:39]
	s_wait_alu 0xfffe
	s_add_co_u32 s2, s36, s38
	s_cselect_b32 s22, -1, 0
	s_wait_alu 0xfffe
	v_mul_hi_u32 v13, v11, s2
	s_cmp_lg_u32 s22, 0
	v_mad_co_u64_u32 v[7:8], null, v12, s2, 0
	s_add_co_ci_u32 s22, s37, s39
	s_wait_alu 0xfffe
	v_mad_co_u64_u32 v[5:6], null, v11, s22, 0
	v_mad_co_u64_u32 v[9:10], null, v12, s22, 0
	s_delay_alu instid0(VALU_DEP_2) | instskip(SKIP_1) | instid1(VALU_DEP_3)
	v_add_co_u32 v5, vcc_lo, v13, v5
	s_wait_alu 0xfffd
	v_add_co_ci_u32_e64 v6, null, 0, v6, vcc_lo
	s_delay_alu instid0(VALU_DEP_2) | instskip(SKIP_1) | instid1(VALU_DEP_2)
	v_add_co_u32 v5, vcc_lo, v5, v7
	s_wait_alu 0xfffd
	v_add_co_ci_u32_e32 v5, vcc_lo, v6, v8, vcc_lo
	s_wait_alu 0xfffd
	v_add_co_ci_u32_e32 v6, vcc_lo, 0, v10, vcc_lo
	s_delay_alu instid0(VALU_DEP_2) | instskip(SKIP_1) | instid1(VALU_DEP_2)
	v_add_co_u32 v7, vcc_lo, v5, v9
	s_wait_alu 0xfffd
	v_add_co_ci_u32_e64 v8, null, 0, v6, vcc_lo
	s_delay_alu instid0(VALU_DEP_2) | instskip(SKIP_1) | instid1(VALU_DEP_3)
	v_mul_lo_u32 v9, s35, v7
	v_mad_co_u64_u32 v[5:6], null, s34, v7, 0
	v_mul_lo_u32 v10, s34, v8
	s_delay_alu instid0(VALU_DEP_2) | instskip(NEXT) | instid1(VALU_DEP_2)
	v_sub_co_u32 v5, vcc_lo, v11, v5
	v_add3_u32 v6, v6, v10, v9
	v_add_co_u32 v10, s2, v7, 2
	s_wait_alu 0xf1ff
	v_add_co_ci_u32_e64 v11, null, 0, v8, s2
	s_delay_alu instid0(VALU_DEP_3) | instskip(SKIP_3) | instid1(VALU_DEP_3)
	v_sub_nc_u32_e32 v9, v12, v6
	v_sub_co_u32 v13, s2, v5, s34
	s_wait_alu 0xfffd
	v_sub_co_ci_u32_e64 v6, null, v12, v6, vcc_lo
	v_subrev_co_ci_u32_e64 v9, null, s35, v9, vcc_lo
	s_delay_alu instid0(VALU_DEP_3) | instskip(SKIP_1) | instid1(VALU_DEP_2)
	v_cmp_le_u32_e32 vcc_lo, s34, v13
	s_wait_alu 0xf1ff
	v_subrev_co_ci_u32_e64 v9, null, 0, v9, s2
	s_wait_alu 0xfffd
	v_cndmask_b32_e64 v12, 0, -1, vcc_lo
	s_delay_alu instid0(VALU_DEP_2)
	v_cmp_le_u32_e32 vcc_lo, s35, v9
	s_wait_alu 0xfffd
	v_cndmask_b32_e64 v13, 0, -1, vcc_lo
	v_cmp_le_u32_e32 vcc_lo, s34, v5
	s_wait_alu 0xfffd
	v_cndmask_b32_e64 v5, 0, -1, vcc_lo
	;; [unrolled: 3-line block ×3, first 2 shown]
	v_cmp_eq_u32_e32 vcc_lo, s35, v9
	s_wait_alu 0xfffd
	v_cndmask_b32_e32 v9, v13, v12, vcc_lo
	v_add_co_u32 v12, vcc_lo, v7, 1
	s_wait_alu 0xfffd
	v_add_co_ci_u32_e64 v13, null, 0, v8, vcc_lo
	v_cmp_eq_u32_e32 vcc_lo, s35, v6
	s_wait_alu 0xfffd
	v_cndmask_b32_e32 v5, v14, v5, vcc_lo
	v_cmp_ne_u32_e32 vcc_lo, 0, v9
	s_wait_alu 0xfffd
	v_cndmask_b32_e32 v6, v13, v11, vcc_lo
	s_delay_alu instid0(VALU_DEP_3) | instskip(SKIP_2) | instid1(VALU_DEP_2)
	v_cmp_ne_u32_e64 s2, 0, v5
	v_cndmask_b32_e32 v5, v12, v10, vcc_lo
	s_wait_alu 0xf1ff
	v_cndmask_b32_e64 v6, v8, v6, s2
	s_delay_alu instid0(VALU_DEP_2) | instskip(NEXT) | instid1(VALU_DEP_2)
	v_cndmask_b32_e64 v5, v7, v5, s2
	v_xor_b32_e32 v6, v6, v3
	s_delay_alu instid0(VALU_DEP_2) | instskip(NEXT) | instid1(VALU_DEP_1)
	v_xor_b32_e32 v5, v5, v3
	v_sub_co_u32 v8, vcc_lo, v5, v3
	s_wait_alu 0xfffd
	s_delay_alu instid0(VALU_DEP_3)
	v_sub_co_ci_u32_e64 v9, null, v6, v3, vcc_lo
.LBB73_9:                               ;   in Loop: Header=BB73_3 Depth=1
	s_wait_alu 0xfffe
	s_and_not1_saveexec_b32 s2, s19
	s_cbranch_execz .LBB73_11
; %bb.10:                               ;   in Loop: Header=BB73_3 Depth=1
	s_sub_co_i32 s19, 0, s20
	v_mov_b32_e32 v9, v2
	s_wait_alu 0xfffe
	v_mul_lo_u32 v3, s19, v19
	s_delay_alu instid0(VALU_DEP_1) | instskip(NEXT) | instid1(VALU_DEP_1)
	v_mul_hi_u32 v3, v19, v3
	v_add_nc_u32_e32 v3, v19, v3
	s_delay_alu instid0(VALU_DEP_1) | instskip(NEXT) | instid1(VALU_DEP_1)
	v_mul_hi_u32 v3, v4, v3
	v_mul_lo_u32 v5, v3, s20
	v_add_nc_u32_e32 v6, 1, v3
	s_delay_alu instid0(VALU_DEP_2) | instskip(NEXT) | instid1(VALU_DEP_1)
	v_sub_nc_u32_e32 v5, v4, v5
	v_cmp_le_u32_e32 vcc_lo, s20, v5
	v_subrev_nc_u32_e32 v7, s20, v5
	s_wait_alu 0xfffd
	v_cndmask_b32_e32 v3, v3, v6, vcc_lo
	s_delay_alu instid0(VALU_DEP_1) | instskip(NEXT) | instid1(VALU_DEP_3)
	v_add_nc_u32_e32 v6, 1, v3
	v_cndmask_b32_e32 v5, v5, v7, vcc_lo
	s_delay_alu instid0(VALU_DEP_1) | instskip(SKIP_1) | instid1(VALU_DEP_3)
	v_cmp_le_u32_e32 vcc_lo, s20, v5
	s_wait_alu 0xfffd
	v_cndmask_b32_e32 v8, v3, v6, vcc_lo
.LBB73_11:                              ;   in Loop: Header=BB73_3 Depth=1
	s_wait_alu 0xfffe
	s_or_b32 exec_lo, exec_lo, s2
	v_mad_co_u64_u32 v[5:6], null, v4, s8, 0
	s_delay_alu instid0(VALU_DEP_2) | instskip(SKIP_3) | instid1(VALU_DEP_2)
	v_mad_co_u64_u32 v[6:7], null, v8, s20, 0
	s_and_not1_b32 vcc_lo, exec_lo, s49
	v_sub_co_u32 v20, null, v0, v5
	v_sub_co_u32 v21, null, v4, v6
	v_mul_lo_u32 v3, s24, v20
	v_mul_lo_u32 v5, s26, v20
	s_delay_alu instid0(VALU_DEP_2) | instskip(NEXT) | instid1(VALU_DEP_1)
	v_mad_co_u64_u32 v[6:7], null, s16, v21, v[3:4]
	v_mad_co_u64_u32 v[4:5], null, s18, v21, v[5:6]
	s_wait_alu 0xfffe
	s_cbranch_vccnz .LBB73_38
; %bb.12:                               ;   in Loop: Header=BB73_3 Depth=1
	s_mov_b32 s19, 1
	s_and_not1_b32 vcc_lo, exec_lo, s51
	s_mov_b32 s22, s33
	s_mov_b32 s2, s33
	s_wait_alu 0xfffe
	s_cbranch_vccz .LBB73_15
; %bb.13:                               ;   in Loop: Header=BB73_3 Depth=1
	s_and_b32 vcc_lo, exec_lo, s52
	s_mov_b32 s22, s2
	s_wait_alu 0xfffe
	s_cbranch_vccnz .LBB73_20
	s_branch .LBB73_38
.LBB73_14:                              ;   in Loop: Header=BB73_15 Depth=2
	s_wait_alu 0xfffe
	s_or_b32 exec_lo, exec_lo, s2
	s_add_nc_u64 s[36:37], s[0:1], s[36:37]
	s_clause 0x1
	s_load_b32 s2, s[34:35], 0x6c
	s_load_b32 s29, s[36:37], 0x6c
	v_mul_lo_u32 v3, v10, s30
	s_add_co_i32 s22, s22, -1
	s_delay_alu instid0(VALU_DEP_1) | instskip(SKIP_2) | instid1(VALU_DEP_2)
	v_sub_nc_u32_e32 v3, v8, v3
	v_dual_mov_b32 v8, v10 :: v_dual_mov_b32 v9, v11
	s_wait_kmcnt 0x0
	v_mad_co_u64_u32 v[6:7], null, s2, v3, v[6:7]
	v_mad_co_u64_u32 v[4:5], null, s29, v3, v[4:5]
	s_xor_b32 s2, s48, s19
	s_add_co_i32 s19, s19, 1
	s_wait_alu 0xfffe
	s_cmp_lg_u32 s2, 2
	s_cbranch_scc0 .LBB73_19
.LBB73_15:                              ;   Parent Loop BB73_3 Depth=1
                                        ; =>  This Inner Loop Header: Depth=2
	s_lshl_b64 s[36:37], s[22:23], 2
                                        ; implicit-def: $vgpr10_vgpr11
	s_mov_b32 s2, exec_lo
	s_wait_alu 0xfffe
	s_add_nc_u64 s[34:35], s[12:13], s[36:37]
	s_load_b32 s30, s[34:35], 0x8
	s_wait_kmcnt 0x0
	s_ashr_i32 s31, s30, 31
	s_wait_alu 0xfffe
	v_or_b32_e32 v3, s31, v9
	s_delay_alu instid0(VALU_DEP_1)
	v_cmpx_ne_u64_e32 0, v[2:3]
	s_xor_b32 s29, exec_lo, s2
	s_cbranch_execz .LBB73_17
; %bb.16:                               ;   in Loop: Header=BB73_15 Depth=2
	s_ashr_i32 s38, s31, 31
	s_mov_b32 s47, s23
	s_wait_alu 0xfffe
	s_mov_b32 s39, s38
	s_mov_b32 s57, s23
	s_wait_alu 0xfffe
	s_add_nc_u64 s[40:41], s[30:31], s[38:39]
	v_ashrrev_i32_e32 v3, 31, v9
	s_wait_alu 0xfffe
	s_xor_b64 s[40:41], s[40:41], s[38:39]
	s_wait_alu 0xfffe
	s_cvt_f32_u32 s2, s40
	s_cvt_f32_u32 s31, s41
	s_sub_nc_u64 s[44:45], 0, s[40:41]
	v_add_co_u32 v5, vcc_lo, v8, v3
	s_wait_alu 0xfffe
	s_fmamk_f32 s2, s31, 0x4f800000, s2
	s_wait_alu 0xfffd
	v_add_co_ci_u32_e64 v7, null, v9, v3, vcc_lo
	v_xor_b32_e32 v5, v5, v3
	s_wait_alu 0xfffe
	v_s_rcp_f32 s2, s2
	s_delay_alu instid0(VALU_DEP_2) | instskip(SKIP_1) | instid1(TRANS32_DEP_1)
	v_xor_b32_e32 v7, v7, v3
	v_xor_b32_e32 v3, s38, v3
	s_mul_f32 s2, s2, 0x5f7ffffc
	s_wait_alu 0xfffe
	s_delay_alu instid0(SALU_CYCLE_2) | instskip(SKIP_1) | instid1(SALU_CYCLE_2)
	s_mul_f32 s31, s2, 0x2f800000
	s_wait_alu 0xfffe
	s_trunc_f32 s31, s31
	s_wait_alu 0xfffe
	s_delay_alu instid0(SALU_CYCLE_2) | instskip(SKIP_2) | instid1(SALU_CYCLE_1)
	s_fmamk_f32 s2, s31, 0xcf800000, s2
	s_cvt_u32_f32 s43, s31
	s_wait_alu 0xfffe
	s_cvt_u32_f32 s42, s2
	s_wait_alu 0xfffe
	s_delay_alu instid0(SALU_CYCLE_2) | instskip(NEXT) | instid1(SALU_CYCLE_1)
	s_mul_u64 s[54:55], s[44:45], s[42:43]
	s_mul_hi_u32 s59, s42, s55
	s_mul_i32 s58, s42, s55
	s_mul_hi_u32 s46, s42, s54
	s_mul_i32 s31, s43, s54
	s_wait_alu 0xfffe
	s_add_nc_u64 s[46:47], s[46:47], s[58:59]
	s_mul_hi_u32 s2, s43, s54
	s_mul_hi_u32 s39, s43, s55
	s_wait_alu 0xfffe
	s_add_co_u32 s31, s46, s31
	s_add_co_ci_u32 s56, s47, s2
	s_mul_i32 s54, s43, s55
	s_add_co_ci_u32 s55, s39, 0
	s_delay_alu instid0(SALU_CYCLE_1)
	s_add_nc_u64 s[46:47], s[56:57], s[54:55]
	s_mov_b32 s55, s23
	s_wait_alu 0xfffe
	s_add_co_u32 s42, s42, s46
	s_cselect_b32 s2, -1, 0
	s_wait_alu 0xfffe
	s_cmp_lg_u32 s2, 0
	s_add_co_ci_u32 s43, s43, s47
	s_mov_b32 s47, s23
	s_wait_alu 0xfffe
	s_mul_u64 s[44:45], s[44:45], s[42:43]
	s_wait_alu 0xfffe
	s_mul_hi_u32 s57, s42, s45
	s_mul_i32 s56, s42, s45
	s_mul_hi_u32 s54, s42, s44
	s_mul_i32 s31, s43, s44
	s_add_nc_u64 s[54:55], s[54:55], s[56:57]
	s_mul_hi_u32 s2, s43, s44
	s_mul_hi_u32 s39, s43, s45
	s_wait_alu 0xfffe
	s_add_co_u32 s31, s54, s31
	s_add_co_ci_u32 s46, s55, s2
	s_mul_i32 s44, s43, s45
	s_add_co_ci_u32 s45, s39, 0
	s_wait_alu 0xfffe
	s_add_nc_u64 s[44:45], s[46:47], s[44:45]
	s_wait_alu 0xfffe
	s_add_co_u32 s2, s42, s44
	s_cselect_b32 s31, -1, 0
	s_wait_alu 0xfffe
	v_mul_hi_u32 v15, v5, s2
	s_cmp_lg_u32 s31, 0
	v_mad_co_u64_u32 v[11:12], null, v7, s2, 0
	s_add_co_ci_u32 s31, s43, s45
	s_wait_alu 0xfffe
	v_mad_co_u64_u32 v[9:10], null, v5, s31, 0
	v_mad_co_u64_u32 v[13:14], null, v7, s31, 0
	s_delay_alu instid0(VALU_DEP_2) | instskip(SKIP_1) | instid1(VALU_DEP_3)
	v_add_co_u32 v9, vcc_lo, v15, v9
	s_wait_alu 0xfffd
	v_add_co_ci_u32_e64 v10, null, 0, v10, vcc_lo
	s_delay_alu instid0(VALU_DEP_2) | instskip(SKIP_1) | instid1(VALU_DEP_2)
	v_add_co_u32 v9, vcc_lo, v9, v11
	s_wait_alu 0xfffd
	v_add_co_ci_u32_e32 v9, vcc_lo, v10, v12, vcc_lo
	s_wait_alu 0xfffd
	v_add_co_ci_u32_e32 v10, vcc_lo, 0, v14, vcc_lo
	s_delay_alu instid0(VALU_DEP_2) | instskip(SKIP_1) | instid1(VALU_DEP_2)
	v_add_co_u32 v11, vcc_lo, v9, v13
	s_wait_alu 0xfffd
	v_add_co_ci_u32_e64 v12, null, 0, v10, vcc_lo
	s_delay_alu instid0(VALU_DEP_2) | instskip(SKIP_1) | instid1(VALU_DEP_3)
	v_mul_lo_u32 v13, s41, v11
	v_mad_co_u64_u32 v[9:10], null, s40, v11, 0
	v_mul_lo_u32 v14, s40, v12
	s_delay_alu instid0(VALU_DEP_2) | instskip(NEXT) | instid1(VALU_DEP_2)
	v_sub_co_u32 v5, vcc_lo, v5, v9
	v_add3_u32 v10, v10, v14, v13
	s_delay_alu instid0(VALU_DEP_1) | instskip(SKIP_2) | instid1(VALU_DEP_2)
	v_sub_nc_u32_e32 v13, v7, v10
	s_wait_alu 0xfffd
	v_sub_co_ci_u32_e64 v7, null, v7, v10, vcc_lo
	v_subrev_co_ci_u32_e64 v9, null, s41, v13, vcc_lo
	v_add_co_u32 v13, s2, v11, 2
	s_wait_alu 0xf1ff
	v_add_co_ci_u32_e64 v14, null, 0, v12, s2
	v_sub_co_u32 v15, s2, v5, s40
	s_wait_alu 0xf1ff
	v_subrev_co_ci_u32_e64 v9, null, 0, v9, s2
	s_delay_alu instid0(VALU_DEP_2) | instskip(SKIP_2) | instid1(VALU_DEP_3)
	v_cmp_le_u32_e32 vcc_lo, s40, v15
	s_wait_alu 0xfffd
	v_cndmask_b32_e64 v10, 0, -1, vcc_lo
	v_cmp_le_u32_e32 vcc_lo, s41, v9
	s_wait_alu 0xfffd
	v_cndmask_b32_e64 v15, 0, -1, vcc_lo
	;; [unrolled: 3-line block ×4, first 2 shown]
	v_cmp_eq_u32_e32 vcc_lo, s41, v9
	s_wait_alu 0xfffd
	v_cndmask_b32_e32 v9, v15, v10, vcc_lo
	v_add_co_u32 v10, vcc_lo, v11, 1
	s_wait_alu 0xfffd
	v_add_co_ci_u32_e64 v15, null, 0, v12, vcc_lo
	v_cmp_eq_u32_e32 vcc_lo, s41, v7
	s_wait_alu 0xfffd
	v_cndmask_b32_e32 v5, v16, v5, vcc_lo
	v_cmp_ne_u32_e32 vcc_lo, 0, v9
	s_delay_alu instid0(VALU_DEP_2) | instskip(SKIP_4) | instid1(VALU_DEP_2)
	v_cmp_ne_u32_e64 s2, 0, v5
	s_wait_alu 0xfffd
	v_cndmask_b32_e32 v5, v10, v13, vcc_lo
	v_cndmask_b32_e32 v7, v15, v14, vcc_lo
	s_wait_alu 0xf1ff
	v_cndmask_b32_e64 v5, v11, v5, s2
	s_delay_alu instid0(VALU_DEP_2) | instskip(NEXT) | instid1(VALU_DEP_2)
	v_cndmask_b32_e64 v7, v12, v7, s2
	v_xor_b32_e32 v5, v5, v3
	s_delay_alu instid0(VALU_DEP_2) | instskip(NEXT) | instid1(VALU_DEP_2)
	v_xor_b32_e32 v7, v7, v3
	v_sub_co_u32 v10, vcc_lo, v5, v3
	s_wait_alu 0xfffd
	s_delay_alu instid0(VALU_DEP_2)
	v_sub_co_ci_u32_e64 v11, null, v7, v3, vcc_lo
.LBB73_17:                              ;   in Loop: Header=BB73_15 Depth=2
	s_wait_alu 0xfffe
	s_and_not1_saveexec_b32 s2, s29
	s_cbranch_execz .LBB73_14
; %bb.18:                               ;   in Loop: Header=BB73_15 Depth=2
	v_cvt_f32_u32_e32 v3, s30
	s_sub_co_i32 s29, 0, s30
	v_mov_b32_e32 v11, v2
	s_delay_alu instid0(VALU_DEP_2) | instskip(NEXT) | instid1(TRANS32_DEP_1)
	v_rcp_iflag_f32_e32 v3, v3
	v_mul_f32_e32 v3, 0x4f7ffffe, v3
	s_delay_alu instid0(VALU_DEP_1) | instskip(SKIP_1) | instid1(VALU_DEP_1)
	v_cvt_u32_f32_e32 v3, v3
	s_wait_alu 0xfffe
	v_mul_lo_u32 v5, s29, v3
	s_delay_alu instid0(VALU_DEP_1) | instskip(NEXT) | instid1(VALU_DEP_1)
	v_mul_hi_u32 v5, v3, v5
	v_add_nc_u32_e32 v3, v3, v5
	s_delay_alu instid0(VALU_DEP_1) | instskip(NEXT) | instid1(VALU_DEP_1)
	v_mul_hi_u32 v3, v8, v3
	v_mul_lo_u32 v5, v3, s30
	v_add_nc_u32_e32 v7, 1, v3
	s_delay_alu instid0(VALU_DEP_2) | instskip(NEXT) | instid1(VALU_DEP_1)
	v_sub_nc_u32_e32 v5, v8, v5
	v_cmp_le_u32_e32 vcc_lo, s30, v5
	v_subrev_nc_u32_e32 v9, s30, v5
	s_wait_alu 0xfffd
	v_cndmask_b32_e32 v3, v3, v7, vcc_lo
	s_delay_alu instid0(VALU_DEP_1) | instskip(NEXT) | instid1(VALU_DEP_3)
	v_add_nc_u32_e32 v7, 1, v3
	v_cndmask_b32_e32 v5, v5, v9, vcc_lo
	s_delay_alu instid0(VALU_DEP_1) | instskip(SKIP_1) | instid1(VALU_DEP_3)
	v_cmp_le_u32_e32 vcc_lo, s30, v5
	s_wait_alu 0xfffd
	v_cndmask_b32_e32 v10, v3, v7, vcc_lo
	s_branch .LBB73_14
.LBB73_19:                              ;   in Loop: Header=BB73_3 Depth=1
	s_mov_b32 s2, s22
	s_and_b32 vcc_lo, exec_lo, s52
	s_wait_alu 0xfffe
	s_mov_b32 s22, s2
	s_cbranch_vccz .LBB73_38
.LBB73_20:                              ;   Parent Loop BB73_3 Depth=1
                                        ; =>  This Inner Loop Header: Depth=2
	s_wait_alu 0xfffe
	s_lshl_b64 s[42:43], s[22:23], 2
                                        ; implicit-def: $vgpr10_vgpr11
	s_mov_b32 s2, exec_lo
	s_wait_alu 0xfffe
	s_add_nc_u64 s[36:37], s[12:13], s[42:43]
	s_load_b32 s30, s[36:37], 0x8
	s_wait_kmcnt 0x0
	s_ashr_i32 s31, s30, 31
	s_wait_alu 0xfffe
	v_or_b32_e32 v3, s31, v9
	s_delay_alu instid0(VALU_DEP_1)
	v_cmpx_ne_u64_e32 0, v[2:3]
	s_xor_b32 s19, exec_lo, s2
	s_cbranch_execz .LBB73_22
; %bb.21:                               ;   in Loop: Header=BB73_20 Depth=2
	s_ashr_i32 s34, s31, 31
	s_mov_b32 s47, s23
	s_wait_alu 0xfffe
	s_mov_b32 s35, s34
	s_mov_b32 s57, s23
	s_wait_alu 0xfffe
	s_add_nc_u64 s[38:39], s[30:31], s[34:35]
	v_ashrrev_i32_e32 v3, 31, v9
	s_wait_alu 0xfffe
	s_xor_b64 s[38:39], s[38:39], s[34:35]
	s_wait_alu 0xfffe
	s_cvt_f32_u32 s2, s38
	s_cvt_f32_u32 s29, s39
	s_sub_nc_u64 s[44:45], 0, s[38:39]
	v_add_co_u32 v5, vcc_lo, v8, v3
	s_wait_alu 0xfffe
	s_fmamk_f32 s2, s29, 0x4f800000, s2
	s_wait_alu 0xfffd
	v_add_co_ci_u32_e64 v7, null, v9, v3, vcc_lo
	v_xor_b32_e32 v5, v5, v3
	s_wait_alu 0xfffe
	v_s_rcp_f32 s2, s2
	s_delay_alu instid0(VALU_DEP_2) | instskip(SKIP_1) | instid1(TRANS32_DEP_1)
	v_xor_b32_e32 v7, v7, v3
	v_xor_b32_e32 v3, s34, v3
	s_mul_f32 s2, s2, 0x5f7ffffc
	s_wait_alu 0xfffe
	s_delay_alu instid0(SALU_CYCLE_2) | instskip(SKIP_1) | instid1(SALU_CYCLE_2)
	s_mul_f32 s29, s2, 0x2f800000
	s_wait_alu 0xfffe
	s_trunc_f32 s29, s29
	s_wait_alu 0xfffe
	s_delay_alu instid0(SALU_CYCLE_2) | instskip(SKIP_2) | instid1(SALU_CYCLE_1)
	s_fmamk_f32 s2, s29, 0xcf800000, s2
	s_cvt_u32_f32 s41, s29
	s_wait_alu 0xfffe
	s_cvt_u32_f32 s40, s2
	s_wait_alu 0xfffe
	s_delay_alu instid0(SALU_CYCLE_2) | instskip(NEXT) | instid1(SALU_CYCLE_1)
	s_mul_u64 s[54:55], s[44:45], s[40:41]
	s_mul_hi_u32 s59, s40, s55
	s_mul_i32 s58, s40, s55
	s_mul_hi_u32 s46, s40, s54
	s_mul_i32 s29, s41, s54
	s_wait_alu 0xfffe
	s_add_nc_u64 s[46:47], s[46:47], s[58:59]
	s_mul_hi_u32 s2, s41, s54
	s_mul_hi_u32 s31, s41, s55
	s_wait_alu 0xfffe
	s_add_co_u32 s29, s46, s29
	s_add_co_ci_u32 s56, s47, s2
	s_mul_i32 s54, s41, s55
	s_add_co_ci_u32 s55, s31, 0
	s_delay_alu instid0(SALU_CYCLE_1)
	s_add_nc_u64 s[46:47], s[56:57], s[54:55]
	s_mov_b32 s55, s23
	s_wait_alu 0xfffe
	s_add_co_u32 s40, s40, s46
	s_cselect_b32 s2, -1, 0
	s_wait_alu 0xfffe
	s_cmp_lg_u32 s2, 0
	s_add_co_ci_u32 s41, s41, s47
	s_mov_b32 s47, s23
	s_wait_alu 0xfffe
	s_mul_u64 s[44:45], s[44:45], s[40:41]
	s_wait_alu 0xfffe
	s_mul_hi_u32 s57, s40, s45
	s_mul_i32 s56, s40, s45
	s_mul_hi_u32 s54, s40, s44
	s_mul_i32 s29, s41, s44
	s_add_nc_u64 s[54:55], s[54:55], s[56:57]
	s_mul_hi_u32 s2, s41, s44
	s_mul_hi_u32 s31, s41, s45
	s_wait_alu 0xfffe
	s_add_co_u32 s29, s54, s29
	s_add_co_ci_u32 s46, s55, s2
	s_mul_i32 s44, s41, s45
	s_add_co_ci_u32 s45, s31, 0
	s_wait_alu 0xfffe
	s_add_nc_u64 s[44:45], s[46:47], s[44:45]
	s_wait_alu 0xfffe
	s_add_co_u32 s2, s40, s44
	s_cselect_b32 s29, -1, 0
	s_wait_alu 0xfffe
	v_mul_hi_u32 v15, v5, s2
	s_cmp_lg_u32 s29, 0
	v_mad_co_u64_u32 v[11:12], null, v7, s2, 0
	s_add_co_ci_u32 s29, s41, s45
	s_wait_alu 0xfffe
	v_mad_co_u64_u32 v[9:10], null, v5, s29, 0
	v_mad_co_u64_u32 v[13:14], null, v7, s29, 0
	s_delay_alu instid0(VALU_DEP_2) | instskip(SKIP_1) | instid1(VALU_DEP_3)
	v_add_co_u32 v9, vcc_lo, v15, v9
	s_wait_alu 0xfffd
	v_add_co_ci_u32_e64 v10, null, 0, v10, vcc_lo
	s_delay_alu instid0(VALU_DEP_2) | instskip(SKIP_1) | instid1(VALU_DEP_2)
	v_add_co_u32 v9, vcc_lo, v9, v11
	s_wait_alu 0xfffd
	v_add_co_ci_u32_e32 v9, vcc_lo, v10, v12, vcc_lo
	s_wait_alu 0xfffd
	v_add_co_ci_u32_e32 v10, vcc_lo, 0, v14, vcc_lo
	s_delay_alu instid0(VALU_DEP_2) | instskip(SKIP_1) | instid1(VALU_DEP_2)
	v_add_co_u32 v11, vcc_lo, v9, v13
	s_wait_alu 0xfffd
	v_add_co_ci_u32_e64 v12, null, 0, v10, vcc_lo
	s_delay_alu instid0(VALU_DEP_2) | instskip(SKIP_1) | instid1(VALU_DEP_3)
	v_mul_lo_u32 v13, s39, v11
	v_mad_co_u64_u32 v[9:10], null, s38, v11, 0
	v_mul_lo_u32 v14, s38, v12
	s_delay_alu instid0(VALU_DEP_2) | instskip(NEXT) | instid1(VALU_DEP_2)
	v_sub_co_u32 v5, vcc_lo, v5, v9
	v_add3_u32 v10, v10, v14, v13
	s_delay_alu instid0(VALU_DEP_1) | instskip(SKIP_2) | instid1(VALU_DEP_2)
	v_sub_nc_u32_e32 v13, v7, v10
	s_wait_alu 0xfffd
	v_sub_co_ci_u32_e64 v7, null, v7, v10, vcc_lo
	v_subrev_co_ci_u32_e64 v9, null, s39, v13, vcc_lo
	v_add_co_u32 v13, s2, v11, 2
	s_wait_alu 0xf1ff
	v_add_co_ci_u32_e64 v14, null, 0, v12, s2
	v_sub_co_u32 v15, s2, v5, s38
	s_wait_alu 0xf1ff
	v_subrev_co_ci_u32_e64 v9, null, 0, v9, s2
	s_delay_alu instid0(VALU_DEP_2) | instskip(SKIP_2) | instid1(VALU_DEP_3)
	v_cmp_le_u32_e32 vcc_lo, s38, v15
	s_wait_alu 0xfffd
	v_cndmask_b32_e64 v10, 0, -1, vcc_lo
	v_cmp_le_u32_e32 vcc_lo, s39, v9
	s_wait_alu 0xfffd
	v_cndmask_b32_e64 v15, 0, -1, vcc_lo
	;; [unrolled: 3-line block ×4, first 2 shown]
	v_cmp_eq_u32_e32 vcc_lo, s39, v9
	s_wait_alu 0xfffd
	v_cndmask_b32_e32 v9, v15, v10, vcc_lo
	v_add_co_u32 v10, vcc_lo, v11, 1
	s_wait_alu 0xfffd
	v_add_co_ci_u32_e64 v15, null, 0, v12, vcc_lo
	v_cmp_eq_u32_e32 vcc_lo, s39, v7
	s_wait_alu 0xfffd
	v_cndmask_b32_e32 v5, v16, v5, vcc_lo
	v_cmp_ne_u32_e32 vcc_lo, 0, v9
	s_delay_alu instid0(VALU_DEP_2) | instskip(SKIP_4) | instid1(VALU_DEP_2)
	v_cmp_ne_u32_e64 s2, 0, v5
	s_wait_alu 0xfffd
	v_cndmask_b32_e32 v5, v10, v13, vcc_lo
	v_cndmask_b32_e32 v7, v15, v14, vcc_lo
	s_wait_alu 0xf1ff
	v_cndmask_b32_e64 v5, v11, v5, s2
	s_delay_alu instid0(VALU_DEP_2) | instskip(NEXT) | instid1(VALU_DEP_2)
	v_cndmask_b32_e64 v7, v12, v7, s2
	v_xor_b32_e32 v5, v5, v3
	s_delay_alu instid0(VALU_DEP_2) | instskip(NEXT) | instid1(VALU_DEP_2)
	v_xor_b32_e32 v7, v7, v3
	v_sub_co_u32 v10, vcc_lo, v5, v3
	s_wait_alu 0xfffd
	s_delay_alu instid0(VALU_DEP_2)
	v_sub_co_ci_u32_e64 v11, null, v7, v3, vcc_lo
.LBB73_22:                              ;   in Loop: Header=BB73_20 Depth=2
	s_wait_alu 0xfffe
	s_and_not1_saveexec_b32 s2, s19
	s_cbranch_execz .LBB73_24
; %bb.23:                               ;   in Loop: Header=BB73_20 Depth=2
	v_cvt_f32_u32_e32 v3, s30
	s_sub_co_i32 s19, 0, s30
	v_mov_b32_e32 v11, v2
	s_delay_alu instid0(VALU_DEP_2) | instskip(NEXT) | instid1(TRANS32_DEP_1)
	v_rcp_iflag_f32_e32 v3, v3
	v_mul_f32_e32 v3, 0x4f7ffffe, v3
	s_delay_alu instid0(VALU_DEP_1) | instskip(SKIP_1) | instid1(VALU_DEP_1)
	v_cvt_u32_f32_e32 v3, v3
	s_wait_alu 0xfffe
	v_mul_lo_u32 v5, s19, v3
	s_delay_alu instid0(VALU_DEP_1) | instskip(NEXT) | instid1(VALU_DEP_1)
	v_mul_hi_u32 v5, v3, v5
	v_add_nc_u32_e32 v3, v3, v5
	s_delay_alu instid0(VALU_DEP_1) | instskip(NEXT) | instid1(VALU_DEP_1)
	v_mul_hi_u32 v3, v8, v3
	v_mul_lo_u32 v5, v3, s30
	v_add_nc_u32_e32 v7, 1, v3
	s_delay_alu instid0(VALU_DEP_2) | instskip(NEXT) | instid1(VALU_DEP_1)
	v_sub_nc_u32_e32 v5, v8, v5
	v_cmp_le_u32_e32 vcc_lo, s30, v5
	v_subrev_nc_u32_e32 v9, s30, v5
	s_wait_alu 0xfffd
	v_cndmask_b32_e32 v3, v3, v7, vcc_lo
	s_delay_alu instid0(VALU_DEP_1) | instskip(NEXT) | instid1(VALU_DEP_3)
	v_add_nc_u32_e32 v7, 1, v3
	v_cndmask_b32_e32 v5, v5, v9, vcc_lo
	s_delay_alu instid0(VALU_DEP_1) | instskip(SKIP_1) | instid1(VALU_DEP_3)
	v_cmp_le_u32_e32 vcc_lo, s30, v5
	s_wait_alu 0xfffd
	v_cndmask_b32_e32 v10, v3, v7, vcc_lo
.LBB73_24:                              ;   in Loop: Header=BB73_20 Depth=2
	s_wait_alu 0xfffe
	s_or_b32 exec_lo, exec_lo, s2
	s_add_co_i32 s34, s22, -1
	s_mov_b32 s35, s23
	s_add_nc_u64 s[42:43], s[0:1], s[42:43]
	s_wait_alu 0xfffe
	s_lshl_b64 s[40:41], s[34:35], 2
                                        ; implicit-def: $vgpr12_vgpr13
	s_mov_b32 s2, exec_lo
	s_wait_alu 0xfffe
	s_add_nc_u64 s[38:39], s[12:13], s[40:41]
	s_clause 0x2
	s_load_b32 s34, s[38:39], 0x8
	s_load_b32 s19, s[36:37], 0x6c
	;; [unrolled: 1-line block ×3, first 2 shown]
	s_wait_kmcnt 0x0
	s_ashr_i32 s35, s34, 31
	s_wait_alu 0xfffe
	v_or_b32_e32 v3, s35, v11
	s_delay_alu instid0(VALU_DEP_1)
	v_cmpx_ne_u64_e32 0, v[2:3]
	s_xor_b32 s31, exec_lo, s2
	s_cbranch_execz .LBB73_26
; %bb.25:                               ;   in Loop: Header=BB73_20 Depth=2
	s_ashr_i32 s36, s35, 31
	s_mov_b32 s55, s23
	s_wait_alu 0xfffe
	s_mov_b32 s37, s36
	s_mov_b32 s59, s23
	s_wait_alu 0xfffe
	s_add_nc_u64 s[42:43], s[34:35], s[36:37]
	v_ashrrev_i32_e32 v3, 31, v11
	s_wait_alu 0xfffe
	s_xor_b64 s[42:43], s[42:43], s[36:37]
	s_wait_alu 0xfffe
	s_cvt_f32_u32 s2, s42
	s_cvt_f32_u32 s35, s43
	s_sub_nc_u64 s[46:47], 0, s[42:43]
	v_add_co_u32 v5, vcc_lo, v10, v3
	s_wait_alu 0xfffe
	s_fmamk_f32 s2, s35, 0x4f800000, s2
	s_wait_alu 0xfffd
	v_add_co_ci_u32_e64 v7, null, v11, v3, vcc_lo
	v_xor_b32_e32 v5, v5, v3
	s_wait_alu 0xfffe
	v_s_rcp_f32 s2, s2
	s_delay_alu instid0(VALU_DEP_2) | instskip(SKIP_1) | instid1(TRANS32_DEP_1)
	v_xor_b32_e32 v7, v7, v3
	v_xor_b32_e32 v3, s36, v3
	s_mul_f32 s2, s2, 0x5f7ffffc
	s_wait_alu 0xfffe
	s_delay_alu instid0(SALU_CYCLE_2) | instskip(SKIP_1) | instid1(SALU_CYCLE_2)
	s_mul_f32 s35, s2, 0x2f800000
	s_wait_alu 0xfffe
	s_trunc_f32 s35, s35
	s_wait_alu 0xfffe
	s_delay_alu instid0(SALU_CYCLE_2) | instskip(SKIP_2) | instid1(SALU_CYCLE_1)
	s_fmamk_f32 s2, s35, 0xcf800000, s2
	s_cvt_u32_f32 s45, s35
	s_wait_alu 0xfffe
	s_cvt_u32_f32 s44, s2
	s_wait_alu 0xfffe
	s_delay_alu instid0(SALU_CYCLE_2) | instskip(NEXT) | instid1(SALU_CYCLE_1)
	s_mul_u64 s[56:57], s[46:47], s[44:45]
	s_mul_hi_u32 s61, s44, s57
	s_mul_i32 s60, s44, s57
	s_mul_hi_u32 s54, s44, s56
	s_mul_i32 s35, s45, s56
	s_add_nc_u64 s[54:55], s[54:55], s[60:61]
	s_mul_hi_u32 s2, s45, s56
	s_mul_hi_u32 s37, s45, s57
	s_wait_alu 0xfffe
	s_add_co_u32 s35, s54, s35
	s_add_co_ci_u32 s58, s55, s2
	s_mul_i32 s56, s45, s57
	s_add_co_ci_u32 s57, s37, 0
	s_delay_alu instid0(SALU_CYCLE_1)
	s_add_nc_u64 s[54:55], s[58:59], s[56:57]
	s_mov_b32 s57, s23
	s_add_co_u32 s44, s44, s54
	s_cselect_b32 s2, -1, 0
	s_wait_alu 0xfffe
	s_cmp_lg_u32 s2, 0
	s_add_co_ci_u32 s45, s45, s55
	s_mov_b32 s55, s23
	s_wait_alu 0xfffe
	s_mul_u64 s[46:47], s[46:47], s[44:45]
	s_wait_alu 0xfffe
	s_mul_hi_u32 s59, s44, s47
	s_mul_i32 s58, s44, s47
	s_mul_hi_u32 s56, s44, s46
	s_mul_i32 s35, s45, s46
	s_add_nc_u64 s[56:57], s[56:57], s[58:59]
	s_mul_hi_u32 s2, s45, s46
	s_mul_hi_u32 s37, s45, s47
	s_wait_alu 0xfffe
	s_add_co_u32 s35, s56, s35
	s_add_co_ci_u32 s54, s57, s2
	s_mul_i32 s46, s45, s47
	s_add_co_ci_u32 s47, s37, 0
	s_wait_alu 0xfffe
	s_add_nc_u64 s[46:47], s[54:55], s[46:47]
	s_wait_alu 0xfffe
	s_add_co_u32 s2, s44, s46
	s_cselect_b32 s35, -1, 0
	s_wait_alu 0xfffe
	v_mul_hi_u32 v9, v5, s2
	s_cmp_lg_u32 s35, 0
	v_mad_co_u64_u32 v[13:14], null, v7, s2, 0
	s_add_co_ci_u32 s35, s45, s47
	s_wait_alu 0xfffe
	v_mad_co_u64_u32 v[11:12], null, v5, s35, 0
	v_mad_co_u64_u32 v[15:16], null, v7, s35, 0
	s_delay_alu instid0(VALU_DEP_2) | instskip(SKIP_1) | instid1(VALU_DEP_3)
	v_add_co_u32 v9, vcc_lo, v9, v11
	s_wait_alu 0xfffd
	v_add_co_ci_u32_e64 v11, null, 0, v12, vcc_lo
	s_delay_alu instid0(VALU_DEP_2) | instskip(SKIP_1) | instid1(VALU_DEP_2)
	v_add_co_u32 v9, vcc_lo, v9, v13
	s_wait_alu 0xfffd
	v_add_co_ci_u32_e32 v9, vcc_lo, v11, v14, vcc_lo
	s_wait_alu 0xfffd
	v_add_co_ci_u32_e32 v11, vcc_lo, 0, v16, vcc_lo
	s_delay_alu instid0(VALU_DEP_2) | instskip(SKIP_1) | instid1(VALU_DEP_2)
	v_add_co_u32 v9, vcc_lo, v9, v15
	s_wait_alu 0xfffd
	v_add_co_ci_u32_e64 v13, null, 0, v11, vcc_lo
	s_delay_alu instid0(VALU_DEP_2) | instskip(SKIP_1) | instid1(VALU_DEP_3)
	v_mul_lo_u32 v14, s43, v9
	v_mad_co_u64_u32 v[11:12], null, s42, v9, 0
	v_mul_lo_u32 v15, s42, v13
	s_delay_alu instid0(VALU_DEP_2) | instskip(NEXT) | instid1(VALU_DEP_2)
	v_sub_co_u32 v5, vcc_lo, v5, v11
	v_add3_u32 v12, v12, v15, v14
	s_delay_alu instid0(VALU_DEP_1) | instskip(SKIP_2) | instid1(VALU_DEP_2)
	v_sub_nc_u32_e32 v14, v7, v12
	s_wait_alu 0xfffd
	v_sub_co_ci_u32_e64 v7, null, v7, v12, vcc_lo
	v_subrev_co_ci_u32_e64 v11, null, s43, v14, vcc_lo
	v_add_co_u32 v14, s2, v9, 2
	s_wait_alu 0xf1ff
	v_add_co_ci_u32_e64 v15, null, 0, v13, s2
	v_sub_co_u32 v16, s2, v5, s42
	s_wait_alu 0xf1ff
	v_subrev_co_ci_u32_e64 v11, null, 0, v11, s2
	s_delay_alu instid0(VALU_DEP_2) | instskip(SKIP_2) | instid1(VALU_DEP_3)
	v_cmp_le_u32_e32 vcc_lo, s42, v16
	s_wait_alu 0xfffd
	v_cndmask_b32_e64 v12, 0, -1, vcc_lo
	v_cmp_le_u32_e32 vcc_lo, s43, v11
	s_wait_alu 0xfffd
	v_cndmask_b32_e64 v16, 0, -1, vcc_lo
	;; [unrolled: 3-line block ×4, first 2 shown]
	v_cmp_eq_u32_e32 vcc_lo, s43, v11
	s_wait_alu 0xfffd
	v_cndmask_b32_e32 v11, v16, v12, vcc_lo
	v_add_co_u32 v12, vcc_lo, v9, 1
	s_wait_alu 0xfffd
	v_add_co_ci_u32_e64 v16, null, 0, v13, vcc_lo
	v_cmp_eq_u32_e32 vcc_lo, s43, v7
	s_wait_alu 0xfffd
	v_cndmask_b32_e32 v5, v17, v5, vcc_lo
	v_cmp_ne_u32_e32 vcc_lo, 0, v11
	s_delay_alu instid0(VALU_DEP_2) | instskip(SKIP_4) | instid1(VALU_DEP_2)
	v_cmp_ne_u32_e64 s2, 0, v5
	s_wait_alu 0xfffd
	v_cndmask_b32_e32 v5, v12, v14, vcc_lo
	v_cndmask_b32_e32 v7, v16, v15, vcc_lo
	s_wait_alu 0xf1ff
	v_cndmask_b32_e64 v5, v9, v5, s2
	s_delay_alu instid0(VALU_DEP_2) | instskip(NEXT) | instid1(VALU_DEP_2)
	v_cndmask_b32_e64 v7, v13, v7, s2
	v_xor_b32_e32 v5, v5, v3
	s_delay_alu instid0(VALU_DEP_2) | instskip(NEXT) | instid1(VALU_DEP_2)
	v_xor_b32_e32 v7, v7, v3
	v_sub_co_u32 v12, vcc_lo, v5, v3
	s_wait_alu 0xfffd
	s_delay_alu instid0(VALU_DEP_2)
	v_sub_co_ci_u32_e64 v13, null, v7, v3, vcc_lo
.LBB73_26:                              ;   in Loop: Header=BB73_20 Depth=2
	s_wait_alu 0xfffe
	s_and_not1_saveexec_b32 s2, s31
	s_cbranch_execz .LBB73_28
; %bb.27:                               ;   in Loop: Header=BB73_20 Depth=2
	v_cvt_f32_u32_e32 v3, s34
	s_sub_co_i32 s31, 0, s34
	v_mov_b32_e32 v13, v2
	s_delay_alu instid0(VALU_DEP_2) | instskip(NEXT) | instid1(TRANS32_DEP_1)
	v_rcp_iflag_f32_e32 v3, v3
	v_mul_f32_e32 v3, 0x4f7ffffe, v3
	s_delay_alu instid0(VALU_DEP_1) | instskip(SKIP_1) | instid1(VALU_DEP_1)
	v_cvt_u32_f32_e32 v3, v3
	s_wait_alu 0xfffe
	v_mul_lo_u32 v5, s31, v3
	s_delay_alu instid0(VALU_DEP_1) | instskip(NEXT) | instid1(VALU_DEP_1)
	v_mul_hi_u32 v5, v3, v5
	v_add_nc_u32_e32 v3, v3, v5
	s_delay_alu instid0(VALU_DEP_1) | instskip(NEXT) | instid1(VALU_DEP_1)
	v_mul_hi_u32 v3, v10, v3
	v_mul_lo_u32 v5, v3, s34
	v_add_nc_u32_e32 v7, 1, v3
	s_delay_alu instid0(VALU_DEP_2) | instskip(NEXT) | instid1(VALU_DEP_1)
	v_sub_nc_u32_e32 v5, v10, v5
	v_cmp_le_u32_e32 vcc_lo, s34, v5
	v_subrev_nc_u32_e32 v9, s34, v5
	s_wait_alu 0xfffd
	v_cndmask_b32_e32 v3, v3, v7, vcc_lo
	s_delay_alu instid0(VALU_DEP_1) | instskip(NEXT) | instid1(VALU_DEP_3)
	v_add_nc_u32_e32 v7, 1, v3
	v_cndmask_b32_e32 v5, v5, v9, vcc_lo
	s_delay_alu instid0(VALU_DEP_1) | instskip(SKIP_1) | instid1(VALU_DEP_3)
	v_cmp_le_u32_e32 vcc_lo, s34, v5
	s_wait_alu 0xfffd
	v_cndmask_b32_e32 v12, v3, v7, vcc_lo
.LBB73_28:                              ;   in Loop: Header=BB73_20 Depth=2
	s_wait_alu 0xfffe
	s_or_b32 exec_lo, exec_lo, s2
	s_add_co_i32 s36, s22, -2
	s_mov_b32 s37, s23
	s_add_nc_u64 s[40:41], s[0:1], s[40:41]
	s_wait_alu 0xfffe
	s_lshl_b64 s[46:47], s[36:37], 2
                                        ; implicit-def: $vgpr14_vgpr15
	s_mov_b32 s2, exec_lo
	s_wait_alu 0xfffe
	s_add_nc_u64 s[44:45], s[12:13], s[46:47]
	s_clause 0x2
	s_load_b32 s36, s[44:45], 0x8
	s_load_b32 s31, s[38:39], 0x6c
	;; [unrolled: 1-line block ×3, first 2 shown]
	s_wait_kmcnt 0x0
	s_ashr_i32 s37, s36, 31
	s_wait_alu 0xfffe
	v_or_b32_e32 v3, s37, v13
	s_delay_alu instid0(VALU_DEP_1)
	v_cmpx_ne_u64_e32 0, v[2:3]
	s_xor_b32 s42, exec_lo, s2
	s_cbranch_execz .LBB73_30
; %bb.29:                               ;   in Loop: Header=BB73_20 Depth=2
	s_ashr_i32 s38, s37, 31
	s_mov_b32 s59, s23
	s_wait_alu 0xfffe
	s_mov_b32 s39, s38
	s_mov_b32 s63, s23
	s_wait_alu 0xfffe
	s_add_nc_u64 s[40:41], s[36:37], s[38:39]
	v_ashrrev_i32_e32 v3, 31, v13
	s_wait_alu 0xfffe
	s_xor_b64 s[40:41], s[40:41], s[38:39]
	s_wait_alu 0xfffe
	s_cvt_f32_u32 s2, s40
	s_cvt_f32_u32 s37, s41
	s_sub_nc_u64 s[56:57], 0, s[40:41]
	v_add_co_u32 v5, vcc_lo, v12, v3
	s_wait_alu 0xfffe
	s_fmamk_f32 s2, s37, 0x4f800000, s2
	s_wait_alu 0xfffd
	v_add_co_ci_u32_e64 v7, null, v13, v3, vcc_lo
	v_xor_b32_e32 v5, v5, v3
	s_wait_alu 0xfffe
	v_s_rcp_f32 s2, s2
	s_delay_alu instid0(VALU_DEP_2) | instskip(SKIP_1) | instid1(TRANS32_DEP_1)
	v_xor_b32_e32 v7, v7, v3
	v_xor_b32_e32 v3, s38, v3
	s_mul_f32 s2, s2, 0x5f7ffffc
	s_wait_alu 0xfffe
	s_delay_alu instid0(SALU_CYCLE_2) | instskip(SKIP_1) | instid1(SALU_CYCLE_2)
	s_mul_f32 s37, s2, 0x2f800000
	s_wait_alu 0xfffe
	s_trunc_f32 s37, s37
	s_wait_alu 0xfffe
	s_delay_alu instid0(SALU_CYCLE_2) | instskip(SKIP_2) | instid1(SALU_CYCLE_1)
	s_fmamk_f32 s2, s37, 0xcf800000, s2
	s_cvt_u32_f32 s55, s37
	s_wait_alu 0xfffe
	s_cvt_u32_f32 s54, s2
	s_delay_alu instid0(SALU_CYCLE_3) | instskip(NEXT) | instid1(SALU_CYCLE_1)
	s_mul_u64 s[60:61], s[56:57], s[54:55]
	s_mul_hi_u32 s65, s54, s61
	s_mul_i32 s64, s54, s61
	s_mul_hi_u32 s58, s54, s60
	s_mul_i32 s37, s55, s60
	s_add_nc_u64 s[58:59], s[58:59], s[64:65]
	s_mul_hi_u32 s2, s55, s60
	s_mul_hi_u32 s39, s55, s61
	s_wait_alu 0xfffe
	s_add_co_u32 s37, s58, s37
	s_add_co_ci_u32 s62, s59, s2
	s_mul_i32 s60, s55, s61
	s_add_co_ci_u32 s61, s39, 0
	s_delay_alu instid0(SALU_CYCLE_1)
	s_add_nc_u64 s[58:59], s[62:63], s[60:61]
	s_mov_b32 s61, s23
	s_add_co_u32 s54, s54, s58
	s_cselect_b32 s2, -1, 0
	s_wait_alu 0xfffe
	s_cmp_lg_u32 s2, 0
	s_add_co_ci_u32 s55, s55, s59
	s_mov_b32 s59, s23
	s_mul_u64 s[56:57], s[56:57], s[54:55]
	s_delay_alu instid0(SALU_CYCLE_1)
	s_mul_hi_u32 s63, s54, s57
	s_mul_i32 s62, s54, s57
	s_mul_hi_u32 s60, s54, s56
	s_mul_i32 s37, s55, s56
	s_add_nc_u64 s[60:61], s[60:61], s[62:63]
	s_mul_hi_u32 s2, s55, s56
	s_mul_hi_u32 s39, s55, s57
	s_wait_alu 0xfffe
	s_add_co_u32 s37, s60, s37
	s_add_co_ci_u32 s58, s61, s2
	s_mul_i32 s56, s55, s57
	s_add_co_ci_u32 s57, s39, 0
	s_delay_alu instid0(SALU_CYCLE_1) | instskip(NEXT) | instid1(SALU_CYCLE_1)
	s_add_nc_u64 s[56:57], s[58:59], s[56:57]
	s_add_co_u32 s2, s54, s56
	s_cselect_b32 s37, -1, 0
	s_wait_alu 0xfffe
	v_mul_hi_u32 v9, v5, s2
	s_cmp_lg_u32 s37, 0
	v_mad_co_u64_u32 v[15:16], null, v7, s2, 0
	s_add_co_ci_u32 s37, s55, s57
	s_wait_alu 0xfffe
	v_mad_co_u64_u32 v[13:14], null, v5, s37, 0
	v_mad_co_u64_u32 v[22:23], null, v7, s37, 0
	s_delay_alu instid0(VALU_DEP_2) | instskip(SKIP_1) | instid1(VALU_DEP_3)
	v_add_co_u32 v9, vcc_lo, v9, v13
	s_wait_alu 0xfffd
	v_add_co_ci_u32_e64 v11, null, 0, v14, vcc_lo
	s_delay_alu instid0(VALU_DEP_2) | instskip(SKIP_1) | instid1(VALU_DEP_2)
	v_add_co_u32 v9, vcc_lo, v9, v15
	s_wait_alu 0xfffd
	v_add_co_ci_u32_e32 v9, vcc_lo, v11, v16, vcc_lo
	s_wait_alu 0xfffd
	v_add_co_ci_u32_e32 v11, vcc_lo, 0, v23, vcc_lo
	s_delay_alu instid0(VALU_DEP_2) | instskip(SKIP_1) | instid1(VALU_DEP_2)
	v_add_co_u32 v9, vcc_lo, v9, v22
	s_wait_alu 0xfffd
	v_add_co_ci_u32_e64 v11, null, 0, v11, vcc_lo
	s_delay_alu instid0(VALU_DEP_2) | instskip(SKIP_1) | instid1(VALU_DEP_3)
	v_mul_lo_u32 v15, s41, v9
	v_mad_co_u64_u32 v[13:14], null, s40, v9, 0
	v_mul_lo_u32 v16, s40, v11
	s_delay_alu instid0(VALU_DEP_2) | instskip(NEXT) | instid1(VALU_DEP_2)
	v_sub_co_u32 v5, vcc_lo, v5, v13
	v_add3_u32 v14, v14, v16, v15
	s_delay_alu instid0(VALU_DEP_1) | instskip(SKIP_2) | instid1(VALU_DEP_2)
	v_sub_nc_u32_e32 v15, v7, v14
	s_wait_alu 0xfffd
	v_sub_co_ci_u32_e64 v7, null, v7, v14, vcc_lo
	v_subrev_co_ci_u32_e64 v13, null, s41, v15, vcc_lo
	v_add_co_u32 v15, s2, v9, 2
	s_wait_alu 0xf1ff
	v_add_co_ci_u32_e64 v16, null, 0, v11, s2
	v_sub_co_u32 v17, s2, v5, s40
	s_wait_alu 0xf1ff
	v_subrev_co_ci_u32_e64 v13, null, 0, v13, s2
	s_delay_alu instid0(VALU_DEP_2) | instskip(SKIP_2) | instid1(VALU_DEP_3)
	v_cmp_le_u32_e32 vcc_lo, s40, v17
	s_wait_alu 0xfffd
	v_cndmask_b32_e64 v14, 0, -1, vcc_lo
	v_cmp_le_u32_e32 vcc_lo, s41, v13
	s_wait_alu 0xfffd
	v_cndmask_b32_e64 v17, 0, -1, vcc_lo
	v_cmp_le_u32_e32 vcc_lo, s40, v5
	s_wait_alu 0xfffd
	v_cndmask_b32_e64 v5, 0, -1, vcc_lo
	v_cmp_le_u32_e32 vcc_lo, s41, v7
	s_wait_alu 0xfffd
	v_cndmask_b32_e64 v22, 0, -1, vcc_lo
	v_cmp_eq_u32_e32 vcc_lo, s41, v13
	s_wait_alu 0xfffd
	v_cndmask_b32_e32 v13, v17, v14, vcc_lo
	v_add_co_u32 v14, vcc_lo, v9, 1
	s_wait_alu 0xfffd
	v_add_co_ci_u32_e64 v17, null, 0, v11, vcc_lo
	v_cmp_eq_u32_e32 vcc_lo, s41, v7
	s_wait_alu 0xfffd
	v_cndmask_b32_e32 v5, v22, v5, vcc_lo
	v_cmp_ne_u32_e32 vcc_lo, 0, v13
	s_delay_alu instid0(VALU_DEP_2) | instskip(SKIP_4) | instid1(VALU_DEP_2)
	v_cmp_ne_u32_e64 s2, 0, v5
	s_wait_alu 0xfffd
	v_cndmask_b32_e32 v5, v14, v15, vcc_lo
	v_cndmask_b32_e32 v7, v17, v16, vcc_lo
	s_wait_alu 0xf1ff
	v_cndmask_b32_e64 v5, v9, v5, s2
	s_delay_alu instid0(VALU_DEP_2) | instskip(NEXT) | instid1(VALU_DEP_2)
	v_cndmask_b32_e64 v7, v11, v7, s2
	v_xor_b32_e32 v5, v5, v3
	s_delay_alu instid0(VALU_DEP_2) | instskip(NEXT) | instid1(VALU_DEP_2)
	v_xor_b32_e32 v7, v7, v3
	v_sub_co_u32 v14, vcc_lo, v5, v3
	s_wait_alu 0xfffd
	s_delay_alu instid0(VALU_DEP_2)
	v_sub_co_ci_u32_e64 v15, null, v7, v3, vcc_lo
.LBB73_30:                              ;   in Loop: Header=BB73_20 Depth=2
	s_wait_alu 0xfffe
	s_and_not1_saveexec_b32 s2, s42
	s_cbranch_execz .LBB73_32
; %bb.31:                               ;   in Loop: Header=BB73_20 Depth=2
	v_cvt_f32_u32_e32 v3, s36
	s_sub_co_i32 s37, 0, s36
	v_mov_b32_e32 v15, v2
	s_delay_alu instid0(VALU_DEP_2) | instskip(NEXT) | instid1(TRANS32_DEP_1)
	v_rcp_iflag_f32_e32 v3, v3
	v_mul_f32_e32 v3, 0x4f7ffffe, v3
	s_delay_alu instid0(VALU_DEP_1) | instskip(SKIP_1) | instid1(VALU_DEP_1)
	v_cvt_u32_f32_e32 v3, v3
	s_wait_alu 0xfffe
	v_mul_lo_u32 v5, s37, v3
	s_delay_alu instid0(VALU_DEP_1) | instskip(NEXT) | instid1(VALU_DEP_1)
	v_mul_hi_u32 v5, v3, v5
	v_add_nc_u32_e32 v3, v3, v5
	s_delay_alu instid0(VALU_DEP_1) | instskip(NEXT) | instid1(VALU_DEP_1)
	v_mul_hi_u32 v3, v12, v3
	v_mul_lo_u32 v5, v3, s36
	v_add_nc_u32_e32 v7, 1, v3
	s_delay_alu instid0(VALU_DEP_2) | instskip(NEXT) | instid1(VALU_DEP_1)
	v_sub_nc_u32_e32 v5, v12, v5
	v_cmp_le_u32_e32 vcc_lo, s36, v5
	v_subrev_nc_u32_e32 v9, s36, v5
	s_wait_alu 0xfffd
	v_cndmask_b32_e32 v3, v3, v7, vcc_lo
	s_delay_alu instid0(VALU_DEP_1) | instskip(NEXT) | instid1(VALU_DEP_3)
	v_add_nc_u32_e32 v7, 1, v3
	v_cndmask_b32_e32 v5, v5, v9, vcc_lo
	s_delay_alu instid0(VALU_DEP_1) | instskip(SKIP_1) | instid1(VALU_DEP_3)
	v_cmp_le_u32_e32 vcc_lo, s36, v5
	s_wait_alu 0xfffd
	v_cndmask_b32_e32 v14, v3, v7, vcc_lo
.LBB73_32:                              ;   in Loop: Header=BB73_20 Depth=2
	s_wait_alu 0xfffe
	s_or_b32 exec_lo, exec_lo, s2
	s_add_co_i32 s38, s22, -3
	s_mov_b32 s39, s23
	s_add_nc_u64 s[46:47], s[0:1], s[46:47]
	s_wait_alu 0xfffe
	s_lshl_b64 s[42:43], s[38:39], 2
                                        ; implicit-def: $vgpr16_vgpr17
	s_mov_b32 s2, exec_lo
	s_wait_alu 0xfffe
	s_add_nc_u64 s[40:41], s[12:13], s[42:43]
	s_clause 0x2
	s_load_b32 s38, s[40:41], 0x8
	s_load_b32 s37, s[44:45], 0x6c
	;; [unrolled: 1-line block ×3, first 2 shown]
	s_wait_kmcnt 0x0
	s_ashr_i32 s39, s38, 31
	s_wait_alu 0xfffe
	v_or_b32_e32 v3, s39, v15
	s_delay_alu instid0(VALU_DEP_1)
	v_cmpx_ne_u64_e32 0, v[2:3]
	s_xor_b32 s54, exec_lo, s2
	s_cbranch_execz .LBB73_34
; %bb.33:                               ;   in Loop: Header=BB73_20 Depth=2
	s_ashr_i32 s44, s39, 31
	s_mov_b32 s61, s23
	s_wait_alu 0xfffe
	s_mov_b32 s45, s44
	s_mov_b32 s65, s23
	s_wait_alu 0xfffe
	s_add_nc_u64 s[46:47], s[38:39], s[44:45]
	v_ashrrev_i32_e32 v3, 31, v15
	s_wait_alu 0xfffe
	s_xor_b64 s[46:47], s[46:47], s[44:45]
	s_wait_alu 0xfffe
	s_cvt_f32_u32 s2, s46
	s_cvt_f32_u32 s39, s47
	s_sub_nc_u64 s[58:59], 0, s[46:47]
	v_add_co_u32 v5, vcc_lo, v14, v3
	s_wait_alu 0xfffe
	s_fmamk_f32 s2, s39, 0x4f800000, s2
	s_wait_alu 0xfffd
	v_add_co_ci_u32_e64 v7, null, v15, v3, vcc_lo
	v_xor_b32_e32 v5, v5, v3
	s_wait_alu 0xfffe
	v_s_rcp_f32 s2, s2
	s_delay_alu instid0(VALU_DEP_2) | instskip(SKIP_1) | instid1(TRANS32_DEP_1)
	v_xor_b32_e32 v7, v7, v3
	v_xor_b32_e32 v3, s44, v3
	s_mul_f32 s2, s2, 0x5f7ffffc
	s_wait_alu 0xfffe
	s_delay_alu instid0(SALU_CYCLE_2) | instskip(SKIP_1) | instid1(SALU_CYCLE_2)
	s_mul_f32 s39, s2, 0x2f800000
	s_wait_alu 0xfffe
	s_trunc_f32 s39, s39
	s_wait_alu 0xfffe
	s_delay_alu instid0(SALU_CYCLE_2) | instskip(SKIP_2) | instid1(SALU_CYCLE_1)
	s_fmamk_f32 s2, s39, 0xcf800000, s2
	s_cvt_u32_f32 s57, s39
	s_wait_alu 0xfffe
	s_cvt_u32_f32 s56, s2
	s_delay_alu instid0(SALU_CYCLE_3) | instskip(NEXT) | instid1(SALU_CYCLE_1)
	s_mul_u64 s[62:63], s[58:59], s[56:57]
	s_mul_hi_u32 s67, s56, s63
	s_mul_i32 s66, s56, s63
	s_mul_hi_u32 s60, s56, s62
	s_mul_i32 s39, s57, s62
	s_add_nc_u64 s[60:61], s[60:61], s[66:67]
	s_mul_hi_u32 s2, s57, s62
	s_mul_hi_u32 s45, s57, s63
	s_wait_alu 0xfffe
	s_add_co_u32 s39, s60, s39
	s_add_co_ci_u32 s64, s61, s2
	s_mul_i32 s62, s57, s63
	s_add_co_ci_u32 s63, s45, 0
	s_delay_alu instid0(SALU_CYCLE_1)
	s_add_nc_u64 s[60:61], s[64:65], s[62:63]
	s_mov_b32 s63, s23
	s_add_co_u32 s56, s56, s60
	s_cselect_b32 s2, -1, 0
	s_wait_alu 0xfffe
	s_cmp_lg_u32 s2, 0
	s_add_co_ci_u32 s57, s57, s61
	s_mov_b32 s61, s23
	s_mul_u64 s[58:59], s[58:59], s[56:57]
	s_delay_alu instid0(SALU_CYCLE_1)
	s_mul_hi_u32 s65, s56, s59
	s_mul_i32 s64, s56, s59
	s_mul_hi_u32 s62, s56, s58
	s_mul_i32 s39, s57, s58
	s_add_nc_u64 s[62:63], s[62:63], s[64:65]
	s_mul_hi_u32 s2, s57, s58
	s_mul_hi_u32 s45, s57, s59
	s_wait_alu 0xfffe
	s_add_co_u32 s39, s62, s39
	s_add_co_ci_u32 s60, s63, s2
	s_mul_i32 s58, s57, s59
	s_add_co_ci_u32 s59, s45, 0
	s_delay_alu instid0(SALU_CYCLE_1) | instskip(NEXT) | instid1(SALU_CYCLE_1)
	s_add_nc_u64 s[58:59], s[60:61], s[58:59]
	s_add_co_u32 s2, s56, s58
	s_cselect_b32 s39, -1, 0
	s_wait_alu 0xfffe
	v_mul_hi_u32 v9, v5, s2
	s_cmp_lg_u32 s39, 0
	v_mad_co_u64_u32 v[22:23], null, v7, s2, 0
	s_add_co_ci_u32 s39, s57, s59
	s_wait_alu 0xfffe
	v_mad_co_u64_u32 v[15:16], null, v5, s39, 0
	v_mad_co_u64_u32 v[24:25], null, v7, s39, 0
	s_delay_alu instid0(VALU_DEP_2) | instskip(SKIP_1) | instid1(VALU_DEP_3)
	v_add_co_u32 v9, vcc_lo, v9, v15
	s_wait_alu 0xfffd
	v_add_co_ci_u32_e64 v11, null, 0, v16, vcc_lo
	s_delay_alu instid0(VALU_DEP_2) | instskip(SKIP_1) | instid1(VALU_DEP_2)
	v_add_co_u32 v9, vcc_lo, v9, v22
	s_wait_alu 0xfffd
	v_add_co_ci_u32_e32 v9, vcc_lo, v11, v23, vcc_lo
	s_wait_alu 0xfffd
	v_add_co_ci_u32_e32 v11, vcc_lo, 0, v25, vcc_lo
	s_delay_alu instid0(VALU_DEP_2) | instskip(SKIP_1) | instid1(VALU_DEP_2)
	v_add_co_u32 v9, vcc_lo, v9, v24
	s_wait_alu 0xfffd
	v_add_co_ci_u32_e64 v11, null, 0, v11, vcc_lo
	s_delay_alu instid0(VALU_DEP_2) | instskip(SKIP_1) | instid1(VALU_DEP_3)
	v_mul_lo_u32 v13, s47, v9
	v_mad_co_u64_u32 v[15:16], null, s46, v9, 0
	v_mul_lo_u32 v17, s46, v11
	s_delay_alu instid0(VALU_DEP_2) | instskip(NEXT) | instid1(VALU_DEP_2)
	v_sub_co_u32 v5, vcc_lo, v5, v15
	v_add3_u32 v13, v16, v17, v13
	s_delay_alu instid0(VALU_DEP_1) | instskip(SKIP_2) | instid1(VALU_DEP_2)
	v_sub_nc_u32_e32 v16, v7, v13
	s_wait_alu 0xfffd
	v_sub_co_ci_u32_e64 v7, null, v7, v13, vcc_lo
	v_subrev_co_ci_u32_e64 v15, null, s47, v16, vcc_lo
	v_add_co_u32 v16, s2, v9, 2
	s_wait_alu 0xf1ff
	v_add_co_ci_u32_e64 v17, null, 0, v11, s2
	v_sub_co_u32 v22, s2, v5, s46
	s_wait_alu 0xf1ff
	v_subrev_co_ci_u32_e64 v15, null, 0, v15, s2
	s_delay_alu instid0(VALU_DEP_2) | instskip(SKIP_2) | instid1(VALU_DEP_3)
	v_cmp_le_u32_e32 vcc_lo, s46, v22
	s_wait_alu 0xfffd
	v_cndmask_b32_e64 v13, 0, -1, vcc_lo
	v_cmp_le_u32_e32 vcc_lo, s47, v15
	s_wait_alu 0xfffd
	v_cndmask_b32_e64 v22, 0, -1, vcc_lo
	;; [unrolled: 3-line block ×4, first 2 shown]
	v_cmp_eq_u32_e32 vcc_lo, s47, v15
	s_wait_alu 0xfffd
	v_cndmask_b32_e32 v13, v22, v13, vcc_lo
	v_add_co_u32 v15, vcc_lo, v9, 1
	s_wait_alu 0xfffd
	v_add_co_ci_u32_e64 v22, null, 0, v11, vcc_lo
	v_cmp_eq_u32_e32 vcc_lo, s47, v7
	s_wait_alu 0xfffd
	v_cndmask_b32_e32 v5, v23, v5, vcc_lo
	v_cmp_ne_u32_e32 vcc_lo, 0, v13
	s_delay_alu instid0(VALU_DEP_2) | instskip(SKIP_4) | instid1(VALU_DEP_2)
	v_cmp_ne_u32_e64 s2, 0, v5
	s_wait_alu 0xfffd
	v_cndmask_b32_e32 v5, v15, v16, vcc_lo
	v_cndmask_b32_e32 v7, v22, v17, vcc_lo
	s_wait_alu 0xf1ff
	v_cndmask_b32_e64 v5, v9, v5, s2
	s_delay_alu instid0(VALU_DEP_2) | instskip(NEXT) | instid1(VALU_DEP_2)
	v_cndmask_b32_e64 v7, v11, v7, s2
	v_xor_b32_e32 v5, v5, v3
	s_delay_alu instid0(VALU_DEP_2) | instskip(NEXT) | instid1(VALU_DEP_2)
	v_xor_b32_e32 v7, v7, v3
	v_sub_co_u32 v16, vcc_lo, v5, v3
	s_wait_alu 0xfffd
	s_delay_alu instid0(VALU_DEP_2)
	v_sub_co_ci_u32_e64 v17, null, v7, v3, vcc_lo
.LBB73_34:                              ;   in Loop: Header=BB73_20 Depth=2
	s_and_not1_saveexec_b32 s2, s54
	s_cbranch_execz .LBB73_36
; %bb.35:                               ;   in Loop: Header=BB73_20 Depth=2
	v_cvt_f32_u32_e32 v3, s38
	s_sub_co_i32 s39, 0, s38
	v_mov_b32_e32 v17, v2
	s_delay_alu instid0(VALU_DEP_2) | instskip(NEXT) | instid1(TRANS32_DEP_1)
	v_rcp_iflag_f32_e32 v3, v3
	v_mul_f32_e32 v3, 0x4f7ffffe, v3
	s_delay_alu instid0(VALU_DEP_1) | instskip(SKIP_1) | instid1(VALU_DEP_1)
	v_cvt_u32_f32_e32 v3, v3
	s_wait_alu 0xfffe
	v_mul_lo_u32 v5, s39, v3
	s_delay_alu instid0(VALU_DEP_1) | instskip(NEXT) | instid1(VALU_DEP_1)
	v_mul_hi_u32 v5, v3, v5
	v_add_nc_u32_e32 v3, v3, v5
	s_delay_alu instid0(VALU_DEP_1) | instskip(NEXT) | instid1(VALU_DEP_1)
	v_mul_hi_u32 v3, v14, v3
	v_mul_lo_u32 v5, v3, s38
	v_add_nc_u32_e32 v7, 1, v3
	s_delay_alu instid0(VALU_DEP_2) | instskip(NEXT) | instid1(VALU_DEP_1)
	v_sub_nc_u32_e32 v5, v14, v5
	v_cmp_le_u32_e32 vcc_lo, s38, v5
	v_subrev_nc_u32_e32 v9, s38, v5
	s_wait_alu 0xfffd
	v_cndmask_b32_e32 v3, v3, v7, vcc_lo
	s_delay_alu instid0(VALU_DEP_1) | instskip(NEXT) | instid1(VALU_DEP_3)
	v_add_nc_u32_e32 v7, 1, v3
	v_cndmask_b32_e32 v5, v5, v9, vcc_lo
	s_delay_alu instid0(VALU_DEP_1) | instskip(SKIP_1) | instid1(VALU_DEP_3)
	v_cmp_le_u32_e32 vcc_lo, s38, v5
	s_wait_alu 0xfffd
	v_cndmask_b32_e32 v16, v3, v7, vcc_lo
.LBB73_36:                              ;   in Loop: Header=BB73_20 Depth=2
	s_wait_alu 0xfffe
	s_or_b32 exec_lo, exec_lo, s2
	s_add_nc_u64 s[42:43], s[0:1], s[42:43]
	v_mul_lo_u32 v3, v10, s30
	s_clause 0x1
	s_load_b32 s2, s[40:41], 0x6c
	s_load_b32 s30, s[42:43], 0x6c
	v_mul_lo_u32 v5, v12, s34
	v_mul_lo_u32 v7, v14, s36
	;; [unrolled: 1-line block ×3, first 2 shown]
	s_add_co_i32 s22, s22, -4
	s_wait_alu 0xfffe
	s_cmp_eq_u32 s22, -1
	v_sub_nc_u32_e32 v3, v8, v3
	s_delay_alu instid0(VALU_DEP_4) | instskip(NEXT) | instid1(VALU_DEP_4)
	v_sub_nc_u32_e32 v5, v10, v5
	v_sub_nc_u32_e32 v7, v12, v7
	s_delay_alu instid0(VALU_DEP_4) | instskip(NEXT) | instid1(VALU_DEP_4)
	v_sub_nc_u32_e32 v8, v14, v9
	v_mul_lo_u32 v9, s19, v3
	v_mul_lo_u32 v3, s29, v3
	;; [unrolled: 1-line block ×6, first 2 shown]
	s_wait_kmcnt 0x0
	v_mul_lo_u32 v12, s2, v8
	v_mul_lo_u32 v8, s30, v8
	v_add3_u32 v6, v9, v6, v10
	v_add3_u32 v3, v3, v4, v5
	s_delay_alu instid0(VALU_DEP_2) | instskip(NEXT) | instid1(VALU_DEP_2)
	v_add3_u32 v6, v11, v6, v12
	v_add3_u32 v4, v7, v3, v8
	s_cbranch_scc1 .LBB73_38
; %bb.37:                               ;   in Loop: Header=BB73_20 Depth=2
	v_dual_mov_b32 v8, v16 :: v_dual_mov_b32 v9, v17
	s_branch .LBB73_20
.LBB73_38:                              ;   in Loop: Header=BB73_3 Depth=1
	v_sub_nc_u32_e32 v5, v20, v21
	v_mov_b32_e32 v7, 0
	v_mov_b32_e32 v11, 0
	v_mov_b32_e32 v12, 0
	s_mov_b32 s19, exec_lo
	v_dual_mov_b32 v8, 0 :: v_dual_add_nc_u32 v9, 2, v5
	s_delay_alu instid0(VALU_DEP_1) | instskip(NEXT) | instid1(VALU_DEP_1)
	v_ashrrev_i32_e32 v10, 31, v9
	v_cmpx_le_i64_e64 s[4:5], v[9:10]
	s_cbranch_execz .LBB73_44
; %bb.39:                               ;   in Loop: Header=BB73_3 Depth=1
	v_mov_b32_e32 v7, 0
	v_dual_mov_b32 v8, 0 :: v_dual_mov_b32 v9, 0
	v_mov_b32_e32 v10, 0
	s_mov_b32 s2, exec_lo
	v_cmpx_gt_i32_e64 s3, v20
	s_cbranch_execz .LBB73_43
; %bb.40:                               ;   in Loop: Header=BB73_3 Depth=1
	v_ashrrev_i32_e32 v7, 31, v6
	v_mov_b32_e32 v9, 0
	v_dual_mov_b32 v10, 0 :: v_dual_add_nc_u32 v3, 1, v20
	s_mov_b32 s22, exec_lo
	s_delay_alu instid0(VALU_DEP_3) | instskip(NEXT) | instid1(VALU_DEP_1)
	v_lshlrev_b64_e32 v[6:7], 3, v[6:7]
	v_add_co_u32 v11, vcc_lo, s10, v6
	s_wait_alu 0xfffd
	s_delay_alu instid0(VALU_DEP_2)
	v_add_co_ci_u32_e64 v12, null, s11, v7, vcc_lo
	global_load_b64 v[7:8], v[11:12], off
	v_cmpx_gt_i32_e64 s3, v3
	s_wait_alu 0xfffe
	s_xor_b32 s22, exec_lo, s22
	s_cbranch_execz .LBB73_42
; %bb.41:                               ;   in Loop: Header=BB73_3 Depth=1
	s_lshl_b64 s[30:31], s[24:25], 3
	s_wait_alu 0xfffe
	v_add_co_u32 v9, vcc_lo, v11, s30
	s_wait_alu 0xfffd
	v_add_co_ci_u32_e64 v10, null, s31, v12, vcc_lo
	global_load_b64 v[9:10], v[9:10], off
.LBB73_42:                              ;   in Loop: Header=BB73_3 Depth=1
	s_wait_alu 0xfffe
	s_or_b32 exec_lo, exec_lo, s22
.LBB73_43:                              ;   in Loop: Header=BB73_3 Depth=1
	s_wait_alu 0xfffe
	s_or_b32 exec_lo, exec_lo, s2
	v_ashrrev_i32_e32 v6, 31, v5
	s_delay_alu instid0(VALU_DEP_1) | instskip(SKIP_1) | instid1(VALU_DEP_1)
	v_cmp_le_i64_e32 vcc_lo, s[4:5], v[5:6]
	v_add_nc_u32_e32 v11, 1, v5
	v_ashrrev_i32_e32 v12, 31, v11
	s_delay_alu instid0(VALU_DEP_1) | instskip(SKIP_4) | instid1(VALU_DEP_2)
	v_cmp_le_i64_e64 s2, s[4:5], v[11:12]
	s_wait_loadcnt 0x0
	s_wait_alu 0xfffd
	v_dual_cndmask_b32 v12, 0, v8 :: v_dual_cndmask_b32 v11, 0, v7
	s_wait_alu 0xf1ff
	v_cndmask_b32_e64 v8, 0, v10, s2
	v_cndmask_b32_e64 v7, 0, v9, s2
.LBB73_44:                              ;   in Loop: Header=BB73_3 Depth=1
	s_wait_alu 0xfffe
	s_or_b32 exec_lo, exec_lo, s19
	s_delay_alu instid0(SALU_CYCLE_1)
	s_mov_b32 s2, exec_lo
	v_cmpx_gt_i32_e64 s3, v20
	s_cbranch_execz .LBB73_2
; %bb.45:                               ;   in Loop: Header=BB73_3 Depth=1
	v_ashrrev_i32_e32 v5, 31, v4
	s_mov_b32 s19, exec_lo
	s_delay_alu instid0(VALU_DEP_1) | instskip(SKIP_1) | instid1(VALU_DEP_2)
	v_lshlrev_b64_e32 v[3:4], 3, v[4:5]
	v_add_nc_u32_e32 v5, 1, v20
	v_add_co_u32 v3, vcc_lo, s14, v3
	s_wait_alu 0xfffd
	s_delay_alu instid0(VALU_DEP_3)
	v_add_co_ci_u32_e64 v4, null, s15, v4, vcc_lo
	global_store_b64 v[3:4], v[11:12], off
	v_cmpx_gt_i32_e64 s3, v5
	s_wait_alu 0xfffe
	s_xor_b32 s19, exec_lo, s19
	s_cbranch_execz .LBB73_2
; %bb.46:                               ;   in Loop: Header=BB73_3 Depth=1
	s_lshl_b64 s[30:31], s[26:27], 3
	s_wait_alu 0xfffe
	v_add_co_u32 v3, vcc_lo, v3, s30
	s_wait_alu 0xfffd
	v_add_co_ci_u32_e64 v4, null, s31, v4, vcc_lo
	global_store_b64 v[3:4], v[7:8], off
	s_branch .LBB73_2
.LBB73_47:
	s_endpgm
	.section	.rodata,"a",@progbits
	.p2align	6, 0x0
	.amdhsa_kernel _ZN2at6native16triu_tril_kernelIdiLb1ELi2ELb0EEEvNS_4cuda6detail10TensorInfoIT_T0_EENS4_IKS5_S6_EEllS6_
		.amdhsa_group_segment_fixed_size 0
		.amdhsa_private_segment_fixed_size 0
		.amdhsa_kernarg_size 712
		.amdhsa_user_sgpr_count 2
		.amdhsa_user_sgpr_dispatch_ptr 0
		.amdhsa_user_sgpr_queue_ptr 0
		.amdhsa_user_sgpr_kernarg_segment_ptr 1
		.amdhsa_user_sgpr_dispatch_id 0
		.amdhsa_user_sgpr_private_segment_size 0
		.amdhsa_wavefront_size32 1
		.amdhsa_uses_dynamic_stack 0
		.amdhsa_enable_private_segment 0
		.amdhsa_system_sgpr_workgroup_id_x 1
		.amdhsa_system_sgpr_workgroup_id_y 0
		.amdhsa_system_sgpr_workgroup_id_z 0
		.amdhsa_system_sgpr_workgroup_info 0
		.amdhsa_system_vgpr_workitem_id 0
		.amdhsa_next_free_vgpr 26
		.amdhsa_next_free_sgpr 68
		.amdhsa_reserve_vcc 1
		.amdhsa_float_round_mode_32 0
		.amdhsa_float_round_mode_16_64 0
		.amdhsa_float_denorm_mode_32 3
		.amdhsa_float_denorm_mode_16_64 3
		.amdhsa_fp16_overflow 0
		.amdhsa_workgroup_processor_mode 1
		.amdhsa_memory_ordered 1
		.amdhsa_forward_progress 1
		.amdhsa_inst_pref_size 65
		.amdhsa_round_robin_scheduling 0
		.amdhsa_exception_fp_ieee_invalid_op 0
		.amdhsa_exception_fp_denorm_src 0
		.amdhsa_exception_fp_ieee_div_zero 0
		.amdhsa_exception_fp_ieee_overflow 0
		.amdhsa_exception_fp_ieee_underflow 0
		.amdhsa_exception_fp_ieee_inexact 0
		.amdhsa_exception_int_div_zero 0
	.end_amdhsa_kernel
	.section	.text._ZN2at6native16triu_tril_kernelIdiLb1ELi2ELb0EEEvNS_4cuda6detail10TensorInfoIT_T0_EENS4_IKS5_S6_EEllS6_,"axG",@progbits,_ZN2at6native16triu_tril_kernelIdiLb1ELi2ELb0EEEvNS_4cuda6detail10TensorInfoIT_T0_EENS4_IKS5_S6_EEllS6_,comdat
.Lfunc_end73:
	.size	_ZN2at6native16triu_tril_kernelIdiLb1ELi2ELb0EEEvNS_4cuda6detail10TensorInfoIT_T0_EENS4_IKS5_S6_EEllS6_, .Lfunc_end73-_ZN2at6native16triu_tril_kernelIdiLb1ELi2ELb0EEEvNS_4cuda6detail10TensorInfoIT_T0_EENS4_IKS5_S6_EEllS6_
                                        ; -- End function
	.set _ZN2at6native16triu_tril_kernelIdiLb1ELi2ELb0EEEvNS_4cuda6detail10TensorInfoIT_T0_EENS4_IKS5_S6_EEllS6_.num_vgpr, 26
	.set _ZN2at6native16triu_tril_kernelIdiLb1ELi2ELb0EEEvNS_4cuda6detail10TensorInfoIT_T0_EENS4_IKS5_S6_EEllS6_.num_agpr, 0
	.set _ZN2at6native16triu_tril_kernelIdiLb1ELi2ELb0EEEvNS_4cuda6detail10TensorInfoIT_T0_EENS4_IKS5_S6_EEllS6_.numbered_sgpr, 68
	.set _ZN2at6native16triu_tril_kernelIdiLb1ELi2ELb0EEEvNS_4cuda6detail10TensorInfoIT_T0_EENS4_IKS5_S6_EEllS6_.num_named_barrier, 0
	.set _ZN2at6native16triu_tril_kernelIdiLb1ELi2ELb0EEEvNS_4cuda6detail10TensorInfoIT_T0_EENS4_IKS5_S6_EEllS6_.private_seg_size, 0
	.set _ZN2at6native16triu_tril_kernelIdiLb1ELi2ELb0EEEvNS_4cuda6detail10TensorInfoIT_T0_EENS4_IKS5_S6_EEllS6_.uses_vcc, 1
	.set _ZN2at6native16triu_tril_kernelIdiLb1ELi2ELb0EEEvNS_4cuda6detail10TensorInfoIT_T0_EENS4_IKS5_S6_EEllS6_.uses_flat_scratch, 0
	.set _ZN2at6native16triu_tril_kernelIdiLb1ELi2ELb0EEEvNS_4cuda6detail10TensorInfoIT_T0_EENS4_IKS5_S6_EEllS6_.has_dyn_sized_stack, 0
	.set _ZN2at6native16triu_tril_kernelIdiLb1ELi2ELb0EEEvNS_4cuda6detail10TensorInfoIT_T0_EENS4_IKS5_S6_EEllS6_.has_recursion, 0
	.set _ZN2at6native16triu_tril_kernelIdiLb1ELi2ELb0EEEvNS_4cuda6detail10TensorInfoIT_T0_EENS4_IKS5_S6_EEllS6_.has_indirect_call, 0
	.section	.AMDGPU.csdata,"",@progbits
; Kernel info:
; codeLenInByte = 8312
; TotalNumSgprs: 70
; NumVgprs: 26
; ScratchSize: 0
; MemoryBound: 0
; FloatMode: 240
; IeeeMode: 1
; LDSByteSize: 0 bytes/workgroup (compile time only)
; SGPRBlocks: 0
; VGPRBlocks: 3
; NumSGPRsForWavesPerEU: 70
; NumVGPRsForWavesPerEU: 26
; Occupancy: 16
; WaveLimiterHint : 1
; COMPUTE_PGM_RSRC2:SCRATCH_EN: 0
; COMPUTE_PGM_RSRC2:USER_SGPR: 2
; COMPUTE_PGM_RSRC2:TRAP_HANDLER: 0
; COMPUTE_PGM_RSRC2:TGID_X_EN: 1
; COMPUTE_PGM_RSRC2:TGID_Y_EN: 0
; COMPUTE_PGM_RSRC2:TGID_Z_EN: 0
; COMPUTE_PGM_RSRC2:TIDIG_COMP_CNT: 0
	.section	.text._ZN2at6native16triu_tril_kernelIdlLb1ELi2ELb1EEEvNS_4cuda6detail10TensorInfoIT_T0_EENS4_IKS5_S6_EEllS6_,"axG",@progbits,_ZN2at6native16triu_tril_kernelIdlLb1ELi2ELb1EEEvNS_4cuda6detail10TensorInfoIT_T0_EENS4_IKS5_S6_EEllS6_,comdat
	.protected	_ZN2at6native16triu_tril_kernelIdlLb1ELi2ELb1EEEvNS_4cuda6detail10TensorInfoIT_T0_EENS4_IKS5_S6_EEllS6_ ; -- Begin function _ZN2at6native16triu_tril_kernelIdlLb1ELi2ELb1EEEvNS_4cuda6detail10TensorInfoIT_T0_EENS4_IKS5_S6_EEllS6_
	.globl	_ZN2at6native16triu_tril_kernelIdlLb1ELi2ELb1EEEvNS_4cuda6detail10TensorInfoIT_T0_EENS4_IKS5_S6_EEllS6_
	.p2align	8
	.type	_ZN2at6native16triu_tril_kernelIdlLb1ELi2ELb1EEEvNS_4cuda6detail10TensorInfoIT_T0_EENS4_IKS5_S6_EEllS6_,@function
_ZN2at6native16triu_tril_kernelIdlLb1ELi2ELb1EEEvNS_4cuda6detail10TensorInfoIT_T0_EENS4_IKS5_S6_EEllS6_: ; @_ZN2at6native16triu_tril_kernelIdlLb1ELi2ELb1EEEvNS_4cuda6detail10TensorInfoIT_T0_EENS4_IKS5_S6_EEllS6_
; %bb.0:
	s_clause 0x1
	s_load_b32 s2, s[0:1], 0x364
	s_load_b128 s[4:7], s[0:1], 0x340
	v_mov_b32_e32 v2, 0
	s_mov_b32 s3, exec_lo
	s_delay_alu instid0(VALU_DEP_1)
	v_mov_b32_e32 v1, v2
	s_wait_kmcnt 0x0
	s_and_b32 s2, s2, 0xffff
	s_delay_alu instid0(VALU_DEP_1) | instid1(SALU_CYCLE_1)
	v_mad_co_u64_u32 v[0:1], null, s2, ttmp9, v[0:1]
	s_delay_alu instid0(VALU_DEP_1) | instskip(NEXT) | instid1(VALU_DEP_1)
	v_lshlrev_b64_e32 v[0:1], 1, v[0:1]
	v_cmpx_gt_i64_e64 s[6:7], v[0:1]
	s_cbranch_execz .LBB74_41
; %bb.1:
	s_load_b32 s22, s[0:1], 0x338
	s_add_nc_u64 s[12:13], s[0:1], 0x358
	s_clause 0x1
	s_load_b64 s[8:9], s[0:1], 0x350
	s_load_b64 s[10:11], s[0:1], 0x0
	s_add_nc_u64 s[28:29], s[0:1], 0x1a0
	s_load_b32 s3, s[12:13], 0x0
	s_movk_i32 s18, 0xffe0
	s_add_nc_u64 s[16:17], s[0:1], 0xb8
	s_mov_b32 s19, -1
	s_add_nc_u64 s[34:35], s[0:1], 0x190
	s_mov_b32 s65, 0
	s_wait_kmcnt 0x0
	s_add_co_i32 s14, s22, -2
	v_cvt_f32_u32_e32 v3, s8
	s_ashr_i32 s15, s14, 31
	s_add_co_i32 s20, s22, -3
	s_lshl_b64 s[12:13], s[14:15], 3
	s_ashr_i32 s23, s22, 31
	s_add_nc_u64 s[12:13], s[28:29], s[12:13]
	v_rcp_iflag_f32_e32 v3, v3
	s_load_b64 s[12:13], s[12:13], 0x8
	s_mul_i32 s24, s3, s2
	s_and_b32 s25, s20, 3
	s_lshl_b64 s[2:3], s[22:23], 3
	s_ashr_i32 s21, s20, 31
	s_and_b32 s14, s14, 3
	s_lshl_b32 s62, s24, 1
	s_cmp_lg_u32 s25, 3
	v_cmp_gt_i64_e64 s33, s[22:23], 2
	s_cselect_b32 s63, -1, 0
	s_cmp_gt_u32 s20, 2
	s_wait_alu 0xfffe
	s_add_nc_u64 s[22:23], s[0:1], s[2:3]
	s_add_nc_u64 s[24:25], s[28:29], s[2:3]
	s_cselect_b32 s64, -1, 0
	s_lshl_b64 s[2:3], s[20:21], 3
	s_mov_b32 s15, 0
	s_wait_alu 0xfffe
	s_add_nc_u64 s[30:31], s[0:1], s[2:3]
	s_add_nc_u64 s[2:3], s[28:29], s[2:3]
	s_mov_b64 s[26:27], s[14:15]
	s_add_nc_u64 s[28:29], s[30:31], 0xd0
	s_wait_kmcnt 0x0
	v_cvt_f32_u32_e32 v4, s12
	s_wait_alu 0xfffe
	s_add_nc_u64 s[30:31], s[2:3], 8
	s_ashr_i32 s36, s9, 31
	s_delay_alu instid0(VALU_DEP_1) | instskip(NEXT) | instid1(TRANS32_DEP_1)
	v_rcp_iflag_f32_e32 v4, v4
	v_dual_mul_f32 v3, 0x4f7ffffe, v3 :: v_dual_mul_f32 v4, 0x4f7ffffe, v4
	s_delay_alu instid0(VALU_DEP_1) | instskip(NEXT) | instid1(VALU_DEP_2)
	v_cvt_u32_f32_e32 v18, v3
	v_cvt_u32_f32_e32 v19, v4
	s_branch .LBB74_3
.LBB74_2:                               ;   in Loop: Header=BB74_3 Depth=1
	s_wait_alu 0xfffe
	s_or_b32 exec_lo, exec_lo, s37
	v_add_co_u32 v0, vcc_lo, v0, s62
	s_wait_alu 0xfffd
	v_add_co_ci_u32_e64 v1, null, 0, v1, vcc_lo
	s_delay_alu instid0(VALU_DEP_1) | instskip(SKIP_1) | instid1(SALU_CYCLE_1)
	v_cmp_le_i64_e32 vcc_lo, s[6:7], v[0:1]
	s_or_b32 s65, vcc_lo, s65
	s_and_not1_b32 exec_lo, exec_lo, s65
	s_cbranch_execz .LBB74_41
.LBB74_3:                               ; =>This Loop Header: Depth=1
                                        ;     Child Loop BB74_17 Depth 2
                                        ;     Child Loop BB74_22 Depth 2
	v_or_b32_e32 v3, s9, v1
                                        ; implicit-def: $vgpr6_vgpr7
	s_mov_b32 s0, exec_lo
	s_delay_alu instid0(VALU_DEP_1)
	v_cmpx_ne_u64_e32 0, v[2:3]
	s_wait_alu 0xfffe
	s_xor_b32 s1, exec_lo, s0
	s_cbranch_execz .LBB74_5
; %bb.4:                                ;   in Loop: Header=BB74_3 Depth=1
	s_mov_b32 s37, s36
	v_ashrrev_i32_e32 v9, 31, v1
	s_wait_alu 0xfffe
	s_add_nc_u64 s[2:3], s[8:9], s[36:37]
	s_wait_alu 0xfffe
	s_xor_b64 s[2:3], s[2:3], s[36:37]
	v_add_co_u32 v3, vcc_lo, v0, v9
	s_wait_alu 0xfffe
	s_cvt_f32_u32 s0, s2
	s_cvt_f32_u32 s14, s3
	s_sub_nc_u64 s[40:41], 0, s[2:3]
	s_wait_alu 0xfffd
	v_add_co_ci_u32_e64 v4, null, v1, v9, vcc_lo
	s_wait_alu 0xfffe
	s_fmamk_f32 s0, s14, 0x4f800000, s0
	v_xor_b32_e32 v10, v3, v9
	s_delay_alu instid0(VALU_DEP_2) | instskip(SKIP_2) | instid1(TRANS32_DEP_1)
	v_xor_b32_e32 v11, v4, v9
	s_wait_alu 0xfffe
	v_s_rcp_f32 s0, s0
	s_mul_f32 s0, s0, 0x5f7ffffc
	s_wait_alu 0xfffe
	s_delay_alu instid0(SALU_CYCLE_2) | instskip(SKIP_1) | instid1(SALU_CYCLE_2)
	s_mul_f32 s14, s0, 0x2f800000
	s_wait_alu 0xfffe
	s_trunc_f32 s14, s14
	s_wait_alu 0xfffe
	s_delay_alu instid0(SALU_CYCLE_2) | instskip(SKIP_2) | instid1(SALU_CYCLE_1)
	s_fmamk_f32 s0, s14, 0xcf800000, s0
	s_cvt_u32_f32 s39, s14
	s_wait_alu 0xfffe
	s_cvt_u32_f32 s38, s0
	s_wait_alu 0xfffe
	s_delay_alu instid0(SALU_CYCLE_2) | instskip(NEXT) | instid1(SALU_CYCLE_1)
	s_mul_u64 s[42:43], s[40:41], s[38:39]
	s_mul_hi_u32 s45, s38, s43
	s_mul_i32 s44, s38, s43
	s_mul_hi_u32 s14, s38, s42
	s_mul_i32 s37, s39, s42
	s_wait_alu 0xfffe
	s_add_nc_u64 s[44:45], s[14:15], s[44:45]
	s_mul_hi_u32 s0, s39, s42
	s_mul_hi_u32 s46, s39, s43
	s_wait_alu 0xfffe
	s_add_co_u32 s14, s44, s37
	s_add_co_ci_u32 s14, s45, s0
	s_mul_i32 s42, s39, s43
	s_add_co_ci_u32 s43, s46, 0
	s_wait_alu 0xfffe
	s_add_nc_u64 s[42:43], s[14:15], s[42:43]
	s_delay_alu instid0(SALU_CYCLE_1)
	s_add_co_u32 s38, s38, s42
	s_cselect_b32 s0, -1, 0
	s_wait_alu 0xfffe
	s_cmp_lg_u32 s0, 0
	s_add_co_ci_u32 s39, s39, s43
	s_wait_alu 0xfffe
	s_mul_u64 s[40:41], s[40:41], s[38:39]
	s_delay_alu instid0(SALU_CYCLE_1)
	s_mul_hi_u32 s43, s38, s41
	s_mul_i32 s42, s38, s41
	s_mul_hi_u32 s14, s38, s40
	s_mul_i32 s37, s39, s40
	s_wait_alu 0xfffe
	s_add_nc_u64 s[42:43], s[14:15], s[42:43]
	s_mul_hi_u32 s0, s39, s40
	s_mul_hi_u32 s44, s39, s41
	s_add_co_u32 s14, s42, s37
	s_wait_alu 0xfffe
	s_add_co_ci_u32 s14, s43, s0
	s_mul_i32 s40, s39, s41
	s_add_co_ci_u32 s41, s44, 0
	s_wait_alu 0xfffe
	s_add_nc_u64 s[40:41], s[14:15], s[40:41]
	s_delay_alu instid0(SALU_CYCLE_1)
	s_add_co_u32 s0, s38, s40
	s_cselect_b32 s14, -1, 0
	s_wait_alu 0xfffe
	v_mul_hi_u32 v12, v10, s0
	s_cmp_lg_u32 s14, 0
	v_mad_co_u64_u32 v[5:6], null, v11, s0, 0
	s_add_co_ci_u32 s14, s39, s41
	s_wait_alu 0xfffe
	v_mad_co_u64_u32 v[3:4], null, v10, s14, 0
	v_mad_co_u64_u32 v[7:8], null, v11, s14, 0
	s_delay_alu instid0(VALU_DEP_2) | instskip(SKIP_1) | instid1(VALU_DEP_3)
	v_add_co_u32 v3, vcc_lo, v12, v3
	s_wait_alu 0xfffd
	v_add_co_ci_u32_e64 v4, null, 0, v4, vcc_lo
	s_delay_alu instid0(VALU_DEP_2) | instskip(SKIP_1) | instid1(VALU_DEP_2)
	v_add_co_u32 v3, vcc_lo, v3, v5
	s_wait_alu 0xfffd
	v_add_co_ci_u32_e32 v3, vcc_lo, v4, v6, vcc_lo
	s_wait_alu 0xfffd
	v_add_co_ci_u32_e32 v4, vcc_lo, 0, v8, vcc_lo
	s_delay_alu instid0(VALU_DEP_2) | instskip(SKIP_1) | instid1(VALU_DEP_2)
	v_add_co_u32 v5, vcc_lo, v3, v7
	s_wait_alu 0xfffd
	v_add_co_ci_u32_e64 v6, null, 0, v4, vcc_lo
	s_delay_alu instid0(VALU_DEP_2) | instskip(SKIP_1) | instid1(VALU_DEP_3)
	v_mul_lo_u32 v7, s3, v5
	v_mad_co_u64_u32 v[3:4], null, s2, v5, 0
	v_mul_lo_u32 v8, s2, v6
	s_delay_alu instid0(VALU_DEP_2) | instskip(NEXT) | instid1(VALU_DEP_2)
	v_sub_co_u32 v3, vcc_lo, v10, v3
	v_add3_u32 v4, v4, v8, v7
	v_add_co_u32 v8, s0, v5, 2
	s_wait_alu 0xf1ff
	v_add_co_ci_u32_e64 v10, null, 0, v6, s0
	s_delay_alu instid0(VALU_DEP_3) | instskip(SKIP_3) | instid1(VALU_DEP_3)
	v_sub_nc_u32_e32 v7, v11, v4
	v_sub_co_u32 v12, s0, v3, s2
	s_wait_alu 0xfffd
	v_sub_co_ci_u32_e64 v4, null, v11, v4, vcc_lo
	v_subrev_co_ci_u32_e64 v7, null, s3, v7, vcc_lo
	s_delay_alu instid0(VALU_DEP_3) | instskip(SKIP_1) | instid1(VALU_DEP_2)
	v_cmp_le_u32_e32 vcc_lo, s2, v12
	s_wait_alu 0xf1ff
	v_subrev_co_ci_u32_e64 v7, null, 0, v7, s0
	s_wait_alu 0xfffd
	v_cndmask_b32_e64 v11, 0, -1, vcc_lo
	s_delay_alu instid0(VALU_DEP_2)
	v_cmp_le_u32_e32 vcc_lo, s3, v7
	s_wait_alu 0xfffd
	v_cndmask_b32_e64 v12, 0, -1, vcc_lo
	v_cmp_le_u32_e32 vcc_lo, s2, v3
	s_wait_alu 0xfffd
	v_cndmask_b32_e64 v3, 0, -1, vcc_lo
	;; [unrolled: 3-line block ×3, first 2 shown]
	v_cmp_eq_u32_e32 vcc_lo, s3, v7
	s_wait_alu 0xfffd
	v_cndmask_b32_e32 v7, v12, v11, vcc_lo
	v_add_co_u32 v11, vcc_lo, v5, 1
	s_wait_alu 0xfffd
	v_add_co_ci_u32_e64 v12, null, 0, v6, vcc_lo
	v_cmp_eq_u32_e32 vcc_lo, s3, v4
	s_wait_alu 0xfffd
	v_cndmask_b32_e32 v3, v13, v3, vcc_lo
	v_cmp_ne_u32_e32 vcc_lo, 0, v7
	v_xor_b32_e32 v7, s36, v9
	s_wait_alu 0xfffd
	v_cndmask_b32_e32 v4, v12, v10, vcc_lo
	v_cmp_ne_u32_e64 s0, 0, v3
	v_cndmask_b32_e32 v3, v11, v8, vcc_lo
	s_wait_alu 0xf1ff
	s_delay_alu instid0(VALU_DEP_2) | instskip(NEXT) | instid1(VALU_DEP_2)
	v_cndmask_b32_e64 v4, v6, v4, s0
	v_cndmask_b32_e64 v3, v5, v3, s0
	s_delay_alu instid0(VALU_DEP_2) | instskip(NEXT) | instid1(VALU_DEP_2)
	v_xor_b32_e32 v4, v4, v7
	v_xor_b32_e32 v3, v3, v7
	s_delay_alu instid0(VALU_DEP_1) | instskip(SKIP_1) | instid1(VALU_DEP_3)
	v_sub_co_u32 v6, vcc_lo, v3, v7
	s_wait_alu 0xfffd
	v_sub_co_ci_u32_e64 v7, null, v4, v7, vcc_lo
.LBB74_5:                               ;   in Loop: Header=BB74_3 Depth=1
	s_wait_alu 0xfffe
	s_and_not1_saveexec_b32 s0, s1
	s_cbranch_execz .LBB74_7
; %bb.6:                                ;   in Loop: Header=BB74_3 Depth=1
	s_sub_co_i32 s1, 0, s8
	v_mov_b32_e32 v7, v2
	s_wait_alu 0xfffe
	v_mul_lo_u32 v3, s1, v18
	s_delay_alu instid0(VALU_DEP_1) | instskip(NEXT) | instid1(VALU_DEP_1)
	v_mul_hi_u32 v3, v18, v3
	v_add_nc_u32_e32 v3, v18, v3
	s_delay_alu instid0(VALU_DEP_1) | instskip(NEXT) | instid1(VALU_DEP_1)
	v_mul_hi_u32 v3, v0, v3
	v_mul_lo_u32 v4, v3, s8
	v_add_nc_u32_e32 v5, 1, v3
	s_delay_alu instid0(VALU_DEP_2) | instskip(NEXT) | instid1(VALU_DEP_1)
	v_sub_nc_u32_e32 v4, v0, v4
	v_subrev_nc_u32_e32 v6, s8, v4
	v_cmp_le_u32_e32 vcc_lo, s8, v4
	s_wait_alu 0xfffd
	s_delay_alu instid0(VALU_DEP_2) | instskip(NEXT) | instid1(VALU_DEP_1)
	v_dual_cndmask_b32 v4, v4, v6 :: v_dual_cndmask_b32 v3, v3, v5
	v_cmp_le_u32_e32 vcc_lo, s8, v4
	s_delay_alu instid0(VALU_DEP_2) | instskip(SKIP_1) | instid1(VALU_DEP_1)
	v_add_nc_u32_e32 v5, 1, v3
	s_wait_alu 0xfffd
	v_cndmask_b32_e32 v6, v3, v5, vcc_lo
.LBB74_7:                               ;   in Loop: Header=BB74_3 Depth=1
	s_wait_alu 0xfffe
	s_or_b32 exec_lo, exec_lo, s0
	v_or_b32_e32 v3, s13, v7
                                        ; implicit-def: $vgpr8_vgpr9
	s_mov_b32 s0, exec_lo
	s_delay_alu instid0(VALU_DEP_1)
	v_cmpx_ne_u64_e32 0, v[2:3]
	s_wait_alu 0xfffe
	s_xor_b32 s1, exec_lo, s0
	s_cbranch_execz .LBB74_9
; %bb.8:                                ;   in Loop: Header=BB74_3 Depth=1
	s_ashr_i32 s2, s13, 31
	v_ashrrev_i32_e32 v5, 31, v7
	s_wait_alu 0xfffe
	s_mov_b32 s3, s2
	s_wait_alu 0xfffe
	s_add_nc_u64 s[38:39], s[12:13], s[2:3]
	v_add_co_u32 v3, vcc_lo, v6, v5
	s_wait_alu 0xfffe
	s_xor_b64 s[38:39], s[38:39], s[2:3]
	s_wait_alu 0xfffd
	v_add_co_ci_u32_e64 v4, null, v7, v5, vcc_lo
	s_wait_alu 0xfffe
	s_cvt_f32_u32 s0, s38
	s_cvt_f32_u32 s3, s39
	s_sub_nc_u64 s[42:43], 0, s[38:39]
	v_xor_b32_e32 v12, v3, v5
	v_xor_b32_e32 v13, v4, v5
	s_wait_alu 0xfffe
	s_fmamk_f32 s0, s3, 0x4f800000, s0
	v_xor_b32_e32 v5, s2, v5
	s_wait_alu 0xfffe
	s_delay_alu instid0(SALU_CYCLE_1) | instskip(NEXT) | instid1(TRANS32_DEP_1)
	v_s_rcp_f32 s0, s0
	s_mul_f32 s0, s0, 0x5f7ffffc
	s_wait_alu 0xfffe
	s_delay_alu instid0(SALU_CYCLE_2) | instskip(SKIP_1) | instid1(SALU_CYCLE_2)
	s_mul_f32 s3, s0, 0x2f800000
	s_wait_alu 0xfffe
	s_trunc_f32 s3, s3
	s_wait_alu 0xfffe
	s_delay_alu instid0(SALU_CYCLE_2) | instskip(SKIP_2) | instid1(SALU_CYCLE_1)
	s_fmamk_f32 s0, s3, 0xcf800000, s0
	s_cvt_u32_f32 s41, s3
	s_wait_alu 0xfffe
	s_cvt_u32_f32 s40, s0
	s_delay_alu instid0(SALU_CYCLE_3)
	s_mul_u64 s[44:45], s[42:43], s[40:41]
	s_wait_alu 0xfffe
	s_mul_hi_u32 s47, s40, s45
	s_mul_i32 s46, s40, s45
	s_mul_hi_u32 s14, s40, s44
	s_mul_i32 s3, s41, s44
	s_wait_alu 0xfffe
	s_add_nc_u64 s[46:47], s[14:15], s[46:47]
	s_mul_hi_u32 s0, s41, s44
	s_mul_hi_u32 s37, s41, s45
	s_wait_alu 0xfffe
	s_add_co_u32 s3, s46, s3
	s_add_co_ci_u32 s14, s47, s0
	s_mul_i32 s44, s41, s45
	s_add_co_ci_u32 s45, s37, 0
	s_wait_alu 0xfffe
	s_add_nc_u64 s[44:45], s[14:15], s[44:45]
	s_wait_alu 0xfffe
	s_add_co_u32 s40, s40, s44
	s_cselect_b32 s0, -1, 0
	s_wait_alu 0xfffe
	s_cmp_lg_u32 s0, 0
	s_add_co_ci_u32 s41, s41, s45
	s_delay_alu instid0(SALU_CYCLE_1) | instskip(NEXT) | instid1(SALU_CYCLE_1)
	s_mul_u64 s[42:43], s[42:43], s[40:41]
	s_mul_hi_u32 s45, s40, s43
	s_mul_i32 s44, s40, s43
	s_mul_hi_u32 s14, s40, s42
	s_mul_i32 s3, s41, s42
	s_wait_alu 0xfffe
	s_add_nc_u64 s[44:45], s[14:15], s[44:45]
	s_mul_hi_u32 s0, s41, s42
	s_mul_hi_u32 s37, s41, s43
	s_wait_alu 0xfffe
	s_add_co_u32 s3, s44, s3
	s_add_co_ci_u32 s14, s45, s0
	s_mul_i32 s42, s41, s43
	s_add_co_ci_u32 s43, s37, 0
	s_wait_alu 0xfffe
	s_add_nc_u64 s[42:43], s[14:15], s[42:43]
	s_delay_alu instid0(SALU_CYCLE_1)
	s_add_co_u32 s0, s40, s42
	s_cselect_b32 s3, -1, 0
	s_wait_alu 0xfffe
	v_mul_hi_u32 v14, v12, s0
	s_cmp_lg_u32 s3, 0
	v_mad_co_u64_u32 v[8:9], null, v13, s0, 0
	s_add_co_ci_u32 s3, s41, s43
	s_wait_alu 0xfffe
	v_mad_co_u64_u32 v[3:4], null, v12, s3, 0
	v_mad_co_u64_u32 v[10:11], null, v13, s3, 0
	s_delay_alu instid0(VALU_DEP_2) | instskip(SKIP_1) | instid1(VALU_DEP_3)
	v_add_co_u32 v3, vcc_lo, v14, v3
	s_wait_alu 0xfffd
	v_add_co_ci_u32_e64 v4, null, 0, v4, vcc_lo
	s_delay_alu instid0(VALU_DEP_2) | instskip(SKIP_1) | instid1(VALU_DEP_2)
	v_add_co_u32 v3, vcc_lo, v3, v8
	s_wait_alu 0xfffd
	v_add_co_ci_u32_e32 v3, vcc_lo, v4, v9, vcc_lo
	s_wait_alu 0xfffd
	v_add_co_ci_u32_e32 v4, vcc_lo, 0, v11, vcc_lo
	s_delay_alu instid0(VALU_DEP_2) | instskip(SKIP_1) | instid1(VALU_DEP_2)
	v_add_co_u32 v8, vcc_lo, v3, v10
	s_wait_alu 0xfffd
	v_add_co_ci_u32_e64 v9, null, 0, v4, vcc_lo
	s_delay_alu instid0(VALU_DEP_2) | instskip(SKIP_1) | instid1(VALU_DEP_3)
	v_mul_lo_u32 v10, s39, v8
	v_mad_co_u64_u32 v[3:4], null, s38, v8, 0
	v_mul_lo_u32 v11, s38, v9
	s_delay_alu instid0(VALU_DEP_2) | instskip(NEXT) | instid1(VALU_DEP_2)
	v_sub_co_u32 v3, vcc_lo, v12, v3
	v_add3_u32 v4, v4, v11, v10
	v_add_co_u32 v11, s0, v8, 2
	s_wait_alu 0xf1ff
	v_add_co_ci_u32_e64 v12, null, 0, v9, s0
	s_delay_alu instid0(VALU_DEP_3) | instskip(SKIP_3) | instid1(VALU_DEP_3)
	v_sub_nc_u32_e32 v10, v13, v4
	v_sub_co_u32 v14, s0, v3, s38
	s_wait_alu 0xfffd
	v_sub_co_ci_u32_e64 v4, null, v13, v4, vcc_lo
	v_subrev_co_ci_u32_e64 v10, null, s39, v10, vcc_lo
	s_delay_alu instid0(VALU_DEP_3) | instskip(SKIP_1) | instid1(VALU_DEP_2)
	v_cmp_le_u32_e32 vcc_lo, s38, v14
	s_wait_alu 0xf1ff
	v_subrev_co_ci_u32_e64 v10, null, 0, v10, s0
	s_wait_alu 0xfffd
	v_cndmask_b32_e64 v13, 0, -1, vcc_lo
	s_delay_alu instid0(VALU_DEP_2)
	v_cmp_le_u32_e32 vcc_lo, s39, v10
	s_wait_alu 0xfffd
	v_cndmask_b32_e64 v14, 0, -1, vcc_lo
	v_cmp_le_u32_e32 vcc_lo, s38, v3
	s_wait_alu 0xfffd
	v_cndmask_b32_e64 v3, 0, -1, vcc_lo
	;; [unrolled: 3-line block ×3, first 2 shown]
	v_cmp_eq_u32_e32 vcc_lo, s39, v10
	s_wait_alu 0xfffd
	v_cndmask_b32_e32 v10, v14, v13, vcc_lo
	v_add_co_u32 v13, vcc_lo, v8, 1
	s_wait_alu 0xfffd
	v_add_co_ci_u32_e64 v14, null, 0, v9, vcc_lo
	v_cmp_eq_u32_e32 vcc_lo, s39, v4
	s_wait_alu 0xfffd
	v_cndmask_b32_e32 v3, v15, v3, vcc_lo
	v_cmp_ne_u32_e32 vcc_lo, 0, v10
	s_delay_alu instid0(VALU_DEP_2) | instskip(SKIP_3) | instid1(VALU_DEP_1)
	v_cmp_ne_u32_e64 s0, 0, v3
	s_wait_alu 0xfffd
	v_dual_cndmask_b32 v4, v14, v12 :: v_dual_cndmask_b32 v3, v13, v11
	s_wait_alu 0xf1ff
	v_cndmask_b32_e64 v4, v9, v4, s0
	s_delay_alu instid0(VALU_DEP_2) | instskip(NEXT) | instid1(VALU_DEP_2)
	v_cndmask_b32_e64 v3, v8, v3, s0
	v_xor_b32_e32 v4, v4, v5
	s_delay_alu instid0(VALU_DEP_2) | instskip(NEXT) | instid1(VALU_DEP_1)
	v_xor_b32_e32 v3, v3, v5
	v_sub_co_u32 v8, vcc_lo, v3, v5
	s_wait_alu 0xfffd
	s_delay_alu instid0(VALU_DEP_3)
	v_sub_co_ci_u32_e64 v9, null, v4, v5, vcc_lo
.LBB74_9:                               ;   in Loop: Header=BB74_3 Depth=1
	s_wait_alu 0xfffe
	s_and_not1_saveexec_b32 s0, s1
	s_cbranch_execz .LBB74_11
; %bb.10:                               ;   in Loop: Header=BB74_3 Depth=1
	s_sub_co_i32 s1, 0, s12
	v_mov_b32_e32 v9, v2
	s_wait_alu 0xfffe
	v_mul_lo_u32 v3, s1, v19
	s_delay_alu instid0(VALU_DEP_1) | instskip(NEXT) | instid1(VALU_DEP_1)
	v_mul_hi_u32 v3, v19, v3
	v_add_nc_u32_e32 v3, v19, v3
	s_delay_alu instid0(VALU_DEP_1) | instskip(NEXT) | instid1(VALU_DEP_1)
	v_mul_hi_u32 v3, v6, v3
	v_mul_lo_u32 v4, v3, s12
	v_add_nc_u32_e32 v5, 1, v3
	s_delay_alu instid0(VALU_DEP_2) | instskip(NEXT) | instid1(VALU_DEP_1)
	v_sub_nc_u32_e32 v4, v6, v4
	v_subrev_nc_u32_e32 v8, s12, v4
	v_cmp_le_u32_e32 vcc_lo, s12, v4
	s_wait_alu 0xfffd
	s_delay_alu instid0(VALU_DEP_2) | instskip(NEXT) | instid1(VALU_DEP_1)
	v_dual_cndmask_b32 v4, v4, v8 :: v_dual_cndmask_b32 v3, v3, v5
	v_cmp_le_u32_e32 vcc_lo, s12, v4
	s_delay_alu instid0(VALU_DEP_2) | instskip(SKIP_1) | instid1(VALU_DEP_1)
	v_add_nc_u32_e32 v5, 1, v3
	s_wait_alu 0xfffd
	v_cndmask_b32_e32 v8, v3, v5, vcc_lo
.LBB74_11:                              ;   in Loop: Header=BB74_3 Depth=1
	s_wait_alu 0xfffe
	s_or_b32 exec_lo, exec_lo, s0
	v_mul_lo_u32 v5, v7, s8
	v_mul_lo_u32 v12, v6, s9
	v_mad_co_u64_u32 v[3:4], null, v6, s8, 0
	v_mul_lo_u32 v13, v9, s12
	v_mul_lo_u32 v14, v8, s13
	v_mad_co_u64_u32 v[10:11], null, v8, s12, 0
	s_mov_b32 s37, exec_lo
	v_add3_u32 v5, v4, v12, v5
	v_sub_co_u32 v4, vcc_lo, v0, v3
	v_add3_u32 v11, v11, v14, v13
	s_wait_alu 0xfffd
	s_delay_alu instid0(VALU_DEP_3) | instskip(SKIP_3) | instid1(VALU_DEP_2)
	v_sub_co_ci_u32_e64 v5, null, v1, v5, vcc_lo
	v_sub_co_u32 v20, vcc_lo, v6, v10
	s_wait_alu 0xfffd
	v_sub_co_ci_u32_e64 v21, null, v7, v11, vcc_lo
	v_sub_co_u32 v6, vcc_lo, v4, v20
	s_wait_alu 0xfffd
	s_delay_alu instid0(VALU_DEP_2) | instskip(NEXT) | instid1(VALU_DEP_1)
	v_sub_co_ci_u32_e64 v7, null, v5, v21, vcc_lo
	v_cmpx_gt_i64_e64 s[4:5], v[6:7]
	s_cbranch_execz .LBB74_2
; %bb.12:                               ;   in Loop: Header=BB74_3 Depth=1
	s_load_b128 s[0:3], s[22:23], 0xc0
	s_and_not1_b32 vcc_lo, exec_lo, s33
	s_wait_kmcnt 0x0
	v_mul_lo_u32 v3, s3, v4
	v_mul_lo_u32 v10, s2, v5
	v_mad_co_u64_u32 v[6:7], null, s2, v4, 0
	s_delay_alu instid0(VALU_DEP_1) | instskip(SKIP_2) | instid1(VALU_DEP_3)
	v_add3_u32 v7, v7, v10, v3
	v_mul_lo_u32 v3, s0, v21
	v_mul_lo_u32 v10, s1, v20
	v_mad_co_u64_u32 v[6:7], null, s0, v20, v[6:7]
	s_delay_alu instid0(VALU_DEP_1)
	v_add3_u32 v7, v10, v7, v3
	s_wait_alu 0xfffe
	s_cbranch_vccnz .LBB74_38
; %bb.13:                               ;   in Loop: Header=BB74_3 Depth=1
	s_mov_b64 s[38:39], s[26:27]
	s_mov_b64 s[40:41], s[30:31]
	s_and_not1_b32 vcc_lo, exec_lo, s63
	s_mov_b64 s[44:45], s[28:29]
	s_mov_b64 s[42:43], s[20:21]
	s_wait_alu 0xfffe
	s_cbranch_vccz .LBB74_17
.LBB74_14:                              ;   in Loop: Header=BB74_3 Depth=1
	s_and_not1_b32 vcc_lo, exec_lo, s64
	s_wait_alu 0xfffe
	s_cbranch_vccnz .LBB74_38
; %bb.15:                               ;   in Loop: Header=BB74_3 Depth=1
	s_lshl_b64 s[0:1], s[42:43], 3
	s_add_nc_u64 s[42:43], s[42:43], 1
	s_wait_alu 0xfffe
	s_add_nc_u64 s[38:39], s[16:17], s[0:1]
	s_add_nc_u64 s[40:41], s[34:35], s[0:1]
	s_branch .LBB74_22
.LBB74_16:                              ;   in Loop: Header=BB74_17 Depth=2
	s_wait_alu 0xfffe
	s_or_b32 exec_lo, exec_lo, s0
	s_load_b64 s[0:1], s[44:45], 0x0
	v_mul_lo_u32 v3, v11, s46
	v_mul_lo_u32 v14, v10, s47
	v_mad_co_u64_u32 v[12:13], null, v10, s46, 0
	s_add_nc_u64 s[38:39], s[38:39], -1
	s_add_nc_u64 s[42:43], s[42:43], -1
	;; [unrolled: 1-line block ×3, first 2 shown]
	s_wait_alu 0xfffe
	s_cmp_lg_u64 s[38:39], 0
	s_add_nc_u64 s[40:41], s[40:41], -8
	v_add3_u32 v3, v13, v14, v3
	v_sub_co_u32 v8, vcc_lo, v8, v12
	s_wait_alu 0xfffd
	s_delay_alu instid0(VALU_DEP_2) | instskip(SKIP_1) | instid1(VALU_DEP_2)
	v_sub_co_ci_u32_e64 v3, null, v9, v3, vcc_lo
	s_wait_kmcnt 0x0
	v_mul_lo_u32 v9, s1, v8
	s_delay_alu instid0(VALU_DEP_2) | instskip(SKIP_1) | instid1(VALU_DEP_1)
	v_mul_lo_u32 v3, s0, v3
	v_mad_co_u64_u32 v[6:7], null, s0, v8, v[6:7]
	v_add3_u32 v7, v9, v7, v3
	v_dual_mov_b32 v8, v10 :: v_dual_mov_b32 v9, v11
	s_cbranch_scc0 .LBB74_14
.LBB74_17:                              ;   Parent Loop BB74_3 Depth=1
                                        ; =>  This Inner Loop Header: Depth=2
	s_load_b64 s[46:47], s[40:41], 0x0
                                        ; implicit-def: $vgpr10_vgpr11
	s_mov_b32 s0, exec_lo
	s_wait_kmcnt 0x0
	v_or_b32_e32 v3, s47, v9
	s_delay_alu instid0(VALU_DEP_1)
	v_cmpx_ne_u64_e32 0, v[2:3]
	s_wait_alu 0xfffe
	s_xor_b32 s1, exec_lo, s0
	s_cbranch_execz .LBB74_19
; %bb.18:                               ;   in Loop: Header=BB74_17 Depth=2
	s_ashr_i32 s48, s47, 31
	v_ashrrev_i32_e32 v3, 31, v9
	s_wait_alu 0xfffe
	s_mov_b32 s49, s48
	s_wait_alu 0xfffe
	s_add_nc_u64 s[50:51], s[46:47], s[48:49]
	v_add_co_u32 v10, vcc_lo, v8, v3
	s_wait_alu 0xfffe
	s_xor_b64 s[50:51], s[50:51], s[48:49]
	s_wait_alu 0xfffd
	v_add_co_ci_u32_e64 v11, null, v9, v3, vcc_lo
	s_wait_alu 0xfffe
	s_cvt_f32_u32 s0, s50
	s_cvt_f32_u32 s14, s51
	s_sub_nc_u64 s[54:55], 0, s[50:51]
	v_xor_b32_e32 v16, v10, v3
	v_xor_b32_e32 v17, v11, v3
	s_wait_alu 0xfffe
	s_fmamk_f32 s0, s14, 0x4f800000, s0
	v_xor_b32_e32 v3, s48, v3
	s_wait_alu 0xfffe
	s_delay_alu instid0(SALU_CYCLE_1) | instskip(NEXT) | instid1(TRANS32_DEP_1)
	v_s_rcp_f32 s0, s0
	s_mul_f32 s0, s0, 0x5f7ffffc
	s_wait_alu 0xfffe
	s_delay_alu instid0(SALU_CYCLE_2) | instskip(SKIP_1) | instid1(SALU_CYCLE_2)
	s_mul_f32 s14, s0, 0x2f800000
	s_wait_alu 0xfffe
	s_trunc_f32 s14, s14
	s_wait_alu 0xfffe
	s_delay_alu instid0(SALU_CYCLE_2) | instskip(SKIP_2) | instid1(SALU_CYCLE_1)
	s_fmamk_f32 s0, s14, 0xcf800000, s0
	s_cvt_u32_f32 s53, s14
	s_wait_alu 0xfffe
	s_cvt_u32_f32 s52, s0
	s_wait_alu 0xfffe
	s_delay_alu instid0(SALU_CYCLE_2)
	s_mul_u64 s[56:57], s[54:55], s[52:53]
	s_wait_alu 0xfffe
	s_mul_hi_u32 s59, s52, s57
	s_mul_i32 s58, s52, s57
	s_mul_hi_u32 s14, s52, s56
	s_mul_i32 s49, s53, s56
	s_wait_alu 0xfffe
	s_add_nc_u64 s[58:59], s[14:15], s[58:59]
	s_mul_hi_u32 s0, s53, s56
	s_mul_hi_u32 s60, s53, s57
	s_wait_alu 0xfffe
	s_add_co_u32 s14, s58, s49
	s_add_co_ci_u32 s14, s59, s0
	s_mul_i32 s56, s53, s57
	s_add_co_ci_u32 s57, s60, 0
	s_wait_alu 0xfffe
	s_add_nc_u64 s[56:57], s[14:15], s[56:57]
	s_wait_alu 0xfffe
	s_add_co_u32 s52, s52, s56
	s_cselect_b32 s0, -1, 0
	s_wait_alu 0xfffe
	s_cmp_lg_u32 s0, 0
	s_add_co_ci_u32 s53, s53, s57
	s_wait_alu 0xfffe
	s_mul_u64 s[54:55], s[54:55], s[52:53]
	s_wait_alu 0xfffe
	s_mul_hi_u32 s57, s52, s55
	s_mul_i32 s56, s52, s55
	s_mul_hi_u32 s14, s52, s54
	s_mul_i32 s49, s53, s54
	s_wait_alu 0xfffe
	s_add_nc_u64 s[56:57], s[14:15], s[56:57]
	s_mul_hi_u32 s0, s53, s54
	s_mul_hi_u32 s58, s53, s55
	s_wait_alu 0xfffe
	s_add_co_u32 s14, s56, s49
	s_add_co_ci_u32 s14, s57, s0
	s_mul_i32 s54, s53, s55
	s_add_co_ci_u32 s55, s58, 0
	s_wait_alu 0xfffe
	s_add_nc_u64 s[54:55], s[14:15], s[54:55]
	s_wait_alu 0xfffe
	s_add_co_u32 s0, s52, s54
	s_cselect_b32 s14, -1, 0
	s_wait_alu 0xfffe
	v_mul_hi_u32 v22, v16, s0
	s_cmp_lg_u32 s14, 0
	v_mad_co_u64_u32 v[12:13], null, v17, s0, 0
	s_add_co_ci_u32 s14, s53, s55
	s_wait_alu 0xfffe
	v_mad_co_u64_u32 v[10:11], null, v16, s14, 0
	v_mad_co_u64_u32 v[14:15], null, v17, s14, 0
	s_delay_alu instid0(VALU_DEP_2) | instskip(SKIP_1) | instid1(VALU_DEP_3)
	v_add_co_u32 v10, vcc_lo, v22, v10
	s_wait_alu 0xfffd
	v_add_co_ci_u32_e64 v11, null, 0, v11, vcc_lo
	s_delay_alu instid0(VALU_DEP_2) | instskip(SKIP_1) | instid1(VALU_DEP_2)
	v_add_co_u32 v10, vcc_lo, v10, v12
	s_wait_alu 0xfffd
	v_add_co_ci_u32_e32 v10, vcc_lo, v11, v13, vcc_lo
	s_wait_alu 0xfffd
	v_add_co_ci_u32_e32 v11, vcc_lo, 0, v15, vcc_lo
	s_delay_alu instid0(VALU_DEP_2) | instskip(SKIP_1) | instid1(VALU_DEP_2)
	v_add_co_u32 v12, vcc_lo, v10, v14
	s_wait_alu 0xfffd
	v_add_co_ci_u32_e64 v13, null, 0, v11, vcc_lo
	s_delay_alu instid0(VALU_DEP_2) | instskip(SKIP_1) | instid1(VALU_DEP_3)
	v_mul_lo_u32 v14, s51, v12
	v_mad_co_u64_u32 v[10:11], null, s50, v12, 0
	v_mul_lo_u32 v15, s50, v13
	s_delay_alu instid0(VALU_DEP_2) | instskip(NEXT) | instid1(VALU_DEP_2)
	v_sub_co_u32 v10, vcc_lo, v16, v10
	v_add3_u32 v11, v11, v15, v14
	v_add_co_u32 v15, s0, v12, 2
	s_wait_alu 0xf1ff
	v_add_co_ci_u32_e64 v16, null, 0, v13, s0
	s_delay_alu instid0(VALU_DEP_3) | instskip(SKIP_3) | instid1(VALU_DEP_3)
	v_sub_nc_u32_e32 v14, v17, v11
	v_sub_co_u32 v22, s0, v10, s50
	s_wait_alu 0xfffd
	v_sub_co_ci_u32_e64 v11, null, v17, v11, vcc_lo
	v_subrev_co_ci_u32_e64 v14, null, s51, v14, vcc_lo
	s_delay_alu instid0(VALU_DEP_3) | instskip(SKIP_1) | instid1(VALU_DEP_2)
	v_cmp_le_u32_e32 vcc_lo, s50, v22
	s_wait_alu 0xf1ff
	v_subrev_co_ci_u32_e64 v14, null, 0, v14, s0
	s_wait_alu 0xfffd
	v_cndmask_b32_e64 v17, 0, -1, vcc_lo
	s_delay_alu instid0(VALU_DEP_2)
	v_cmp_le_u32_e32 vcc_lo, s51, v14
	s_wait_alu 0xfffd
	v_cndmask_b32_e64 v22, 0, -1, vcc_lo
	v_cmp_le_u32_e32 vcc_lo, s50, v10
	s_wait_alu 0xfffd
	v_cndmask_b32_e64 v10, 0, -1, vcc_lo
	;; [unrolled: 3-line block ×3, first 2 shown]
	v_cmp_eq_u32_e32 vcc_lo, s51, v14
	s_wait_alu 0xfffd
	v_cndmask_b32_e32 v14, v22, v17, vcc_lo
	v_add_co_u32 v17, vcc_lo, v12, 1
	s_wait_alu 0xfffd
	v_add_co_ci_u32_e64 v22, null, 0, v13, vcc_lo
	v_cmp_eq_u32_e32 vcc_lo, s51, v11
	s_wait_alu 0xfffd
	v_cndmask_b32_e32 v10, v23, v10, vcc_lo
	v_cmp_ne_u32_e32 vcc_lo, 0, v14
	s_wait_alu 0xfffd
	v_cndmask_b32_e32 v11, v22, v16, vcc_lo
	s_delay_alu instid0(VALU_DEP_3) | instskip(SKIP_2) | instid1(VALU_DEP_2)
	v_cmp_ne_u32_e64 s0, 0, v10
	v_cndmask_b32_e32 v10, v17, v15, vcc_lo
	s_wait_alu 0xf1ff
	v_cndmask_b32_e64 v11, v13, v11, s0
	s_delay_alu instid0(VALU_DEP_2) | instskip(NEXT) | instid1(VALU_DEP_2)
	v_cndmask_b32_e64 v10, v12, v10, s0
	v_xor_b32_e32 v11, v11, v3
	s_delay_alu instid0(VALU_DEP_2) | instskip(NEXT) | instid1(VALU_DEP_1)
	v_xor_b32_e32 v10, v10, v3
	v_sub_co_u32 v10, vcc_lo, v10, v3
	s_wait_alu 0xfffd
	s_delay_alu instid0(VALU_DEP_3)
	v_sub_co_ci_u32_e64 v11, null, v11, v3, vcc_lo
.LBB74_19:                              ;   in Loop: Header=BB74_17 Depth=2
	s_wait_alu 0xfffe
	s_and_not1_saveexec_b32 s0, s1
	s_cbranch_execz .LBB74_16
; %bb.20:                               ;   in Loop: Header=BB74_17 Depth=2
	v_cvt_f32_u32_e32 v3, s46
	s_sub_co_i32 s1, 0, s46
	s_delay_alu instid0(VALU_DEP_1) | instskip(NEXT) | instid1(TRANS32_DEP_1)
	v_rcp_iflag_f32_e32 v3, v3
	v_mul_f32_e32 v3, 0x4f7ffffe, v3
	s_delay_alu instid0(VALU_DEP_1) | instskip(SKIP_1) | instid1(VALU_DEP_1)
	v_cvt_u32_f32_e32 v3, v3
	s_wait_alu 0xfffe
	v_mul_lo_u32 v10, s1, v3
	s_delay_alu instid0(VALU_DEP_1) | instskip(NEXT) | instid1(VALU_DEP_1)
	v_mul_hi_u32 v10, v3, v10
	v_add_nc_u32_e32 v3, v3, v10
	s_delay_alu instid0(VALU_DEP_1) | instskip(NEXT) | instid1(VALU_DEP_1)
	v_mul_hi_u32 v3, v8, v3
	v_mul_lo_u32 v10, v3, s46
	v_add_nc_u32_e32 v11, 1, v3
	s_delay_alu instid0(VALU_DEP_2) | instskip(NEXT) | instid1(VALU_DEP_1)
	v_sub_nc_u32_e32 v10, v8, v10
	v_subrev_nc_u32_e32 v12, s46, v10
	v_cmp_le_u32_e32 vcc_lo, s46, v10
	s_wait_alu 0xfffd
	s_delay_alu instid0(VALU_DEP_2) | instskip(NEXT) | instid1(VALU_DEP_1)
	v_dual_cndmask_b32 v10, v10, v12 :: v_dual_cndmask_b32 v3, v3, v11
	v_cmp_le_u32_e32 vcc_lo, s46, v10
	s_delay_alu instid0(VALU_DEP_2) | instskip(SKIP_1) | instid1(VALU_DEP_1)
	v_add_nc_u32_e32 v11, 1, v3
	s_wait_alu 0xfffd
	v_dual_cndmask_b32 v10, v3, v11 :: v_dual_mov_b32 v11, v2
	s_branch .LBB74_16
.LBB74_21:                              ;   in Loop: Header=BB74_22 Depth=2
	s_wait_alu 0xfffe
	s_or_b32 exec_lo, exec_lo, s0
	v_mul_lo_u32 v3, v11, s44
	v_mul_lo_u32 v26, v10, s45
	v_mad_co_u64_u32 v[22:23], null, v10, s44, 0
	v_mul_lo_u32 v27, v13, s48
	v_mul_lo_u32 v28, v12, s49
	v_mad_co_u64_u32 v[24:25], null, v12, s48, 0
	s_load_b64 s[0:1], s[38:39], 0x0
	s_add_nc_u64 s[42:43], s[42:43], -4
	v_add3_u32 v3, v23, v26, v3
	v_sub_co_u32 v8, vcc_lo, v8, v22
	v_mul_lo_u32 v22, v15, s52
	v_add3_u32 v23, v25, v28, v27
	s_wait_alu 0xfffd
	v_sub_co_ci_u32_e64 v3, null, v9, v3, vcc_lo
	v_mul_lo_u32 v25, s47, v8
	v_mad_co_u64_u32 v[6:7], null, s46, v8, v[6:7]
	s_delay_alu instid0(VALU_DEP_3)
	v_mul_lo_u32 v3, s46, v3
	v_mul_lo_u32 v26, v14, s53
	v_mad_co_u64_u32 v[8:9], null, v14, s52, 0
	v_sub_co_u32 v10, vcc_lo, v10, v24
	s_wait_alu 0xfffd
	v_sub_co_ci_u32_e64 v11, null, v11, v23, vcc_lo
	v_add3_u32 v7, v25, v7, v3
	s_add_nc_u64 s[38:39], s[38:39], s[18:19]
	s_delay_alu instid0(VALU_DEP_4)
	v_add3_u32 v3, v9, v26, v22
	v_mul_lo_u32 v22, s51, v10
	v_mul_lo_u32 v11, s50, v11
	v_mad_co_u64_u32 v[6:7], null, s50, v10, v[6:7]
	v_sub_co_u32 v10, vcc_lo, v12, v8
	s_wait_alu 0xfffd
	v_sub_co_ci_u32_e64 v3, null, v13, v3, vcc_lo
	v_mul_lo_u32 v12, v17, s56
	v_mul_lo_u32 v13, v16, s57
	v_mad_co_u64_u32 v[8:9], null, v16, s56, 0
	v_add3_u32 v7, v22, v7, v11
	v_mul_lo_u32 v3, s54, v3
	s_cmp_eq_u64 s[42:43], 0
	s_add_nc_u64 s[40:41], s[40:41], s[18:19]
	s_delay_alu instid0(VALU_DEP_2) | instskip(SKIP_4) | instid1(VALU_DEP_2)
	v_mad_co_u64_u32 v[6:7], null, s54, v10, v[6:7]
	v_mul_lo_u32 v10, s55, v10
	v_add3_u32 v9, v9, v13, v12
	v_sub_co_u32 v8, vcc_lo, v14, v8
	s_wait_alu 0xfffd
	v_sub_co_ci_u32_e64 v9, null, v15, v9, vcc_lo
	s_delay_alu instid0(VALU_DEP_4) | instskip(SKIP_1) | instid1(VALU_DEP_2)
	v_add3_u32 v7, v10, v7, v3
	s_wait_kmcnt 0x0
	v_mul_lo_u32 v3, s0, v9
	v_mul_lo_u32 v9, s1, v8
	s_delay_alu instid0(VALU_DEP_3) | instskip(NEXT) | instid1(VALU_DEP_1)
	v_mad_co_u64_u32 v[6:7], null, s0, v8, v[6:7]
	v_add3_u32 v7, v9, v7, v3
	v_dual_mov_b32 v8, v16 :: v_dual_mov_b32 v9, v17
	s_cbranch_scc1 .LBB74_38
.LBB74_22:                              ;   Parent Loop BB74_3 Depth=1
                                        ; =>  This Inner Loop Header: Depth=2
	s_load_b64 s[44:45], s[40:41], 0x18
                                        ; implicit-def: $vgpr10_vgpr11
	s_mov_b32 s0, exec_lo
	s_wait_kmcnt 0x0
	v_or_b32_e32 v3, s45, v9
	s_delay_alu instid0(VALU_DEP_1)
	v_cmpx_ne_u64_e32 0, v[2:3]
	s_wait_alu 0xfffe
	s_xor_b32 s1, exec_lo, s0
	s_cbranch_execz .LBB74_24
; %bb.23:                               ;   in Loop: Header=BB74_22 Depth=2
	s_ashr_i32 s46, s45, 31
	v_ashrrev_i32_e32 v3, 31, v9
	s_wait_alu 0xfffe
	s_mov_b32 s47, s46
	s_wait_alu 0xfffe
	s_add_nc_u64 s[48:49], s[44:45], s[46:47]
	v_add_co_u32 v10, vcc_lo, v8, v3
	s_wait_alu 0xfffe
	s_xor_b64 s[48:49], s[48:49], s[46:47]
	s_wait_alu 0xfffd
	v_add_co_ci_u32_e64 v11, null, v9, v3, vcc_lo
	s_wait_alu 0xfffe
	s_cvt_f32_u32 s0, s48
	s_cvt_f32_u32 s14, s49
	s_sub_nc_u64 s[52:53], 0, s[48:49]
	v_xor_b32_e32 v16, v10, v3
	v_xor_b32_e32 v17, v11, v3
	s_wait_alu 0xfffe
	s_fmamk_f32 s0, s14, 0x4f800000, s0
	v_xor_b32_e32 v3, s46, v3
	s_wait_alu 0xfffe
	s_delay_alu instid0(SALU_CYCLE_1) | instskip(NEXT) | instid1(TRANS32_DEP_1)
	v_s_rcp_f32 s0, s0
	s_mul_f32 s0, s0, 0x5f7ffffc
	s_wait_alu 0xfffe
	s_delay_alu instid0(SALU_CYCLE_2) | instskip(SKIP_1) | instid1(SALU_CYCLE_2)
	s_mul_f32 s14, s0, 0x2f800000
	s_wait_alu 0xfffe
	s_trunc_f32 s14, s14
	s_wait_alu 0xfffe
	s_delay_alu instid0(SALU_CYCLE_2) | instskip(SKIP_2) | instid1(SALU_CYCLE_1)
	s_fmamk_f32 s0, s14, 0xcf800000, s0
	s_cvt_u32_f32 s51, s14
	s_wait_alu 0xfffe
	s_cvt_u32_f32 s50, s0
	s_wait_alu 0xfffe
	s_delay_alu instid0(SALU_CYCLE_2)
	s_mul_u64 s[54:55], s[52:53], s[50:51]
	s_wait_alu 0xfffe
	s_mul_hi_u32 s57, s50, s55
	s_mul_i32 s56, s50, s55
	s_mul_hi_u32 s14, s50, s54
	s_mul_i32 s47, s51, s54
	s_wait_alu 0xfffe
	s_add_nc_u64 s[56:57], s[14:15], s[56:57]
	s_mul_hi_u32 s0, s51, s54
	s_mul_hi_u32 s58, s51, s55
	s_wait_alu 0xfffe
	s_add_co_u32 s14, s56, s47
	s_add_co_ci_u32 s14, s57, s0
	s_mul_i32 s54, s51, s55
	s_add_co_ci_u32 s55, s58, 0
	s_wait_alu 0xfffe
	s_add_nc_u64 s[54:55], s[14:15], s[54:55]
	s_wait_alu 0xfffe
	s_add_co_u32 s50, s50, s54
	s_cselect_b32 s0, -1, 0
	s_wait_alu 0xfffe
	s_cmp_lg_u32 s0, 0
	s_add_co_ci_u32 s51, s51, s55
	s_wait_alu 0xfffe
	s_mul_u64 s[52:53], s[52:53], s[50:51]
	s_wait_alu 0xfffe
	s_mul_hi_u32 s55, s50, s53
	s_mul_i32 s54, s50, s53
	s_mul_hi_u32 s14, s50, s52
	s_mul_i32 s47, s51, s52
	s_wait_alu 0xfffe
	s_add_nc_u64 s[54:55], s[14:15], s[54:55]
	s_mul_hi_u32 s0, s51, s52
	s_mul_hi_u32 s56, s51, s53
	s_wait_alu 0xfffe
	s_add_co_u32 s14, s54, s47
	s_add_co_ci_u32 s14, s55, s0
	s_mul_i32 s52, s51, s53
	s_add_co_ci_u32 s53, s56, 0
	s_wait_alu 0xfffe
	s_add_nc_u64 s[52:53], s[14:15], s[52:53]
	s_wait_alu 0xfffe
	s_add_co_u32 s0, s50, s52
	s_cselect_b32 s14, -1, 0
	s_wait_alu 0xfffe
	v_mul_hi_u32 v22, v16, s0
	s_cmp_lg_u32 s14, 0
	v_mad_co_u64_u32 v[12:13], null, v17, s0, 0
	s_add_co_ci_u32 s14, s51, s53
	s_wait_alu 0xfffe
	v_mad_co_u64_u32 v[10:11], null, v16, s14, 0
	v_mad_co_u64_u32 v[14:15], null, v17, s14, 0
	s_delay_alu instid0(VALU_DEP_2) | instskip(SKIP_1) | instid1(VALU_DEP_3)
	v_add_co_u32 v10, vcc_lo, v22, v10
	s_wait_alu 0xfffd
	v_add_co_ci_u32_e64 v11, null, 0, v11, vcc_lo
	s_delay_alu instid0(VALU_DEP_2) | instskip(SKIP_1) | instid1(VALU_DEP_2)
	v_add_co_u32 v10, vcc_lo, v10, v12
	s_wait_alu 0xfffd
	v_add_co_ci_u32_e32 v10, vcc_lo, v11, v13, vcc_lo
	s_wait_alu 0xfffd
	v_add_co_ci_u32_e32 v11, vcc_lo, 0, v15, vcc_lo
	s_delay_alu instid0(VALU_DEP_2) | instskip(SKIP_1) | instid1(VALU_DEP_2)
	v_add_co_u32 v12, vcc_lo, v10, v14
	s_wait_alu 0xfffd
	v_add_co_ci_u32_e64 v13, null, 0, v11, vcc_lo
	s_delay_alu instid0(VALU_DEP_2) | instskip(SKIP_1) | instid1(VALU_DEP_3)
	v_mul_lo_u32 v14, s49, v12
	v_mad_co_u64_u32 v[10:11], null, s48, v12, 0
	v_mul_lo_u32 v15, s48, v13
	s_delay_alu instid0(VALU_DEP_2) | instskip(NEXT) | instid1(VALU_DEP_2)
	v_sub_co_u32 v10, vcc_lo, v16, v10
	v_add3_u32 v11, v11, v15, v14
	v_add_co_u32 v15, s0, v12, 2
	s_wait_alu 0xf1ff
	v_add_co_ci_u32_e64 v16, null, 0, v13, s0
	s_delay_alu instid0(VALU_DEP_3) | instskip(SKIP_3) | instid1(VALU_DEP_3)
	v_sub_nc_u32_e32 v14, v17, v11
	v_sub_co_u32 v22, s0, v10, s48
	s_wait_alu 0xfffd
	v_sub_co_ci_u32_e64 v11, null, v17, v11, vcc_lo
	v_subrev_co_ci_u32_e64 v14, null, s49, v14, vcc_lo
	s_delay_alu instid0(VALU_DEP_3) | instskip(SKIP_1) | instid1(VALU_DEP_2)
	v_cmp_le_u32_e32 vcc_lo, s48, v22
	s_wait_alu 0xf1ff
	v_subrev_co_ci_u32_e64 v14, null, 0, v14, s0
	s_wait_alu 0xfffd
	v_cndmask_b32_e64 v17, 0, -1, vcc_lo
	s_delay_alu instid0(VALU_DEP_2)
	v_cmp_le_u32_e32 vcc_lo, s49, v14
	s_wait_alu 0xfffd
	v_cndmask_b32_e64 v22, 0, -1, vcc_lo
	v_cmp_le_u32_e32 vcc_lo, s48, v10
	s_wait_alu 0xfffd
	v_cndmask_b32_e64 v10, 0, -1, vcc_lo
	;; [unrolled: 3-line block ×3, first 2 shown]
	v_cmp_eq_u32_e32 vcc_lo, s49, v14
	s_wait_alu 0xfffd
	v_cndmask_b32_e32 v14, v22, v17, vcc_lo
	v_add_co_u32 v17, vcc_lo, v12, 1
	s_wait_alu 0xfffd
	v_add_co_ci_u32_e64 v22, null, 0, v13, vcc_lo
	v_cmp_eq_u32_e32 vcc_lo, s49, v11
	s_wait_alu 0xfffd
	v_cndmask_b32_e32 v10, v23, v10, vcc_lo
	v_cmp_ne_u32_e32 vcc_lo, 0, v14
	s_wait_alu 0xfffd
	v_cndmask_b32_e32 v11, v22, v16, vcc_lo
	s_delay_alu instid0(VALU_DEP_3) | instskip(SKIP_2) | instid1(VALU_DEP_2)
	v_cmp_ne_u32_e64 s0, 0, v10
	v_cndmask_b32_e32 v10, v17, v15, vcc_lo
	s_wait_alu 0xf1ff
	v_cndmask_b32_e64 v11, v13, v11, s0
	s_delay_alu instid0(VALU_DEP_2) | instskip(NEXT) | instid1(VALU_DEP_2)
	v_cndmask_b32_e64 v10, v12, v10, s0
	v_xor_b32_e32 v11, v11, v3
	s_delay_alu instid0(VALU_DEP_2) | instskip(NEXT) | instid1(VALU_DEP_1)
	v_xor_b32_e32 v10, v10, v3
	v_sub_co_u32 v10, vcc_lo, v10, v3
	s_wait_alu 0xfffd
	s_delay_alu instid0(VALU_DEP_3)
	v_sub_co_ci_u32_e64 v11, null, v11, v3, vcc_lo
.LBB74_24:                              ;   in Loop: Header=BB74_22 Depth=2
	s_wait_alu 0xfffe
	s_and_not1_saveexec_b32 s0, s1
	s_cbranch_execz .LBB74_26
; %bb.25:                               ;   in Loop: Header=BB74_22 Depth=2
	v_cvt_f32_u32_e32 v3, s44
	s_sub_co_i32 s1, 0, s44
	s_delay_alu instid0(VALU_DEP_1) | instskip(NEXT) | instid1(TRANS32_DEP_1)
	v_rcp_iflag_f32_e32 v3, v3
	v_mul_f32_e32 v3, 0x4f7ffffe, v3
	s_delay_alu instid0(VALU_DEP_1) | instskip(SKIP_1) | instid1(VALU_DEP_1)
	v_cvt_u32_f32_e32 v3, v3
	s_wait_alu 0xfffe
	v_mul_lo_u32 v10, s1, v3
	s_delay_alu instid0(VALU_DEP_1) | instskip(NEXT) | instid1(VALU_DEP_1)
	v_mul_hi_u32 v10, v3, v10
	v_add_nc_u32_e32 v3, v3, v10
	s_delay_alu instid0(VALU_DEP_1) | instskip(NEXT) | instid1(VALU_DEP_1)
	v_mul_hi_u32 v3, v8, v3
	v_mul_lo_u32 v10, v3, s44
	v_add_nc_u32_e32 v11, 1, v3
	s_delay_alu instid0(VALU_DEP_2) | instskip(NEXT) | instid1(VALU_DEP_1)
	v_sub_nc_u32_e32 v10, v8, v10
	v_subrev_nc_u32_e32 v12, s44, v10
	v_cmp_le_u32_e32 vcc_lo, s44, v10
	s_wait_alu 0xfffd
	s_delay_alu instid0(VALU_DEP_2) | instskip(NEXT) | instid1(VALU_DEP_1)
	v_dual_cndmask_b32 v10, v10, v12 :: v_dual_cndmask_b32 v3, v3, v11
	v_cmp_le_u32_e32 vcc_lo, s44, v10
	s_delay_alu instid0(VALU_DEP_2) | instskip(SKIP_1) | instid1(VALU_DEP_1)
	v_add_nc_u32_e32 v11, 1, v3
	s_wait_alu 0xfffd
	v_dual_cndmask_b32 v10, v3, v11 :: v_dual_mov_b32 v11, v2
.LBB74_26:                              ;   in Loop: Header=BB74_22 Depth=2
	s_wait_alu 0xfffe
	s_or_b32 exec_lo, exec_lo, s0
	s_load_b64 s[48:49], s[40:41], 0x10
	s_load_b64 s[46:47], s[38:39], 0x18
                                        ; implicit-def: $vgpr12_vgpr13
	s_mov_b32 s0, exec_lo
	s_wait_kmcnt 0x0
	v_or_b32_e32 v3, s49, v11
	s_delay_alu instid0(VALU_DEP_1)
	v_cmpx_ne_u64_e32 0, v[2:3]
	s_wait_alu 0xfffe
	s_xor_b32 s1, exec_lo, s0
	s_cbranch_execz .LBB74_28
; %bb.27:                               ;   in Loop: Header=BB74_22 Depth=2
	s_ashr_i32 s50, s49, 31
	v_ashrrev_i32_e32 v3, 31, v11
	s_wait_alu 0xfffe
	s_mov_b32 s51, s50
	s_wait_alu 0xfffe
	s_add_nc_u64 s[52:53], s[48:49], s[50:51]
	v_add_co_u32 v12, vcc_lo, v10, v3
	s_wait_alu 0xfffe
	s_xor_b64 s[52:53], s[52:53], s[50:51]
	s_wait_alu 0xfffd
	v_add_co_ci_u32_e64 v13, null, v11, v3, vcc_lo
	s_wait_alu 0xfffe
	s_cvt_f32_u32 s0, s52
	s_cvt_f32_u32 s14, s53
	s_sub_nc_u64 s[56:57], 0, s[52:53]
	v_xor_b32_e32 v22, v12, v3
	v_xor_b32_e32 v23, v13, v3
	s_wait_alu 0xfffe
	s_fmamk_f32 s0, s14, 0x4f800000, s0
	v_xor_b32_e32 v3, s50, v3
	s_wait_alu 0xfffe
	s_delay_alu instid0(SALU_CYCLE_1) | instskip(NEXT) | instid1(TRANS32_DEP_1)
	v_s_rcp_f32 s0, s0
	s_mul_f32 s0, s0, 0x5f7ffffc
	s_wait_alu 0xfffe
	s_delay_alu instid0(SALU_CYCLE_2) | instskip(SKIP_1) | instid1(SALU_CYCLE_2)
	s_mul_f32 s14, s0, 0x2f800000
	s_wait_alu 0xfffe
	s_trunc_f32 s14, s14
	s_wait_alu 0xfffe
	s_delay_alu instid0(SALU_CYCLE_2) | instskip(SKIP_2) | instid1(SALU_CYCLE_1)
	s_fmamk_f32 s0, s14, 0xcf800000, s0
	s_cvt_u32_f32 s55, s14
	s_wait_alu 0xfffe
	s_cvt_u32_f32 s54, s0
	s_wait_alu 0xfffe
	s_delay_alu instid0(SALU_CYCLE_2)
	s_mul_u64 s[58:59], s[56:57], s[54:55]
	s_wait_alu 0xfffe
	s_mul_hi_u32 s61, s54, s59
	s_mul_i32 s60, s54, s59
	s_mul_hi_u32 s14, s54, s58
	s_mul_i32 s51, s55, s58
	s_wait_alu 0xfffe
	s_add_nc_u64 s[60:61], s[14:15], s[60:61]
	s_mul_hi_u32 s0, s55, s58
	s_mul_hi_u32 s66, s55, s59
	s_wait_alu 0xfffe
	s_add_co_u32 s14, s60, s51
	s_add_co_ci_u32 s14, s61, s0
	s_mul_i32 s58, s55, s59
	s_add_co_ci_u32 s59, s66, 0
	s_wait_alu 0xfffe
	s_add_nc_u64 s[58:59], s[14:15], s[58:59]
	s_wait_alu 0xfffe
	s_add_co_u32 s54, s54, s58
	s_cselect_b32 s0, -1, 0
	s_wait_alu 0xfffe
	s_cmp_lg_u32 s0, 0
	s_add_co_ci_u32 s55, s55, s59
	s_wait_alu 0xfffe
	s_mul_u64 s[56:57], s[56:57], s[54:55]
	s_wait_alu 0xfffe
	s_mul_hi_u32 s59, s54, s57
	s_mul_i32 s58, s54, s57
	s_mul_hi_u32 s14, s54, s56
	s_mul_i32 s51, s55, s56
	s_wait_alu 0xfffe
	s_add_nc_u64 s[58:59], s[14:15], s[58:59]
	s_mul_hi_u32 s0, s55, s56
	s_mul_hi_u32 s60, s55, s57
	s_wait_alu 0xfffe
	s_add_co_u32 s14, s58, s51
	s_add_co_ci_u32 s14, s59, s0
	s_mul_i32 s56, s55, s57
	s_add_co_ci_u32 s57, s60, 0
	s_wait_alu 0xfffe
	s_add_nc_u64 s[56:57], s[14:15], s[56:57]
	s_wait_alu 0xfffe
	s_add_co_u32 s0, s54, s56
	s_cselect_b32 s14, -1, 0
	s_wait_alu 0xfffe
	v_mul_hi_u32 v24, v22, s0
	s_cmp_lg_u32 s14, 0
	v_mad_co_u64_u32 v[14:15], null, v23, s0, 0
	s_add_co_ci_u32 s14, s55, s57
	s_wait_alu 0xfffe
	v_mad_co_u64_u32 v[12:13], null, v22, s14, 0
	v_mad_co_u64_u32 v[16:17], null, v23, s14, 0
	s_delay_alu instid0(VALU_DEP_2) | instskip(SKIP_1) | instid1(VALU_DEP_3)
	v_add_co_u32 v12, vcc_lo, v24, v12
	s_wait_alu 0xfffd
	v_add_co_ci_u32_e64 v13, null, 0, v13, vcc_lo
	s_delay_alu instid0(VALU_DEP_2) | instskip(SKIP_1) | instid1(VALU_DEP_2)
	v_add_co_u32 v12, vcc_lo, v12, v14
	s_wait_alu 0xfffd
	v_add_co_ci_u32_e32 v12, vcc_lo, v13, v15, vcc_lo
	s_wait_alu 0xfffd
	v_add_co_ci_u32_e32 v13, vcc_lo, 0, v17, vcc_lo
	s_delay_alu instid0(VALU_DEP_2) | instskip(SKIP_1) | instid1(VALU_DEP_2)
	v_add_co_u32 v14, vcc_lo, v12, v16
	s_wait_alu 0xfffd
	v_add_co_ci_u32_e64 v15, null, 0, v13, vcc_lo
	s_delay_alu instid0(VALU_DEP_2) | instskip(SKIP_1) | instid1(VALU_DEP_3)
	v_mul_lo_u32 v16, s53, v14
	v_mad_co_u64_u32 v[12:13], null, s52, v14, 0
	v_mul_lo_u32 v17, s52, v15
	s_delay_alu instid0(VALU_DEP_2) | instskip(NEXT) | instid1(VALU_DEP_2)
	v_sub_co_u32 v12, vcc_lo, v22, v12
	v_add3_u32 v13, v13, v17, v16
	v_add_co_u32 v17, s0, v14, 2
	s_wait_alu 0xf1ff
	v_add_co_ci_u32_e64 v22, null, 0, v15, s0
	s_delay_alu instid0(VALU_DEP_3) | instskip(SKIP_3) | instid1(VALU_DEP_3)
	v_sub_nc_u32_e32 v16, v23, v13
	v_sub_co_u32 v24, s0, v12, s52
	s_wait_alu 0xfffd
	v_sub_co_ci_u32_e64 v13, null, v23, v13, vcc_lo
	v_subrev_co_ci_u32_e64 v16, null, s53, v16, vcc_lo
	s_delay_alu instid0(VALU_DEP_3) | instskip(SKIP_1) | instid1(VALU_DEP_2)
	v_cmp_le_u32_e32 vcc_lo, s52, v24
	s_wait_alu 0xf1ff
	v_subrev_co_ci_u32_e64 v16, null, 0, v16, s0
	s_wait_alu 0xfffd
	v_cndmask_b32_e64 v23, 0, -1, vcc_lo
	s_delay_alu instid0(VALU_DEP_2)
	v_cmp_le_u32_e32 vcc_lo, s53, v16
	s_wait_alu 0xfffd
	v_cndmask_b32_e64 v24, 0, -1, vcc_lo
	v_cmp_le_u32_e32 vcc_lo, s52, v12
	s_wait_alu 0xfffd
	v_cndmask_b32_e64 v12, 0, -1, vcc_lo
	;; [unrolled: 3-line block ×3, first 2 shown]
	v_cmp_eq_u32_e32 vcc_lo, s53, v16
	s_wait_alu 0xfffd
	v_cndmask_b32_e32 v16, v24, v23, vcc_lo
	v_add_co_u32 v23, vcc_lo, v14, 1
	s_wait_alu 0xfffd
	v_add_co_ci_u32_e64 v24, null, 0, v15, vcc_lo
	v_cmp_eq_u32_e32 vcc_lo, s53, v13
	s_wait_alu 0xfffd
	v_cndmask_b32_e32 v12, v25, v12, vcc_lo
	v_cmp_ne_u32_e32 vcc_lo, 0, v16
	s_wait_alu 0xfffd
	v_cndmask_b32_e32 v13, v24, v22, vcc_lo
	s_delay_alu instid0(VALU_DEP_3) | instskip(SKIP_2) | instid1(VALU_DEP_2)
	v_cmp_ne_u32_e64 s0, 0, v12
	v_cndmask_b32_e32 v12, v23, v17, vcc_lo
	s_wait_alu 0xf1ff
	v_cndmask_b32_e64 v13, v15, v13, s0
	s_delay_alu instid0(VALU_DEP_2) | instskip(NEXT) | instid1(VALU_DEP_2)
	v_cndmask_b32_e64 v12, v14, v12, s0
	v_xor_b32_e32 v13, v13, v3
	s_delay_alu instid0(VALU_DEP_2) | instskip(NEXT) | instid1(VALU_DEP_1)
	v_xor_b32_e32 v12, v12, v3
	v_sub_co_u32 v12, vcc_lo, v12, v3
	s_wait_alu 0xfffd
	s_delay_alu instid0(VALU_DEP_3)
	v_sub_co_ci_u32_e64 v13, null, v13, v3, vcc_lo
.LBB74_28:                              ;   in Loop: Header=BB74_22 Depth=2
	s_wait_alu 0xfffe
	s_and_not1_saveexec_b32 s0, s1
	s_cbranch_execz .LBB74_30
; %bb.29:                               ;   in Loop: Header=BB74_22 Depth=2
	v_cvt_f32_u32_e32 v3, s48
	s_sub_co_i32 s1, 0, s48
	s_delay_alu instid0(VALU_DEP_1) | instskip(NEXT) | instid1(TRANS32_DEP_1)
	v_rcp_iflag_f32_e32 v3, v3
	v_mul_f32_e32 v3, 0x4f7ffffe, v3
	s_delay_alu instid0(VALU_DEP_1) | instskip(SKIP_1) | instid1(VALU_DEP_1)
	v_cvt_u32_f32_e32 v3, v3
	s_wait_alu 0xfffe
	v_mul_lo_u32 v12, s1, v3
	s_delay_alu instid0(VALU_DEP_1) | instskip(NEXT) | instid1(VALU_DEP_1)
	v_mul_hi_u32 v12, v3, v12
	v_add_nc_u32_e32 v3, v3, v12
	s_delay_alu instid0(VALU_DEP_1) | instskip(NEXT) | instid1(VALU_DEP_1)
	v_mul_hi_u32 v3, v10, v3
	v_mul_lo_u32 v12, v3, s48
	v_add_nc_u32_e32 v13, 1, v3
	s_delay_alu instid0(VALU_DEP_2) | instskip(NEXT) | instid1(VALU_DEP_1)
	v_sub_nc_u32_e32 v12, v10, v12
	v_subrev_nc_u32_e32 v14, s48, v12
	v_cmp_le_u32_e32 vcc_lo, s48, v12
	s_wait_alu 0xfffd
	s_delay_alu instid0(VALU_DEP_2) | instskip(NEXT) | instid1(VALU_DEP_1)
	v_dual_cndmask_b32 v12, v12, v14 :: v_dual_cndmask_b32 v3, v3, v13
	v_cmp_le_u32_e32 vcc_lo, s48, v12
	s_delay_alu instid0(VALU_DEP_2) | instskip(SKIP_1) | instid1(VALU_DEP_1)
	v_add_nc_u32_e32 v13, 1, v3
	s_wait_alu 0xfffd
	v_dual_cndmask_b32 v12, v3, v13 :: v_dual_mov_b32 v13, v2
.LBB74_30:                              ;   in Loop: Header=BB74_22 Depth=2
	s_wait_alu 0xfffe
	s_or_b32 exec_lo, exec_lo, s0
	s_load_b64 s[52:53], s[40:41], 0x8
	s_load_b64 s[50:51], s[38:39], 0x10
                                        ; implicit-def: $vgpr14_vgpr15
	s_mov_b32 s0, exec_lo
	s_wait_kmcnt 0x0
	v_or_b32_e32 v3, s53, v13
	s_delay_alu instid0(VALU_DEP_1)
	v_cmpx_ne_u64_e32 0, v[2:3]
	s_wait_alu 0xfffe
	s_xor_b32 s1, exec_lo, s0
	s_cbranch_execz .LBB74_32
; %bb.31:                               ;   in Loop: Header=BB74_22 Depth=2
	s_ashr_i32 s54, s53, 31
	v_ashrrev_i32_e32 v3, 31, v13
	s_wait_alu 0xfffe
	s_mov_b32 s55, s54
	s_wait_alu 0xfffe
	s_add_nc_u64 s[56:57], s[52:53], s[54:55]
	v_add_co_u32 v14, vcc_lo, v12, v3
	s_wait_alu 0xfffe
	s_xor_b64 s[56:57], s[56:57], s[54:55]
	s_wait_alu 0xfffd
	v_add_co_ci_u32_e64 v15, null, v13, v3, vcc_lo
	s_wait_alu 0xfffe
	s_cvt_f32_u32 s0, s56
	s_cvt_f32_u32 s14, s57
	s_sub_nc_u64 s[60:61], 0, s[56:57]
	v_xor_b32_e32 v24, v14, v3
	v_xor_b32_e32 v25, v15, v3
	s_wait_alu 0xfffe
	s_fmamk_f32 s0, s14, 0x4f800000, s0
	v_xor_b32_e32 v3, s54, v3
	s_wait_alu 0xfffe
	s_delay_alu instid0(SALU_CYCLE_1) | instskip(NEXT) | instid1(TRANS32_DEP_1)
	v_s_rcp_f32 s0, s0
	s_mul_f32 s0, s0, 0x5f7ffffc
	s_wait_alu 0xfffe
	s_delay_alu instid0(SALU_CYCLE_2) | instskip(SKIP_1) | instid1(SALU_CYCLE_2)
	s_mul_f32 s14, s0, 0x2f800000
	s_wait_alu 0xfffe
	s_trunc_f32 s14, s14
	s_wait_alu 0xfffe
	s_delay_alu instid0(SALU_CYCLE_2) | instskip(SKIP_2) | instid1(SALU_CYCLE_1)
	s_fmamk_f32 s0, s14, 0xcf800000, s0
	s_cvt_u32_f32 s59, s14
	s_wait_alu 0xfffe
	s_cvt_u32_f32 s58, s0
	s_wait_alu 0xfffe
	s_delay_alu instid0(SALU_CYCLE_2) | instskip(NEXT) | instid1(SALU_CYCLE_1)
	s_mul_u64 s[66:67], s[60:61], s[58:59]
	s_mul_hi_u32 s69, s58, s67
	s_mul_i32 s68, s58, s67
	s_mul_hi_u32 s14, s58, s66
	s_mul_i32 s55, s59, s66
	s_wait_alu 0xfffe
	s_add_nc_u64 s[68:69], s[14:15], s[68:69]
	s_mul_hi_u32 s0, s59, s66
	s_mul_hi_u32 s70, s59, s67
	s_add_co_u32 s14, s68, s55
	s_wait_alu 0xfffe
	s_add_co_ci_u32 s14, s69, s0
	s_mul_i32 s66, s59, s67
	s_add_co_ci_u32 s67, s70, 0
	s_wait_alu 0xfffe
	s_add_nc_u64 s[66:67], s[14:15], s[66:67]
	s_delay_alu instid0(SALU_CYCLE_1)
	s_add_co_u32 s58, s58, s66
	s_cselect_b32 s0, -1, 0
	s_wait_alu 0xfffe
	s_cmp_lg_u32 s0, 0
	s_add_co_ci_u32 s59, s59, s67
	s_wait_alu 0xfffe
	s_mul_u64 s[60:61], s[60:61], s[58:59]
	s_wait_alu 0xfffe
	s_mul_hi_u32 s67, s58, s61
	s_mul_i32 s66, s58, s61
	s_mul_hi_u32 s14, s58, s60
	s_mul_i32 s55, s59, s60
	s_wait_alu 0xfffe
	s_add_nc_u64 s[66:67], s[14:15], s[66:67]
	s_mul_hi_u32 s0, s59, s60
	s_mul_hi_u32 s68, s59, s61
	s_add_co_u32 s14, s66, s55
	s_wait_alu 0xfffe
	s_add_co_ci_u32 s14, s67, s0
	s_mul_i32 s60, s59, s61
	s_add_co_ci_u32 s61, s68, 0
	s_wait_alu 0xfffe
	s_add_nc_u64 s[60:61], s[14:15], s[60:61]
	s_wait_alu 0xfffe
	s_add_co_u32 s0, s58, s60
	s_cselect_b32 s14, -1, 0
	s_wait_alu 0xfffe
	v_mul_hi_u32 v26, v24, s0
	s_cmp_lg_u32 s14, 0
	v_mad_co_u64_u32 v[16:17], null, v25, s0, 0
	s_add_co_ci_u32 s14, s59, s61
	s_wait_alu 0xfffe
	v_mad_co_u64_u32 v[14:15], null, v24, s14, 0
	v_mad_co_u64_u32 v[22:23], null, v25, s14, 0
	s_delay_alu instid0(VALU_DEP_2) | instskip(SKIP_1) | instid1(VALU_DEP_3)
	v_add_co_u32 v14, vcc_lo, v26, v14
	s_wait_alu 0xfffd
	v_add_co_ci_u32_e64 v15, null, 0, v15, vcc_lo
	s_delay_alu instid0(VALU_DEP_2) | instskip(SKIP_1) | instid1(VALU_DEP_2)
	v_add_co_u32 v14, vcc_lo, v14, v16
	s_wait_alu 0xfffd
	v_add_co_ci_u32_e32 v14, vcc_lo, v15, v17, vcc_lo
	s_wait_alu 0xfffd
	v_add_co_ci_u32_e32 v15, vcc_lo, 0, v23, vcc_lo
	s_delay_alu instid0(VALU_DEP_2) | instskip(SKIP_1) | instid1(VALU_DEP_2)
	v_add_co_u32 v16, vcc_lo, v14, v22
	s_wait_alu 0xfffd
	v_add_co_ci_u32_e64 v17, null, 0, v15, vcc_lo
	s_delay_alu instid0(VALU_DEP_2) | instskip(SKIP_1) | instid1(VALU_DEP_3)
	v_mul_lo_u32 v22, s57, v16
	v_mad_co_u64_u32 v[14:15], null, s56, v16, 0
	v_mul_lo_u32 v23, s56, v17
	s_delay_alu instid0(VALU_DEP_2) | instskip(NEXT) | instid1(VALU_DEP_2)
	v_sub_co_u32 v14, vcc_lo, v24, v14
	v_add3_u32 v15, v15, v23, v22
	v_add_co_u32 v23, s0, v16, 2
	s_wait_alu 0xf1ff
	v_add_co_ci_u32_e64 v24, null, 0, v17, s0
	s_delay_alu instid0(VALU_DEP_3) | instskip(SKIP_3) | instid1(VALU_DEP_3)
	v_sub_nc_u32_e32 v22, v25, v15
	v_sub_co_u32 v26, s0, v14, s56
	s_wait_alu 0xfffd
	v_sub_co_ci_u32_e64 v15, null, v25, v15, vcc_lo
	v_subrev_co_ci_u32_e64 v22, null, s57, v22, vcc_lo
	s_delay_alu instid0(VALU_DEP_3) | instskip(SKIP_1) | instid1(VALU_DEP_2)
	v_cmp_le_u32_e32 vcc_lo, s56, v26
	s_wait_alu 0xf1ff
	v_subrev_co_ci_u32_e64 v22, null, 0, v22, s0
	s_wait_alu 0xfffd
	v_cndmask_b32_e64 v25, 0, -1, vcc_lo
	s_delay_alu instid0(VALU_DEP_2)
	v_cmp_le_u32_e32 vcc_lo, s57, v22
	s_wait_alu 0xfffd
	v_cndmask_b32_e64 v26, 0, -1, vcc_lo
	v_cmp_le_u32_e32 vcc_lo, s56, v14
	s_wait_alu 0xfffd
	v_cndmask_b32_e64 v14, 0, -1, vcc_lo
	;; [unrolled: 3-line block ×3, first 2 shown]
	v_cmp_eq_u32_e32 vcc_lo, s57, v22
	s_wait_alu 0xfffd
	v_cndmask_b32_e32 v22, v26, v25, vcc_lo
	v_add_co_u32 v25, vcc_lo, v16, 1
	s_wait_alu 0xfffd
	v_add_co_ci_u32_e64 v26, null, 0, v17, vcc_lo
	v_cmp_eq_u32_e32 vcc_lo, s57, v15
	s_wait_alu 0xfffd
	v_cndmask_b32_e32 v14, v27, v14, vcc_lo
	v_cmp_ne_u32_e32 vcc_lo, 0, v22
	s_wait_alu 0xfffd
	v_cndmask_b32_e32 v15, v26, v24, vcc_lo
	s_delay_alu instid0(VALU_DEP_3) | instskip(SKIP_2) | instid1(VALU_DEP_2)
	v_cmp_ne_u32_e64 s0, 0, v14
	v_cndmask_b32_e32 v14, v25, v23, vcc_lo
	s_wait_alu 0xf1ff
	v_cndmask_b32_e64 v15, v17, v15, s0
	s_delay_alu instid0(VALU_DEP_2) | instskip(NEXT) | instid1(VALU_DEP_2)
	v_cndmask_b32_e64 v14, v16, v14, s0
	v_xor_b32_e32 v15, v15, v3
	s_delay_alu instid0(VALU_DEP_2) | instskip(NEXT) | instid1(VALU_DEP_1)
	v_xor_b32_e32 v14, v14, v3
	v_sub_co_u32 v14, vcc_lo, v14, v3
	s_wait_alu 0xfffd
	s_delay_alu instid0(VALU_DEP_3)
	v_sub_co_ci_u32_e64 v15, null, v15, v3, vcc_lo
.LBB74_32:                              ;   in Loop: Header=BB74_22 Depth=2
	s_wait_alu 0xfffe
	s_and_not1_saveexec_b32 s0, s1
	s_cbranch_execz .LBB74_34
; %bb.33:                               ;   in Loop: Header=BB74_22 Depth=2
	v_cvt_f32_u32_e32 v3, s52
	s_sub_co_i32 s1, 0, s52
	s_delay_alu instid0(VALU_DEP_1) | instskip(NEXT) | instid1(TRANS32_DEP_1)
	v_rcp_iflag_f32_e32 v3, v3
	v_mul_f32_e32 v3, 0x4f7ffffe, v3
	s_delay_alu instid0(VALU_DEP_1) | instskip(SKIP_1) | instid1(VALU_DEP_1)
	v_cvt_u32_f32_e32 v3, v3
	s_wait_alu 0xfffe
	v_mul_lo_u32 v14, s1, v3
	s_delay_alu instid0(VALU_DEP_1) | instskip(NEXT) | instid1(VALU_DEP_1)
	v_mul_hi_u32 v14, v3, v14
	v_add_nc_u32_e32 v3, v3, v14
	s_delay_alu instid0(VALU_DEP_1) | instskip(NEXT) | instid1(VALU_DEP_1)
	v_mul_hi_u32 v3, v12, v3
	v_mul_lo_u32 v14, v3, s52
	v_add_nc_u32_e32 v15, 1, v3
	s_delay_alu instid0(VALU_DEP_2) | instskip(NEXT) | instid1(VALU_DEP_1)
	v_sub_nc_u32_e32 v14, v12, v14
	v_subrev_nc_u32_e32 v16, s52, v14
	v_cmp_le_u32_e32 vcc_lo, s52, v14
	s_wait_alu 0xfffd
	s_delay_alu instid0(VALU_DEP_2) | instskip(NEXT) | instid1(VALU_DEP_1)
	v_dual_cndmask_b32 v14, v14, v16 :: v_dual_cndmask_b32 v3, v3, v15
	v_cmp_le_u32_e32 vcc_lo, s52, v14
	s_delay_alu instid0(VALU_DEP_2) | instskip(SKIP_1) | instid1(VALU_DEP_1)
	v_add_nc_u32_e32 v15, 1, v3
	s_wait_alu 0xfffd
	v_dual_cndmask_b32 v14, v3, v15 :: v_dual_mov_b32 v15, v2
.LBB74_34:                              ;   in Loop: Header=BB74_22 Depth=2
	s_wait_alu 0xfffe
	s_or_b32 exec_lo, exec_lo, s0
	s_load_b64 s[56:57], s[40:41], 0x0
	s_load_b64 s[54:55], s[38:39], 0x8
                                        ; implicit-def: $vgpr16_vgpr17
	s_mov_b32 s0, exec_lo
	s_wait_kmcnt 0x0
	v_or_b32_e32 v3, s57, v15
	s_delay_alu instid0(VALU_DEP_1)
	v_cmpx_ne_u64_e32 0, v[2:3]
	s_wait_alu 0xfffe
	s_xor_b32 s1, exec_lo, s0
	s_cbranch_execz .LBB74_36
; %bb.35:                               ;   in Loop: Header=BB74_22 Depth=2
	s_ashr_i32 s58, s57, 31
	v_ashrrev_i32_e32 v3, 31, v15
	s_wait_alu 0xfffe
	s_mov_b32 s59, s58
	s_wait_alu 0xfffe
	s_add_nc_u64 s[60:61], s[56:57], s[58:59]
	v_add_co_u32 v16, vcc_lo, v14, v3
	s_wait_alu 0xfffe
	s_xor_b64 s[60:61], s[60:61], s[58:59]
	s_wait_alu 0xfffd
	v_add_co_ci_u32_e64 v17, null, v15, v3, vcc_lo
	s_wait_alu 0xfffe
	s_cvt_f32_u32 s0, s60
	s_cvt_f32_u32 s14, s61
	s_sub_nc_u64 s[68:69], 0, s[60:61]
	v_xor_b32_e32 v26, v16, v3
	v_xor_b32_e32 v27, v17, v3
	s_wait_alu 0xfffe
	s_fmamk_f32 s0, s14, 0x4f800000, s0
	v_xor_b32_e32 v3, s58, v3
	s_wait_alu 0xfffe
	s_delay_alu instid0(SALU_CYCLE_1) | instskip(NEXT) | instid1(TRANS32_DEP_1)
	v_s_rcp_f32 s0, s0
	s_mul_f32 s0, s0, 0x5f7ffffc
	s_wait_alu 0xfffe
	s_delay_alu instid0(SALU_CYCLE_2) | instskip(SKIP_1) | instid1(SALU_CYCLE_2)
	s_mul_f32 s14, s0, 0x2f800000
	s_wait_alu 0xfffe
	s_trunc_f32 s14, s14
	s_wait_alu 0xfffe
	s_delay_alu instid0(SALU_CYCLE_2) | instskip(SKIP_2) | instid1(SALU_CYCLE_1)
	s_fmamk_f32 s0, s14, 0xcf800000, s0
	s_cvt_u32_f32 s67, s14
	s_wait_alu 0xfffe
	s_cvt_u32_f32 s66, s0
	s_delay_alu instid0(SALU_CYCLE_3) | instskip(NEXT) | instid1(SALU_CYCLE_1)
	s_mul_u64 s[70:71], s[68:69], s[66:67]
	s_mul_hi_u32 s73, s66, s71
	s_mul_i32 s72, s66, s71
	s_mul_hi_u32 s14, s66, s70
	s_mul_i32 s59, s67, s70
	s_wait_alu 0xfffe
	s_add_nc_u64 s[72:73], s[14:15], s[72:73]
	s_mul_hi_u32 s0, s67, s70
	s_mul_hi_u32 s74, s67, s71
	s_add_co_u32 s14, s72, s59
	s_wait_alu 0xfffe
	s_add_co_ci_u32 s14, s73, s0
	s_mul_i32 s70, s67, s71
	s_add_co_ci_u32 s71, s74, 0
	s_wait_alu 0xfffe
	s_add_nc_u64 s[70:71], s[14:15], s[70:71]
	s_delay_alu instid0(SALU_CYCLE_1) | instskip(SKIP_4) | instid1(SALU_CYCLE_1)
	s_add_co_u32 s66, s66, s70
	s_cselect_b32 s0, -1, 0
	s_wait_alu 0xfffe
	s_cmp_lg_u32 s0, 0
	s_add_co_ci_u32 s67, s67, s71
	s_mul_u64 s[68:69], s[68:69], s[66:67]
	s_delay_alu instid0(SALU_CYCLE_1)
	s_mul_hi_u32 s71, s66, s69
	s_mul_i32 s70, s66, s69
	s_mul_hi_u32 s14, s66, s68
	s_mul_i32 s59, s67, s68
	s_wait_alu 0xfffe
	s_add_nc_u64 s[70:71], s[14:15], s[70:71]
	s_mul_hi_u32 s0, s67, s68
	s_mul_hi_u32 s72, s67, s69
	s_add_co_u32 s14, s70, s59
	s_wait_alu 0xfffe
	s_add_co_ci_u32 s14, s71, s0
	s_mul_i32 s68, s67, s69
	s_add_co_ci_u32 s69, s72, 0
	s_wait_alu 0xfffe
	s_add_nc_u64 s[68:69], s[14:15], s[68:69]
	s_delay_alu instid0(SALU_CYCLE_1)
	s_add_co_u32 s0, s66, s68
	s_cselect_b32 s14, -1, 0
	s_wait_alu 0xfffe
	v_mul_hi_u32 v28, v26, s0
	s_cmp_lg_u32 s14, 0
	v_mad_co_u64_u32 v[22:23], null, v27, s0, 0
	s_add_co_ci_u32 s14, s67, s69
	s_wait_alu 0xfffe
	v_mad_co_u64_u32 v[16:17], null, v26, s14, 0
	v_mad_co_u64_u32 v[24:25], null, v27, s14, 0
	s_delay_alu instid0(VALU_DEP_2) | instskip(SKIP_1) | instid1(VALU_DEP_3)
	v_add_co_u32 v16, vcc_lo, v28, v16
	s_wait_alu 0xfffd
	v_add_co_ci_u32_e64 v17, null, 0, v17, vcc_lo
	s_delay_alu instid0(VALU_DEP_2) | instskip(SKIP_1) | instid1(VALU_DEP_2)
	v_add_co_u32 v16, vcc_lo, v16, v22
	s_wait_alu 0xfffd
	v_add_co_ci_u32_e32 v16, vcc_lo, v17, v23, vcc_lo
	s_wait_alu 0xfffd
	v_add_co_ci_u32_e32 v17, vcc_lo, 0, v25, vcc_lo
	s_delay_alu instid0(VALU_DEP_2) | instskip(SKIP_1) | instid1(VALU_DEP_2)
	v_add_co_u32 v22, vcc_lo, v16, v24
	s_wait_alu 0xfffd
	v_add_co_ci_u32_e64 v23, null, 0, v17, vcc_lo
	s_delay_alu instid0(VALU_DEP_2) | instskip(SKIP_1) | instid1(VALU_DEP_3)
	v_mul_lo_u32 v24, s61, v22
	v_mad_co_u64_u32 v[16:17], null, s60, v22, 0
	v_mul_lo_u32 v25, s60, v23
	s_delay_alu instid0(VALU_DEP_2) | instskip(NEXT) | instid1(VALU_DEP_2)
	v_sub_co_u32 v16, vcc_lo, v26, v16
	v_add3_u32 v17, v17, v25, v24
	v_add_co_u32 v25, s0, v22, 2
	s_wait_alu 0xf1ff
	v_add_co_ci_u32_e64 v26, null, 0, v23, s0
	s_delay_alu instid0(VALU_DEP_3) | instskip(SKIP_3) | instid1(VALU_DEP_3)
	v_sub_nc_u32_e32 v24, v27, v17
	v_sub_co_u32 v28, s0, v16, s60
	s_wait_alu 0xfffd
	v_sub_co_ci_u32_e64 v17, null, v27, v17, vcc_lo
	v_subrev_co_ci_u32_e64 v24, null, s61, v24, vcc_lo
	s_delay_alu instid0(VALU_DEP_3) | instskip(SKIP_1) | instid1(VALU_DEP_2)
	v_cmp_le_u32_e32 vcc_lo, s60, v28
	s_wait_alu 0xf1ff
	v_subrev_co_ci_u32_e64 v24, null, 0, v24, s0
	s_wait_alu 0xfffd
	v_cndmask_b32_e64 v27, 0, -1, vcc_lo
	s_delay_alu instid0(VALU_DEP_2)
	v_cmp_le_u32_e32 vcc_lo, s61, v24
	s_wait_alu 0xfffd
	v_cndmask_b32_e64 v28, 0, -1, vcc_lo
	v_cmp_le_u32_e32 vcc_lo, s60, v16
	s_wait_alu 0xfffd
	v_cndmask_b32_e64 v16, 0, -1, vcc_lo
	v_cmp_le_u32_e32 vcc_lo, s61, v17
	s_wait_alu 0xfffd
	v_cndmask_b32_e64 v29, 0, -1, vcc_lo
	v_cmp_eq_u32_e32 vcc_lo, s61, v24
	s_wait_alu 0xfffd
	v_cndmask_b32_e32 v24, v28, v27, vcc_lo
	v_add_co_u32 v27, vcc_lo, v22, 1
	s_wait_alu 0xfffd
	v_add_co_ci_u32_e64 v28, null, 0, v23, vcc_lo
	v_cmp_eq_u32_e32 vcc_lo, s61, v17
	s_wait_alu 0xfffd
	v_cndmask_b32_e32 v16, v29, v16, vcc_lo
	v_cmp_ne_u32_e32 vcc_lo, 0, v24
	s_wait_alu 0xfffd
	v_cndmask_b32_e32 v17, v28, v26, vcc_lo
	s_delay_alu instid0(VALU_DEP_3) | instskip(SKIP_2) | instid1(VALU_DEP_2)
	v_cmp_ne_u32_e64 s0, 0, v16
	v_cndmask_b32_e32 v16, v27, v25, vcc_lo
	s_wait_alu 0xf1ff
	v_cndmask_b32_e64 v17, v23, v17, s0
	s_delay_alu instid0(VALU_DEP_2) | instskip(NEXT) | instid1(VALU_DEP_2)
	v_cndmask_b32_e64 v16, v22, v16, s0
	v_xor_b32_e32 v17, v17, v3
	s_delay_alu instid0(VALU_DEP_2) | instskip(NEXT) | instid1(VALU_DEP_1)
	v_xor_b32_e32 v16, v16, v3
	v_sub_co_u32 v16, vcc_lo, v16, v3
	s_wait_alu 0xfffd
	s_delay_alu instid0(VALU_DEP_3)
	v_sub_co_ci_u32_e64 v17, null, v17, v3, vcc_lo
.LBB74_36:                              ;   in Loop: Header=BB74_22 Depth=2
	s_wait_alu 0xfffe
	s_and_not1_saveexec_b32 s0, s1
	s_cbranch_execz .LBB74_21
; %bb.37:                               ;   in Loop: Header=BB74_22 Depth=2
	v_cvt_f32_u32_e32 v3, s56
	s_sub_co_i32 s1, 0, s56
	s_delay_alu instid0(VALU_DEP_1) | instskip(NEXT) | instid1(TRANS32_DEP_1)
	v_rcp_iflag_f32_e32 v3, v3
	v_mul_f32_e32 v3, 0x4f7ffffe, v3
	s_delay_alu instid0(VALU_DEP_1) | instskip(SKIP_1) | instid1(VALU_DEP_1)
	v_cvt_u32_f32_e32 v3, v3
	s_wait_alu 0xfffe
	v_mul_lo_u32 v16, s1, v3
	s_delay_alu instid0(VALU_DEP_1) | instskip(NEXT) | instid1(VALU_DEP_1)
	v_mul_hi_u32 v16, v3, v16
	v_add_nc_u32_e32 v3, v3, v16
	s_delay_alu instid0(VALU_DEP_1) | instskip(NEXT) | instid1(VALU_DEP_1)
	v_mul_hi_u32 v3, v14, v3
	v_mul_lo_u32 v16, v3, s56
	v_add_nc_u32_e32 v17, 1, v3
	s_delay_alu instid0(VALU_DEP_2) | instskip(NEXT) | instid1(VALU_DEP_1)
	v_sub_nc_u32_e32 v16, v14, v16
	v_subrev_nc_u32_e32 v22, s56, v16
	v_cmp_le_u32_e32 vcc_lo, s56, v16
	s_wait_alu 0xfffd
	s_delay_alu instid0(VALU_DEP_2) | instskip(NEXT) | instid1(VALU_DEP_1)
	v_dual_cndmask_b32 v16, v16, v22 :: v_dual_cndmask_b32 v3, v3, v17
	v_cmp_le_u32_e32 vcc_lo, s56, v16
	s_delay_alu instid0(VALU_DEP_2) | instskip(SKIP_1) | instid1(VALU_DEP_1)
	v_add_nc_u32_e32 v17, 1, v3
	s_wait_alu 0xfffd
	v_dual_cndmask_b32 v16, v3, v17 :: v_dual_mov_b32 v17, v2
	s_branch .LBB74_21
.LBB74_38:                              ;   in Loop: Header=BB74_3 Depth=1
	s_load_b64 s[0:1], s[24:25], 0x0
	s_wait_kmcnt 0x0
	v_cmp_gt_i64_e32 vcc_lo, s[0:1], v[4:5]
	s_and_b32 exec_lo, exec_lo, vcc_lo
	s_cbranch_execz .LBB74_2
; %bb.39:                               ;   in Loop: Header=BB74_3 Depth=1
	v_add_co_u32 v3, vcc_lo, v4, 1
	s_wait_alu 0xfffd
	v_add_co_ci_u32_e64 v4, null, 0, v5, vcc_lo
	v_lshlrev_b64_e32 v[5:6], 3, v[6:7]
	s_delay_alu instid0(VALU_DEP_3) | instskip(SKIP_1) | instid1(VALU_DEP_3)
	v_sub_co_u32 v8, vcc_lo, v3, v20
	s_wait_alu 0xfffd
	v_sub_co_ci_u32_e64 v9, null, v4, v21, vcc_lo
	v_cmp_gt_i64_e32 vcc_lo, s[0:1], v[3:4]
	s_delay_alu instid0(VALU_DEP_4) | instskip(NEXT) | instid1(VALU_DEP_3)
	v_add_co_u32 v4, s1, s10, v5
	v_cmp_gt_i64_e64 s0, s[4:5], v[8:9]
	s_wait_alu 0xf1ff
	v_add_co_ci_u32_e64 v5, null, s11, v6, s1
	v_mov_b32_e32 v3, v2
	s_delay_alu instid0(VALU_DEP_3)
	s_and_b32 s0, vcc_lo, s0
	global_store_b64 v[4:5], v[2:3], off
	s_wait_alu 0xfffe
	s_and_b32 exec_lo, exec_lo, s0
	s_cbranch_execz .LBB74_2
; %bb.40:                               ;   in Loop: Header=BB74_3 Depth=1
	s_lshl_b64 s[0:1], s[2:3], 3
	s_wait_alu 0xfffe
	v_add_co_u32 v4, vcc_lo, v4, s0
	s_wait_alu 0xfffd
	v_add_co_ci_u32_e64 v5, null, s1, v5, vcc_lo
	global_store_b64 v[4:5], v[2:3], off
	s_branch .LBB74_2
.LBB74_41:
	s_endpgm
	.section	.rodata,"a",@progbits
	.p2align	6, 0x0
	.amdhsa_kernel _ZN2at6native16triu_tril_kernelIdlLb1ELi2ELb1EEEvNS_4cuda6detail10TensorInfoIT_T0_EENS4_IKS5_S6_EEllS6_
		.amdhsa_group_segment_fixed_size 0
		.amdhsa_private_segment_fixed_size 0
		.amdhsa_kernarg_size 1112
		.amdhsa_user_sgpr_count 2
		.amdhsa_user_sgpr_dispatch_ptr 0
		.amdhsa_user_sgpr_queue_ptr 0
		.amdhsa_user_sgpr_kernarg_segment_ptr 1
		.amdhsa_user_sgpr_dispatch_id 0
		.amdhsa_user_sgpr_private_segment_size 0
		.amdhsa_wavefront_size32 1
		.amdhsa_uses_dynamic_stack 0
		.amdhsa_enable_private_segment 0
		.amdhsa_system_sgpr_workgroup_id_x 1
		.amdhsa_system_sgpr_workgroup_id_y 0
		.amdhsa_system_sgpr_workgroup_id_z 0
		.amdhsa_system_sgpr_workgroup_info 0
		.amdhsa_system_vgpr_workitem_id 0
		.amdhsa_next_free_vgpr 30
		.amdhsa_next_free_sgpr 75
		.amdhsa_reserve_vcc 1
		.amdhsa_float_round_mode_32 0
		.amdhsa_float_round_mode_16_64 0
		.amdhsa_float_denorm_mode_32 3
		.amdhsa_float_denorm_mode_16_64 3
		.amdhsa_fp16_overflow 0
		.amdhsa_workgroup_processor_mode 1
		.amdhsa_memory_ordered 1
		.amdhsa_forward_progress 1
		.amdhsa_inst_pref_size 65
		.amdhsa_round_robin_scheduling 0
		.amdhsa_exception_fp_ieee_invalid_op 0
		.amdhsa_exception_fp_denorm_src 0
		.amdhsa_exception_fp_ieee_div_zero 0
		.amdhsa_exception_fp_ieee_overflow 0
		.amdhsa_exception_fp_ieee_underflow 0
		.amdhsa_exception_fp_ieee_inexact 0
		.amdhsa_exception_int_div_zero 0
	.end_amdhsa_kernel
	.section	.text._ZN2at6native16triu_tril_kernelIdlLb1ELi2ELb1EEEvNS_4cuda6detail10TensorInfoIT_T0_EENS4_IKS5_S6_EEllS6_,"axG",@progbits,_ZN2at6native16triu_tril_kernelIdlLb1ELi2ELb1EEEvNS_4cuda6detail10TensorInfoIT_T0_EENS4_IKS5_S6_EEllS6_,comdat
.Lfunc_end74:
	.size	_ZN2at6native16triu_tril_kernelIdlLb1ELi2ELb1EEEvNS_4cuda6detail10TensorInfoIT_T0_EENS4_IKS5_S6_EEllS6_, .Lfunc_end74-_ZN2at6native16triu_tril_kernelIdlLb1ELi2ELb1EEEvNS_4cuda6detail10TensorInfoIT_T0_EENS4_IKS5_S6_EEllS6_
                                        ; -- End function
	.set _ZN2at6native16triu_tril_kernelIdlLb1ELi2ELb1EEEvNS_4cuda6detail10TensorInfoIT_T0_EENS4_IKS5_S6_EEllS6_.num_vgpr, 30
	.set _ZN2at6native16triu_tril_kernelIdlLb1ELi2ELb1EEEvNS_4cuda6detail10TensorInfoIT_T0_EENS4_IKS5_S6_EEllS6_.num_agpr, 0
	.set _ZN2at6native16triu_tril_kernelIdlLb1ELi2ELb1EEEvNS_4cuda6detail10TensorInfoIT_T0_EENS4_IKS5_S6_EEllS6_.numbered_sgpr, 75
	.set _ZN2at6native16triu_tril_kernelIdlLb1ELi2ELb1EEEvNS_4cuda6detail10TensorInfoIT_T0_EENS4_IKS5_S6_EEllS6_.num_named_barrier, 0
	.set _ZN2at6native16triu_tril_kernelIdlLb1ELi2ELb1EEEvNS_4cuda6detail10TensorInfoIT_T0_EENS4_IKS5_S6_EEllS6_.private_seg_size, 0
	.set _ZN2at6native16triu_tril_kernelIdlLb1ELi2ELb1EEEvNS_4cuda6detail10TensorInfoIT_T0_EENS4_IKS5_S6_EEllS6_.uses_vcc, 1
	.set _ZN2at6native16triu_tril_kernelIdlLb1ELi2ELb1EEEvNS_4cuda6detail10TensorInfoIT_T0_EENS4_IKS5_S6_EEllS6_.uses_flat_scratch, 0
	.set _ZN2at6native16triu_tril_kernelIdlLb1ELi2ELb1EEEvNS_4cuda6detail10TensorInfoIT_T0_EENS4_IKS5_S6_EEllS6_.has_dyn_sized_stack, 0
	.set _ZN2at6native16triu_tril_kernelIdlLb1ELi2ELb1EEEvNS_4cuda6detail10TensorInfoIT_T0_EENS4_IKS5_S6_EEllS6_.has_recursion, 0
	.set _ZN2at6native16triu_tril_kernelIdlLb1ELi2ELb1EEEvNS_4cuda6detail10TensorInfoIT_T0_EENS4_IKS5_S6_EEllS6_.has_indirect_call, 0
	.section	.AMDGPU.csdata,"",@progbits
; Kernel info:
; codeLenInByte = 8320
; TotalNumSgprs: 77
; NumVgprs: 30
; ScratchSize: 0
; MemoryBound: 0
; FloatMode: 240
; IeeeMode: 1
; LDSByteSize: 0 bytes/workgroup (compile time only)
; SGPRBlocks: 0
; VGPRBlocks: 3
; NumSGPRsForWavesPerEU: 77
; NumVGPRsForWavesPerEU: 30
; Occupancy: 16
; WaveLimiterHint : 0
; COMPUTE_PGM_RSRC2:SCRATCH_EN: 0
; COMPUTE_PGM_RSRC2:USER_SGPR: 2
; COMPUTE_PGM_RSRC2:TRAP_HANDLER: 0
; COMPUTE_PGM_RSRC2:TGID_X_EN: 1
; COMPUTE_PGM_RSRC2:TGID_Y_EN: 0
; COMPUTE_PGM_RSRC2:TGID_Z_EN: 0
; COMPUTE_PGM_RSRC2:TIDIG_COMP_CNT: 0
	.section	.text._ZN2at6native16triu_tril_kernelIdlLb1ELi2ELb0EEEvNS_4cuda6detail10TensorInfoIT_T0_EENS4_IKS5_S6_EEllS6_,"axG",@progbits,_ZN2at6native16triu_tril_kernelIdlLb1ELi2ELb0EEEvNS_4cuda6detail10TensorInfoIT_T0_EENS4_IKS5_S6_EEllS6_,comdat
	.protected	_ZN2at6native16triu_tril_kernelIdlLb1ELi2ELb0EEEvNS_4cuda6detail10TensorInfoIT_T0_EENS4_IKS5_S6_EEllS6_ ; -- Begin function _ZN2at6native16triu_tril_kernelIdlLb1ELi2ELb0EEEvNS_4cuda6detail10TensorInfoIT_T0_EENS4_IKS5_S6_EEllS6_
	.globl	_ZN2at6native16triu_tril_kernelIdlLb1ELi2ELb0EEEvNS_4cuda6detail10TensorInfoIT_T0_EENS4_IKS5_S6_EEllS6_
	.p2align	8
	.type	_ZN2at6native16triu_tril_kernelIdlLb1ELi2ELb0EEEvNS_4cuda6detail10TensorInfoIT_T0_EENS4_IKS5_S6_EEllS6_,@function
_ZN2at6native16triu_tril_kernelIdlLb1ELi2ELb0EEEvNS_4cuda6detail10TensorInfoIT_T0_EENS4_IKS5_S6_EEllS6_: ; @_ZN2at6native16triu_tril_kernelIdlLb1ELi2ELb0EEEvNS_4cuda6detail10TensorInfoIT_T0_EENS4_IKS5_S6_EEllS6_
; %bb.0:
	s_clause 0x1
	s_load_b32 s2, s[0:1], 0x364
	s_load_b128 s[4:7], s[0:1], 0x340
	v_mov_b32_e32 v2, 0
	s_delay_alu instid0(VALU_DEP_1) | instskip(SKIP_3) | instid1(VALU_DEP_1)
	v_mov_b32_e32 v1, v2
	s_wait_kmcnt 0x0
	s_and_b32 s16, s2, 0xffff
	s_mov_b32 s2, exec_lo
	v_mad_co_u64_u32 v[0:1], null, s16, ttmp9, v[0:1]
	s_delay_alu instid0(VALU_DEP_1) | instskip(NEXT) | instid1(VALU_DEP_1)
	v_lshlrev_b64_e32 v[0:1], 1, v[0:1]
	v_cmpx_gt_i64_e64 s[6:7], v[0:1]
	s_cbranch_execz .LBB75_38
; %bb.1:
	s_clause 0x1
	s_load_b32 s38, s[0:1], 0x338
	s_load_b64 s[2:3], s[0:1], 0x1a0
	s_add_nc_u64 s[20:21], s[0:1], 0x1a0
	s_load_b64 s[22:23], s[0:1], 0x350
	s_add_nc_u64 s[14:15], s[0:1], 0x358
	s_mov_b32 s27, 0
	s_mov_b32 s63, 0
	s_wait_kmcnt 0x0
	s_ashr_i32 s39, s38, 31
	s_add_co_i32 s28, s38, -3
	s_lshl_b64 s[18:19], s[38:39], 3
	s_ashr_i32 s29, s28, 31
	s_add_nc_u64 s[12:13], s[20:21], s[18:19]
	v_cmp_gt_i64_e64 s62, s[38:39], 2
	s_add_nc_u64 s[8:9], s[12:13], -8
	s_add_nc_u64 s[30:31], s[28:29], -1
	s_load_b128 s[8:11], s[8:9], 0x0
	s_load_b32 s17, s[14:15], 0x0
	s_clause 0x1
	s_load_b64 s[24:25], s[0:1], 0x0
	s_load_b128 s[12:15], s[12:13], 0xc0
	v_cvt_f32_u32_e32 v3, s22
	s_add_nc_u64 s[38:39], s[0:1], 0xc8
	s_delay_alu instid0(VALU_DEP_1)
	v_rcp_iflag_f32_e32 v3, v3
	s_wait_kmcnt 0x0
	v_cvt_f32_u32_e32 v4, s8
	s_mul_i32 s26, s17, s16
	s_add_nc_u64 s[16:17], s[0:1], s[18:19]
	s_lshl_b32 s33, s26, 1
	s_load_b128 s[16:19], s[16:17], 0xc0
	v_rcp_iflag_f32_e32 v4, v4
	s_delay_alu instid0(TRANS32_DEP_2)
	v_mul_f32_e32 v3, 0x4f7ffffe, v3
	s_bitcmp0_b32 s28, 0
	s_cselect_b32 s60, -1, 0
	s_lshl_b64 s[36:37], s[28:29], 3
	s_cmp_lg_u32 s28, 0
	s_add_nc_u64 s[34:35], s[20:21], s[36:37]
	s_add_nc_u64 s[36:37], s[0:1], s[36:37]
	s_cselect_b32 s61, -1, 0
	s_delay_alu instid0(TRANS32_DEP_1) | instskip(SKIP_2) | instid1(VALU_DEP_2)
	v_mul_f32_e32 v4, 0x4f7ffffe, v4
	v_cvt_u32_f32_e32 v18, v3
	s_ashr_i32 s40, s23, 31
	v_cvt_u32_f32_e32 v19, v4
	s_branch .LBB75_3
.LBB75_2:                               ;   in Loop: Header=BB75_3 Depth=1
	s_wait_alu 0xfffe
	s_or_b32 exec_lo, exec_lo, s0
	v_add_co_u32 v0, vcc_lo, v0, s33
	s_wait_alu 0xfffd
	v_add_co_ci_u32_e64 v1, null, 0, v1, vcc_lo
	s_delay_alu instid0(VALU_DEP_1) | instskip(SKIP_1) | instid1(SALU_CYCLE_1)
	v_cmp_le_i64_e32 vcc_lo, s[6:7], v[0:1]
	s_or_b32 s63, vcc_lo, s63
	s_and_not1_b32 exec_lo, exec_lo, s63
	s_cbranch_execz .LBB75_38
.LBB75_3:                               ; =>This Loop Header: Depth=1
                                        ;     Child Loop BB75_21 Depth 2
	v_or_b32_e32 v3, s23, v1
                                        ; implicit-def: $vgpr6_vgpr7
	s_mov_b32 s0, exec_lo
	s_delay_alu instid0(VALU_DEP_1)
	v_cmpx_ne_u64_e32 0, v[2:3]
	s_wait_alu 0xfffe
	s_xor_b32 s1, exec_lo, s0
	s_cbranch_execz .LBB75_5
; %bb.4:                                ;   in Loop: Header=BB75_3 Depth=1
	s_mov_b32 s41, s40
	v_ashrrev_i32_e32 v9, 31, v1
	s_wait_alu 0xfffe
	s_add_nc_u64 s[42:43], s[22:23], s[40:41]
	s_wait_alu 0xfffe
	s_xor_b64 s[42:43], s[42:43], s[40:41]
	v_add_co_u32 v3, vcc_lo, v0, v9
	s_wait_alu 0xfffe
	s_cvt_f32_u32 s0, s42
	s_cvt_f32_u32 s26, s43
	s_sub_nc_u64 s[46:47], 0, s[42:43]
	s_wait_alu 0xfffd
	v_add_co_ci_u32_e64 v4, null, v1, v9, vcc_lo
	s_wait_alu 0xfffe
	s_fmamk_f32 s0, s26, 0x4f800000, s0
	v_xor_b32_e32 v10, v3, v9
	s_delay_alu instid0(VALU_DEP_2) | instskip(SKIP_2) | instid1(TRANS32_DEP_1)
	v_xor_b32_e32 v11, v4, v9
	s_wait_alu 0xfffe
	v_s_rcp_f32 s0, s0
	s_mul_f32 s0, s0, 0x5f7ffffc
	s_wait_alu 0xfffe
	s_delay_alu instid0(SALU_CYCLE_2) | instskip(SKIP_1) | instid1(SALU_CYCLE_2)
	s_mul_f32 s26, s0, 0x2f800000
	s_wait_alu 0xfffe
	s_trunc_f32 s26, s26
	s_wait_alu 0xfffe
	s_delay_alu instid0(SALU_CYCLE_2) | instskip(SKIP_2) | instid1(SALU_CYCLE_1)
	s_fmamk_f32 s0, s26, 0xcf800000, s0
	s_cvt_u32_f32 s45, s26
	s_wait_alu 0xfffe
	s_cvt_u32_f32 s44, s0
	s_wait_alu 0xfffe
	s_delay_alu instid0(SALU_CYCLE_2)
	s_mul_u64 s[48:49], s[46:47], s[44:45]
	s_wait_alu 0xfffe
	s_mul_hi_u32 s51, s44, s49
	s_mul_i32 s50, s44, s49
	s_mul_hi_u32 s26, s44, s48
	s_mul_i32 s41, s45, s48
	s_wait_alu 0xfffe
	s_add_nc_u64 s[50:51], s[26:27], s[50:51]
	s_mul_hi_u32 s0, s45, s48
	s_mul_hi_u32 s52, s45, s49
	s_wait_alu 0xfffe
	s_add_co_u32 s26, s50, s41
	s_add_co_ci_u32 s26, s51, s0
	s_mul_i32 s48, s45, s49
	s_add_co_ci_u32 s49, s52, 0
	s_wait_alu 0xfffe
	s_add_nc_u64 s[48:49], s[26:27], s[48:49]
	s_wait_alu 0xfffe
	s_add_co_u32 s44, s44, s48
	s_cselect_b32 s0, -1, 0
	s_wait_alu 0xfffe
	s_cmp_lg_u32 s0, 0
	s_add_co_ci_u32 s45, s45, s49
	s_wait_alu 0xfffe
	s_mul_u64 s[46:47], s[46:47], s[44:45]
	s_wait_alu 0xfffe
	s_mul_hi_u32 s49, s44, s47
	s_mul_i32 s48, s44, s47
	s_mul_hi_u32 s26, s44, s46
	s_mul_i32 s41, s45, s46
	s_wait_alu 0xfffe
	s_add_nc_u64 s[48:49], s[26:27], s[48:49]
	s_mul_hi_u32 s0, s45, s46
	s_mul_hi_u32 s50, s45, s47
	s_wait_alu 0xfffe
	s_add_co_u32 s26, s48, s41
	s_add_co_ci_u32 s26, s49, s0
	s_mul_i32 s46, s45, s47
	s_add_co_ci_u32 s47, s50, 0
	s_wait_alu 0xfffe
	s_add_nc_u64 s[46:47], s[26:27], s[46:47]
	s_wait_alu 0xfffe
	s_add_co_u32 s0, s44, s46
	s_cselect_b32 s26, -1, 0
	s_wait_alu 0xfffe
	v_mul_hi_u32 v12, v10, s0
	s_cmp_lg_u32 s26, 0
	v_mad_co_u64_u32 v[5:6], null, v11, s0, 0
	s_add_co_ci_u32 s26, s45, s47
	s_wait_alu 0xfffe
	v_mad_co_u64_u32 v[3:4], null, v10, s26, 0
	v_mad_co_u64_u32 v[7:8], null, v11, s26, 0
	s_delay_alu instid0(VALU_DEP_2) | instskip(SKIP_1) | instid1(VALU_DEP_3)
	v_add_co_u32 v3, vcc_lo, v12, v3
	s_wait_alu 0xfffd
	v_add_co_ci_u32_e64 v4, null, 0, v4, vcc_lo
	s_delay_alu instid0(VALU_DEP_2) | instskip(SKIP_1) | instid1(VALU_DEP_2)
	v_add_co_u32 v3, vcc_lo, v3, v5
	s_wait_alu 0xfffd
	v_add_co_ci_u32_e32 v3, vcc_lo, v4, v6, vcc_lo
	s_wait_alu 0xfffd
	v_add_co_ci_u32_e32 v4, vcc_lo, 0, v8, vcc_lo
	s_delay_alu instid0(VALU_DEP_2) | instskip(SKIP_1) | instid1(VALU_DEP_2)
	v_add_co_u32 v5, vcc_lo, v3, v7
	s_wait_alu 0xfffd
	v_add_co_ci_u32_e64 v6, null, 0, v4, vcc_lo
	s_delay_alu instid0(VALU_DEP_2) | instskip(SKIP_1) | instid1(VALU_DEP_3)
	v_mul_lo_u32 v7, s43, v5
	v_mad_co_u64_u32 v[3:4], null, s42, v5, 0
	v_mul_lo_u32 v8, s42, v6
	s_delay_alu instid0(VALU_DEP_2) | instskip(NEXT) | instid1(VALU_DEP_2)
	v_sub_co_u32 v3, vcc_lo, v10, v3
	v_add3_u32 v4, v4, v8, v7
	v_add_co_u32 v8, s0, v5, 2
	s_wait_alu 0xf1ff
	v_add_co_ci_u32_e64 v10, null, 0, v6, s0
	s_delay_alu instid0(VALU_DEP_3) | instskip(SKIP_3) | instid1(VALU_DEP_3)
	v_sub_nc_u32_e32 v7, v11, v4
	v_sub_co_u32 v12, s0, v3, s42
	s_wait_alu 0xfffd
	v_sub_co_ci_u32_e64 v4, null, v11, v4, vcc_lo
	v_subrev_co_ci_u32_e64 v7, null, s43, v7, vcc_lo
	s_delay_alu instid0(VALU_DEP_3) | instskip(SKIP_1) | instid1(VALU_DEP_2)
	v_cmp_le_u32_e32 vcc_lo, s42, v12
	s_wait_alu 0xf1ff
	v_subrev_co_ci_u32_e64 v7, null, 0, v7, s0
	s_wait_alu 0xfffd
	v_cndmask_b32_e64 v11, 0, -1, vcc_lo
	s_delay_alu instid0(VALU_DEP_2)
	v_cmp_le_u32_e32 vcc_lo, s43, v7
	s_wait_alu 0xfffd
	v_cndmask_b32_e64 v12, 0, -1, vcc_lo
	v_cmp_le_u32_e32 vcc_lo, s42, v3
	s_wait_alu 0xfffd
	v_cndmask_b32_e64 v3, 0, -1, vcc_lo
	;; [unrolled: 3-line block ×3, first 2 shown]
	v_cmp_eq_u32_e32 vcc_lo, s43, v7
	s_wait_alu 0xfffd
	v_cndmask_b32_e32 v7, v12, v11, vcc_lo
	v_add_co_u32 v11, vcc_lo, v5, 1
	s_wait_alu 0xfffd
	v_add_co_ci_u32_e64 v12, null, 0, v6, vcc_lo
	v_cmp_eq_u32_e32 vcc_lo, s43, v4
	s_wait_alu 0xfffd
	v_cndmask_b32_e32 v3, v13, v3, vcc_lo
	v_cmp_ne_u32_e32 vcc_lo, 0, v7
	v_xor_b32_e32 v7, s40, v9
	s_wait_alu 0xfffd
	v_cndmask_b32_e32 v4, v12, v10, vcc_lo
	v_cmp_ne_u32_e64 s0, 0, v3
	v_cndmask_b32_e32 v3, v11, v8, vcc_lo
	s_wait_alu 0xf1ff
	s_delay_alu instid0(VALU_DEP_2) | instskip(NEXT) | instid1(VALU_DEP_2)
	v_cndmask_b32_e64 v4, v6, v4, s0
	v_cndmask_b32_e64 v3, v5, v3, s0
	s_delay_alu instid0(VALU_DEP_2) | instskip(NEXT) | instid1(VALU_DEP_2)
	v_xor_b32_e32 v4, v4, v7
	v_xor_b32_e32 v3, v3, v7
	s_delay_alu instid0(VALU_DEP_1) | instskip(SKIP_1) | instid1(VALU_DEP_3)
	v_sub_co_u32 v6, vcc_lo, v3, v7
	s_wait_alu 0xfffd
	v_sub_co_ci_u32_e64 v7, null, v4, v7, vcc_lo
.LBB75_5:                               ;   in Loop: Header=BB75_3 Depth=1
	s_wait_alu 0xfffe
	s_and_not1_saveexec_b32 s0, s1
	s_cbranch_execz .LBB75_7
; %bb.6:                                ;   in Loop: Header=BB75_3 Depth=1
	s_sub_co_i32 s1, 0, s22
	v_mov_b32_e32 v7, v2
	s_wait_alu 0xfffe
	v_mul_lo_u32 v3, s1, v18
	s_delay_alu instid0(VALU_DEP_1) | instskip(NEXT) | instid1(VALU_DEP_1)
	v_mul_hi_u32 v3, v18, v3
	v_add_nc_u32_e32 v3, v18, v3
	s_delay_alu instid0(VALU_DEP_1) | instskip(NEXT) | instid1(VALU_DEP_1)
	v_mul_hi_u32 v3, v0, v3
	v_mul_lo_u32 v4, v3, s22
	v_add_nc_u32_e32 v5, 1, v3
	s_delay_alu instid0(VALU_DEP_2) | instskip(NEXT) | instid1(VALU_DEP_1)
	v_sub_nc_u32_e32 v4, v0, v4
	v_subrev_nc_u32_e32 v6, s22, v4
	v_cmp_le_u32_e32 vcc_lo, s22, v4
	s_wait_alu 0xfffd
	s_delay_alu instid0(VALU_DEP_2) | instskip(NEXT) | instid1(VALU_DEP_1)
	v_dual_cndmask_b32 v4, v4, v6 :: v_dual_cndmask_b32 v3, v3, v5
	v_cmp_le_u32_e32 vcc_lo, s22, v4
	s_delay_alu instid0(VALU_DEP_2) | instskip(SKIP_1) | instid1(VALU_DEP_1)
	v_add_nc_u32_e32 v5, 1, v3
	s_wait_alu 0xfffd
	v_cndmask_b32_e32 v6, v3, v5, vcc_lo
.LBB75_7:                               ;   in Loop: Header=BB75_3 Depth=1
	s_wait_alu 0xfffe
	s_or_b32 exec_lo, exec_lo, s0
	v_or_b32_e32 v3, s9, v7
                                        ; implicit-def: $vgpr10_vgpr11
	s_mov_b32 s0, exec_lo
	s_delay_alu instid0(VALU_DEP_1)
	v_cmpx_ne_u64_e32 0, v[2:3]
	s_wait_alu 0xfffe
	s_xor_b32 s1, exec_lo, s0
	s_cbranch_execz .LBB75_9
; %bb.8:                                ;   in Loop: Header=BB75_3 Depth=1
	s_ashr_i32 s42, s9, 31
	v_ashrrev_i32_e32 v5, 31, v7
	s_wait_alu 0xfffe
	s_mov_b32 s43, s42
	s_wait_alu 0xfffe
	s_add_nc_u64 s[44:45], s[8:9], s[42:43]
	v_add_co_u32 v3, vcc_lo, v6, v5
	s_wait_alu 0xfffe
	s_xor_b64 s[44:45], s[44:45], s[42:43]
	s_wait_alu 0xfffd
	v_add_co_ci_u32_e64 v4, null, v7, v5, vcc_lo
	s_wait_alu 0xfffe
	s_cvt_f32_u32 s0, s44
	s_cvt_f32_u32 s26, s45
	s_sub_nc_u64 s[48:49], 0, s[44:45]
	v_xor_b32_e32 v12, v3, v5
	v_xor_b32_e32 v13, v4, v5
	s_wait_alu 0xfffe
	s_fmamk_f32 s0, s26, 0x4f800000, s0
	v_xor_b32_e32 v5, s42, v5
	s_wait_alu 0xfffe
	s_delay_alu instid0(SALU_CYCLE_1) | instskip(NEXT) | instid1(TRANS32_DEP_1)
	v_s_rcp_f32 s0, s0
	s_mul_f32 s0, s0, 0x5f7ffffc
	s_wait_alu 0xfffe
	s_delay_alu instid0(SALU_CYCLE_2) | instskip(SKIP_1) | instid1(SALU_CYCLE_2)
	s_mul_f32 s26, s0, 0x2f800000
	s_wait_alu 0xfffe
	s_trunc_f32 s26, s26
	s_wait_alu 0xfffe
	s_delay_alu instid0(SALU_CYCLE_2) | instskip(SKIP_2) | instid1(SALU_CYCLE_1)
	s_fmamk_f32 s0, s26, 0xcf800000, s0
	s_cvt_u32_f32 s47, s26
	s_wait_alu 0xfffe
	s_cvt_u32_f32 s46, s0
	s_wait_alu 0xfffe
	s_delay_alu instid0(SALU_CYCLE_2)
	s_mul_u64 s[50:51], s[48:49], s[46:47]
	s_wait_alu 0xfffe
	s_mul_hi_u32 s53, s46, s51
	s_mul_i32 s52, s46, s51
	s_mul_hi_u32 s26, s46, s50
	s_mul_i32 s41, s47, s50
	s_wait_alu 0xfffe
	s_add_nc_u64 s[52:53], s[26:27], s[52:53]
	s_mul_hi_u32 s0, s47, s50
	s_mul_hi_u32 s43, s47, s51
	s_wait_alu 0xfffe
	s_add_co_u32 s26, s52, s41
	s_add_co_ci_u32 s26, s53, s0
	s_mul_i32 s50, s47, s51
	s_add_co_ci_u32 s51, s43, 0
	s_wait_alu 0xfffe
	s_add_nc_u64 s[50:51], s[26:27], s[50:51]
	s_wait_alu 0xfffe
	s_add_co_u32 s46, s46, s50
	s_cselect_b32 s0, -1, 0
	s_wait_alu 0xfffe
	s_cmp_lg_u32 s0, 0
	s_add_co_ci_u32 s47, s47, s51
	s_wait_alu 0xfffe
	s_mul_u64 s[48:49], s[48:49], s[46:47]
	s_wait_alu 0xfffe
	s_mul_hi_u32 s51, s46, s49
	s_mul_i32 s50, s46, s49
	s_mul_hi_u32 s26, s46, s48
	s_mul_i32 s41, s47, s48
	s_wait_alu 0xfffe
	s_add_nc_u64 s[50:51], s[26:27], s[50:51]
	s_mul_hi_u32 s0, s47, s48
	s_mul_hi_u32 s43, s47, s49
	s_wait_alu 0xfffe
	s_add_co_u32 s26, s50, s41
	s_add_co_ci_u32 s26, s51, s0
	s_mul_i32 s48, s47, s49
	s_add_co_ci_u32 s49, s43, 0
	s_wait_alu 0xfffe
	s_add_nc_u64 s[48:49], s[26:27], s[48:49]
	s_wait_alu 0xfffe
	s_add_co_u32 s0, s46, s48
	s_cselect_b32 s26, -1, 0
	s_wait_alu 0xfffe
	v_mul_hi_u32 v14, v12, s0
	s_cmp_lg_u32 s26, 0
	v_mad_co_u64_u32 v[8:9], null, v13, s0, 0
	s_add_co_ci_u32 s26, s47, s49
	s_wait_alu 0xfffe
	v_mad_co_u64_u32 v[3:4], null, v12, s26, 0
	v_mad_co_u64_u32 v[10:11], null, v13, s26, 0
	s_delay_alu instid0(VALU_DEP_2) | instskip(SKIP_1) | instid1(VALU_DEP_3)
	v_add_co_u32 v3, vcc_lo, v14, v3
	s_wait_alu 0xfffd
	v_add_co_ci_u32_e64 v4, null, 0, v4, vcc_lo
	s_delay_alu instid0(VALU_DEP_2) | instskip(SKIP_1) | instid1(VALU_DEP_2)
	v_add_co_u32 v3, vcc_lo, v3, v8
	s_wait_alu 0xfffd
	v_add_co_ci_u32_e32 v3, vcc_lo, v4, v9, vcc_lo
	s_wait_alu 0xfffd
	v_add_co_ci_u32_e32 v4, vcc_lo, 0, v11, vcc_lo
	s_delay_alu instid0(VALU_DEP_2) | instskip(SKIP_1) | instid1(VALU_DEP_2)
	v_add_co_u32 v8, vcc_lo, v3, v10
	s_wait_alu 0xfffd
	v_add_co_ci_u32_e64 v9, null, 0, v4, vcc_lo
	s_delay_alu instid0(VALU_DEP_2) | instskip(SKIP_1) | instid1(VALU_DEP_3)
	v_mul_lo_u32 v10, s45, v8
	v_mad_co_u64_u32 v[3:4], null, s44, v8, 0
	v_mul_lo_u32 v11, s44, v9
	s_delay_alu instid0(VALU_DEP_2) | instskip(NEXT) | instid1(VALU_DEP_2)
	v_sub_co_u32 v3, vcc_lo, v12, v3
	v_add3_u32 v4, v4, v11, v10
	v_add_co_u32 v11, s0, v8, 2
	s_wait_alu 0xf1ff
	v_add_co_ci_u32_e64 v12, null, 0, v9, s0
	s_delay_alu instid0(VALU_DEP_3) | instskip(SKIP_3) | instid1(VALU_DEP_3)
	v_sub_nc_u32_e32 v10, v13, v4
	v_sub_co_u32 v14, s0, v3, s44
	s_wait_alu 0xfffd
	v_sub_co_ci_u32_e64 v4, null, v13, v4, vcc_lo
	v_subrev_co_ci_u32_e64 v10, null, s45, v10, vcc_lo
	s_delay_alu instid0(VALU_DEP_3) | instskip(SKIP_1) | instid1(VALU_DEP_2)
	v_cmp_le_u32_e32 vcc_lo, s44, v14
	s_wait_alu 0xf1ff
	v_subrev_co_ci_u32_e64 v10, null, 0, v10, s0
	s_wait_alu 0xfffd
	v_cndmask_b32_e64 v13, 0, -1, vcc_lo
	s_delay_alu instid0(VALU_DEP_2)
	v_cmp_le_u32_e32 vcc_lo, s45, v10
	s_wait_alu 0xfffd
	v_cndmask_b32_e64 v14, 0, -1, vcc_lo
	v_cmp_le_u32_e32 vcc_lo, s44, v3
	s_wait_alu 0xfffd
	v_cndmask_b32_e64 v3, 0, -1, vcc_lo
	;; [unrolled: 3-line block ×3, first 2 shown]
	v_cmp_eq_u32_e32 vcc_lo, s45, v10
	s_wait_alu 0xfffd
	v_cndmask_b32_e32 v10, v14, v13, vcc_lo
	v_add_co_u32 v13, vcc_lo, v8, 1
	s_wait_alu 0xfffd
	v_add_co_ci_u32_e64 v14, null, 0, v9, vcc_lo
	v_cmp_eq_u32_e32 vcc_lo, s45, v4
	s_wait_alu 0xfffd
	v_cndmask_b32_e32 v3, v15, v3, vcc_lo
	v_cmp_ne_u32_e32 vcc_lo, 0, v10
	s_delay_alu instid0(VALU_DEP_2) | instskip(SKIP_3) | instid1(VALU_DEP_1)
	v_cmp_ne_u32_e64 s0, 0, v3
	s_wait_alu 0xfffd
	v_dual_cndmask_b32 v4, v14, v12 :: v_dual_cndmask_b32 v3, v13, v11
	s_wait_alu 0xf1ff
	v_cndmask_b32_e64 v4, v9, v4, s0
	s_delay_alu instid0(VALU_DEP_2) | instskip(NEXT) | instid1(VALU_DEP_2)
	v_cndmask_b32_e64 v3, v8, v3, s0
	v_xor_b32_e32 v4, v4, v5
	s_delay_alu instid0(VALU_DEP_2) | instskip(NEXT) | instid1(VALU_DEP_1)
	v_xor_b32_e32 v3, v3, v5
	v_sub_co_u32 v10, vcc_lo, v3, v5
	s_wait_alu 0xfffd
	s_delay_alu instid0(VALU_DEP_3)
	v_sub_co_ci_u32_e64 v11, null, v4, v5, vcc_lo
.LBB75_9:                               ;   in Loop: Header=BB75_3 Depth=1
	s_wait_alu 0xfffe
	s_and_not1_saveexec_b32 s0, s1
	s_cbranch_execz .LBB75_11
; %bb.10:                               ;   in Loop: Header=BB75_3 Depth=1
	s_sub_co_i32 s1, 0, s8
	v_mov_b32_e32 v11, v2
	s_wait_alu 0xfffe
	v_mul_lo_u32 v3, s1, v19
	s_delay_alu instid0(VALU_DEP_1) | instskip(NEXT) | instid1(VALU_DEP_1)
	v_mul_hi_u32 v3, v19, v3
	v_add_nc_u32_e32 v3, v19, v3
	s_delay_alu instid0(VALU_DEP_1) | instskip(NEXT) | instid1(VALU_DEP_1)
	v_mul_hi_u32 v3, v6, v3
	v_mul_lo_u32 v4, v3, s8
	v_add_nc_u32_e32 v5, 1, v3
	s_delay_alu instid0(VALU_DEP_2) | instskip(NEXT) | instid1(VALU_DEP_1)
	v_sub_nc_u32_e32 v4, v6, v4
	v_subrev_nc_u32_e32 v8, s8, v4
	v_cmp_le_u32_e32 vcc_lo, s8, v4
	s_wait_alu 0xfffd
	s_delay_alu instid0(VALU_DEP_2) | instskip(NEXT) | instid1(VALU_DEP_1)
	v_dual_cndmask_b32 v4, v4, v8 :: v_dual_cndmask_b32 v3, v3, v5
	v_cmp_le_u32_e32 vcc_lo, s8, v4
	s_delay_alu instid0(VALU_DEP_2) | instskip(SKIP_1) | instid1(VALU_DEP_1)
	v_add_nc_u32_e32 v5, 1, v3
	s_wait_alu 0xfffd
	v_cndmask_b32_e32 v10, v3, v5, vcc_lo
.LBB75_11:                              ;   in Loop: Header=BB75_3 Depth=1
	s_wait_alu 0xfffe
	s_or_b32 exec_lo, exec_lo, s0
	v_mul_lo_u32 v5, v7, s22
	v_mul_lo_u32 v12, v6, s23
	v_mad_co_u64_u32 v[3:4], null, v6, s22, 0
	v_mul_lo_u32 v13, v11, s8
	v_mul_lo_u32 v14, v10, s9
	v_mad_co_u64_u32 v[8:9], null, v10, s8, 0
	s_delay_alu instid0(VALU_DEP_4) | instskip(SKIP_1) | instid1(VALU_DEP_3)
	v_add3_u32 v5, v4, v12, v5
	v_sub_co_u32 v4, vcc_lo, v0, v3
	v_add3_u32 v3, v9, v14, v13
	s_wait_alu 0xfffd
	s_delay_alu instid0(VALU_DEP_3) | instskip(NEXT) | instid1(VALU_DEP_3)
	v_sub_co_ci_u32_e64 v5, null, v1, v5, vcc_lo
	v_mul_lo_u32 v9, s15, v4
	v_mad_co_u64_u32 v[12:13], null, s14, v4, 0
	s_wait_kmcnt 0x0
	v_mul_lo_u32 v20, s19, v4
	v_mul_lo_u32 v21, s14, v5
	;; [unrolled: 1-line block ×3, first 2 shown]
	v_mad_co_u64_u32 v[14:15], null, s18, v4, 0
	v_sub_co_u32 v16, vcc_lo, v6, v8
	s_wait_alu 0xfffd
	v_sub_co_ci_u32_e64 v17, null, v7, v3, vcc_lo
	v_add3_u32 v13, v13, v21, v9
	s_delay_alu instid0(VALU_DEP_3) | instskip(SKIP_1) | instid1(VALU_DEP_4)
	v_mul_lo_u32 v3, s13, v16
	v_add3_u32 v15, v15, v22, v20
	v_mul_lo_u32 v21, s12, v17
	s_and_not1_b32 vcc_lo, exec_lo, s62
	v_mad_co_u64_u32 v[8:9], null, s12, v16, v[12:13]
	v_mul_lo_u32 v12, s16, v17
	v_mul_lo_u32 v13, s17, v16
	v_mad_co_u64_u32 v[6:7], null, s16, v16, v[14:15]
	s_delay_alu instid0(VALU_DEP_4) | instskip(NEXT) | instid1(VALU_DEP_2)
	v_add3_u32 v9, v3, v9, v21
	v_add3_u32 v7, v13, v7, v12
	s_wait_alu 0xfffe
	s_cbranch_vccnz .LBB75_29
; %bb.12:                               ;   in Loop: Header=BB75_3 Depth=1
	s_and_not1_b32 vcc_lo, exec_lo, s60
	s_wait_alu 0xfffe
	s_cbranch_vccnz .LBB75_18
; %bb.13:                               ;   in Loop: Header=BB75_3 Depth=1
	s_load_b64 s[42:43], s[34:35], 0x8
                                        ; implicit-def: $vgpr12_vgpr13
	s_mov_b32 s0, exec_lo
	s_wait_kmcnt 0x0
	v_or_b32_e32 v3, s43, v11
	s_delay_alu instid0(VALU_DEP_1)
	v_cmpx_ne_u64_e32 0, v[2:3]
	s_wait_alu 0xfffe
	s_xor_b32 s1, exec_lo, s0
	s_cbranch_execz .LBB75_15
; %bb.14:                               ;   in Loop: Header=BB75_3 Depth=1
	s_ashr_i32 s44, s43, 31
	v_ashrrev_i32_e32 v3, 31, v11
	s_wait_alu 0xfffe
	s_mov_b32 s45, s44
	s_wait_alu 0xfffe
	s_add_nc_u64 s[46:47], s[42:43], s[44:45]
	v_add_co_u32 v12, vcc_lo, v10, v3
	s_wait_alu 0xfffe
	s_xor_b64 s[46:47], s[46:47], s[44:45]
	s_wait_alu 0xfffd
	v_add_co_ci_u32_e64 v13, null, v11, v3, vcc_lo
	s_wait_alu 0xfffe
	s_cvt_f32_u32 s0, s46
	s_cvt_f32_u32 s26, s47
	s_sub_nc_u64 s[50:51], 0, s[46:47]
	v_xor_b32_e32 v22, v12, v3
	v_xor_b32_e32 v23, v13, v3
	s_wait_alu 0xfffe
	s_fmamk_f32 s0, s26, 0x4f800000, s0
	v_xor_b32_e32 v3, s44, v3
	s_wait_alu 0xfffe
	s_delay_alu instid0(SALU_CYCLE_1) | instskip(NEXT) | instid1(TRANS32_DEP_1)
	v_s_rcp_f32 s0, s0
	s_mul_f32 s0, s0, 0x5f7ffffc
	s_wait_alu 0xfffe
	s_delay_alu instid0(SALU_CYCLE_2) | instskip(SKIP_1) | instid1(SALU_CYCLE_2)
	s_mul_f32 s26, s0, 0x2f800000
	s_wait_alu 0xfffe
	s_trunc_f32 s26, s26
	s_wait_alu 0xfffe
	s_delay_alu instid0(SALU_CYCLE_2) | instskip(SKIP_2) | instid1(SALU_CYCLE_1)
	s_fmamk_f32 s0, s26, 0xcf800000, s0
	s_cvt_u32_f32 s49, s26
	s_wait_alu 0xfffe
	s_cvt_u32_f32 s48, s0
	s_wait_alu 0xfffe
	s_delay_alu instid0(SALU_CYCLE_2)
	s_mul_u64 s[52:53], s[50:51], s[48:49]
	s_wait_alu 0xfffe
	s_mul_hi_u32 s55, s48, s53
	s_mul_i32 s54, s48, s53
	s_mul_hi_u32 s26, s48, s52
	s_mul_i32 s41, s49, s52
	s_wait_alu 0xfffe
	s_add_nc_u64 s[54:55], s[26:27], s[54:55]
	s_mul_hi_u32 s0, s49, s52
	s_mul_hi_u32 s45, s49, s53
	s_wait_alu 0xfffe
	s_add_co_u32 s26, s54, s41
	s_add_co_ci_u32 s26, s55, s0
	s_mul_i32 s52, s49, s53
	s_add_co_ci_u32 s53, s45, 0
	s_wait_alu 0xfffe
	s_add_nc_u64 s[52:53], s[26:27], s[52:53]
	s_wait_alu 0xfffe
	s_add_co_u32 s48, s48, s52
	s_cselect_b32 s0, -1, 0
	s_wait_alu 0xfffe
	s_cmp_lg_u32 s0, 0
	s_add_co_ci_u32 s49, s49, s53
	s_wait_alu 0xfffe
	s_mul_u64 s[50:51], s[50:51], s[48:49]
	s_wait_alu 0xfffe
	s_mul_hi_u32 s53, s48, s51
	s_mul_i32 s52, s48, s51
	s_mul_hi_u32 s26, s48, s50
	s_mul_i32 s41, s49, s50
	s_wait_alu 0xfffe
	s_add_nc_u64 s[52:53], s[26:27], s[52:53]
	s_mul_hi_u32 s0, s49, s50
	s_mul_hi_u32 s45, s49, s51
	s_wait_alu 0xfffe
	s_add_co_u32 s26, s52, s41
	s_add_co_ci_u32 s26, s53, s0
	s_mul_i32 s50, s49, s51
	s_add_co_ci_u32 s51, s45, 0
	s_wait_alu 0xfffe
	s_add_nc_u64 s[50:51], s[26:27], s[50:51]
	s_wait_alu 0xfffe
	s_add_co_u32 s0, s48, s50
	s_cselect_b32 s26, -1, 0
	s_wait_alu 0xfffe
	v_mul_hi_u32 v24, v22, s0
	s_cmp_lg_u32 s26, 0
	v_mad_co_u64_u32 v[14:15], null, v23, s0, 0
	s_add_co_ci_u32 s26, s49, s51
	s_wait_alu 0xfffe
	v_mad_co_u64_u32 v[12:13], null, v22, s26, 0
	v_mad_co_u64_u32 v[20:21], null, v23, s26, 0
	s_delay_alu instid0(VALU_DEP_2) | instskip(SKIP_1) | instid1(VALU_DEP_3)
	v_add_co_u32 v12, vcc_lo, v24, v12
	s_wait_alu 0xfffd
	v_add_co_ci_u32_e64 v13, null, 0, v13, vcc_lo
	s_delay_alu instid0(VALU_DEP_2) | instskip(SKIP_1) | instid1(VALU_DEP_2)
	v_add_co_u32 v12, vcc_lo, v12, v14
	s_wait_alu 0xfffd
	v_add_co_ci_u32_e32 v12, vcc_lo, v13, v15, vcc_lo
	s_wait_alu 0xfffd
	v_add_co_ci_u32_e32 v13, vcc_lo, 0, v21, vcc_lo
	s_delay_alu instid0(VALU_DEP_2) | instskip(SKIP_1) | instid1(VALU_DEP_2)
	v_add_co_u32 v14, vcc_lo, v12, v20
	s_wait_alu 0xfffd
	v_add_co_ci_u32_e64 v15, null, 0, v13, vcc_lo
	s_delay_alu instid0(VALU_DEP_2) | instskip(SKIP_1) | instid1(VALU_DEP_3)
	v_mul_lo_u32 v20, s47, v14
	v_mad_co_u64_u32 v[12:13], null, s46, v14, 0
	v_mul_lo_u32 v21, s46, v15
	s_delay_alu instid0(VALU_DEP_2) | instskip(NEXT) | instid1(VALU_DEP_2)
	v_sub_co_u32 v12, vcc_lo, v22, v12
	v_add3_u32 v13, v13, v21, v20
	v_add_co_u32 v21, s0, v14, 2
	s_wait_alu 0xf1ff
	v_add_co_ci_u32_e64 v22, null, 0, v15, s0
	s_delay_alu instid0(VALU_DEP_3) | instskip(SKIP_3) | instid1(VALU_DEP_3)
	v_sub_nc_u32_e32 v20, v23, v13
	v_sub_co_u32 v24, s0, v12, s46
	s_wait_alu 0xfffd
	v_sub_co_ci_u32_e64 v13, null, v23, v13, vcc_lo
	v_subrev_co_ci_u32_e64 v20, null, s47, v20, vcc_lo
	s_delay_alu instid0(VALU_DEP_3) | instskip(SKIP_1) | instid1(VALU_DEP_2)
	v_cmp_le_u32_e32 vcc_lo, s46, v24
	s_wait_alu 0xf1ff
	v_subrev_co_ci_u32_e64 v20, null, 0, v20, s0
	s_wait_alu 0xfffd
	v_cndmask_b32_e64 v23, 0, -1, vcc_lo
	s_delay_alu instid0(VALU_DEP_2)
	v_cmp_le_u32_e32 vcc_lo, s47, v20
	s_wait_alu 0xfffd
	v_cndmask_b32_e64 v24, 0, -1, vcc_lo
	v_cmp_le_u32_e32 vcc_lo, s46, v12
	s_wait_alu 0xfffd
	v_cndmask_b32_e64 v12, 0, -1, vcc_lo
	;; [unrolled: 3-line block ×3, first 2 shown]
	v_cmp_eq_u32_e32 vcc_lo, s47, v20
	s_wait_alu 0xfffd
	v_cndmask_b32_e32 v20, v24, v23, vcc_lo
	v_add_co_u32 v23, vcc_lo, v14, 1
	s_wait_alu 0xfffd
	v_add_co_ci_u32_e64 v24, null, 0, v15, vcc_lo
	v_cmp_eq_u32_e32 vcc_lo, s47, v13
	s_wait_alu 0xfffd
	v_cndmask_b32_e32 v12, v25, v12, vcc_lo
	v_cmp_ne_u32_e32 vcc_lo, 0, v20
	s_wait_alu 0xfffd
	v_cndmask_b32_e32 v13, v24, v22, vcc_lo
	s_delay_alu instid0(VALU_DEP_3) | instskip(SKIP_2) | instid1(VALU_DEP_2)
	v_cmp_ne_u32_e64 s0, 0, v12
	v_cndmask_b32_e32 v12, v23, v21, vcc_lo
	s_wait_alu 0xf1ff
	v_cndmask_b32_e64 v13, v15, v13, s0
	s_delay_alu instid0(VALU_DEP_2) | instskip(NEXT) | instid1(VALU_DEP_2)
	v_cndmask_b32_e64 v12, v14, v12, s0
	v_xor_b32_e32 v13, v13, v3
	s_delay_alu instid0(VALU_DEP_2) | instskip(NEXT) | instid1(VALU_DEP_1)
	v_xor_b32_e32 v12, v12, v3
	v_sub_co_u32 v12, vcc_lo, v12, v3
	s_wait_alu 0xfffd
	s_delay_alu instid0(VALU_DEP_3)
	v_sub_co_ci_u32_e64 v13, null, v13, v3, vcc_lo
.LBB75_15:                              ;   in Loop: Header=BB75_3 Depth=1
	s_wait_alu 0xfffe
	s_and_not1_saveexec_b32 s0, s1
	s_cbranch_execz .LBB75_17
; %bb.16:                               ;   in Loop: Header=BB75_3 Depth=1
	v_cvt_f32_u32_e32 v3, s42
	s_sub_co_i32 s1, 0, s42
	s_delay_alu instid0(VALU_DEP_1) | instskip(NEXT) | instid1(TRANS32_DEP_1)
	v_rcp_iflag_f32_e32 v3, v3
	v_mul_f32_e32 v3, 0x4f7ffffe, v3
	s_delay_alu instid0(VALU_DEP_1) | instskip(SKIP_1) | instid1(VALU_DEP_1)
	v_cvt_u32_f32_e32 v3, v3
	s_wait_alu 0xfffe
	v_mul_lo_u32 v12, s1, v3
	s_delay_alu instid0(VALU_DEP_1) | instskip(NEXT) | instid1(VALU_DEP_1)
	v_mul_hi_u32 v12, v3, v12
	v_add_nc_u32_e32 v3, v3, v12
	s_delay_alu instid0(VALU_DEP_1) | instskip(NEXT) | instid1(VALU_DEP_1)
	v_mul_hi_u32 v3, v10, v3
	v_mul_lo_u32 v12, v3, s42
	v_add_nc_u32_e32 v13, 1, v3
	s_delay_alu instid0(VALU_DEP_2) | instskip(NEXT) | instid1(VALU_DEP_1)
	v_sub_nc_u32_e32 v12, v10, v12
	v_subrev_nc_u32_e32 v14, s42, v12
	v_cmp_le_u32_e32 vcc_lo, s42, v12
	s_wait_alu 0xfffd
	s_delay_alu instid0(VALU_DEP_2) | instskip(NEXT) | instid1(VALU_DEP_1)
	v_dual_cndmask_b32 v12, v12, v14 :: v_dual_cndmask_b32 v3, v3, v13
	v_cmp_le_u32_e32 vcc_lo, s42, v12
	s_delay_alu instid0(VALU_DEP_2) | instskip(SKIP_1) | instid1(VALU_DEP_1)
	v_add_nc_u32_e32 v13, 1, v3
	s_wait_alu 0xfffd
	v_dual_cndmask_b32 v12, v3, v13 :: v_dual_mov_b32 v13, v2
.LBB75_17:                              ;   in Loop: Header=BB75_3 Depth=1
	s_wait_alu 0xfffe
	s_or_b32 exec_lo, exec_lo, s0
	s_delay_alu instid0(VALU_DEP_1) | instskip(NEXT) | instid1(VALU_DEP_2)
	v_mul_lo_u32 v3, v13, s42
	v_mul_lo_u32 v20, v12, s43
	s_load_b64 s[0:1], s[34:35], 0xd0
	v_mad_co_u64_u32 v[14:15], null, v12, s42, 0
	s_load_b64 s[42:43], s[36:37], 0xd0
	v_add3_u32 v3, v15, v20, v3
	v_sub_co_u32 v10, vcc_lo, v10, v14
	s_wait_alu 0xfffd
	s_delay_alu instid0(VALU_DEP_2) | instskip(SKIP_1) | instid1(VALU_DEP_1)
	v_sub_co_ci_u32_e64 v3, null, v11, v3, vcc_lo
	s_wait_kmcnt 0x0
	v_mul_lo_u32 v11, s0, v3
	v_mul_lo_u32 v14, s1, v10
	v_mad_co_u64_u32 v[8:9], null, s0, v10, v[8:9]
	v_mul_lo_u32 v3, s42, v3
	v_mul_lo_u32 v15, s43, v10
	v_mad_co_u64_u32 v[6:7], null, s42, v10, v[6:7]
	s_mov_b64 s[0:1], s[30:31]
	v_add3_u32 v9, v14, v9, v11
	v_dual_mov_b32 v10, v12 :: v_dual_mov_b32 v11, v13
	v_add3_u32 v7, v15, v7, v3
	s_and_not1_b32 vcc_lo, exec_lo, s61
	s_wait_alu 0xfffe
	s_cbranch_vccz .LBB75_19
	s_branch .LBB75_29
.LBB75_18:                              ;   in Loop: Header=BB75_3 Depth=1
	s_mov_b64 s[0:1], s[28:29]
	s_and_not1_b32 vcc_lo, exec_lo, s61
	s_wait_alu 0xfffe
	s_cbranch_vccnz .LBB75_29
.LBB75_19:                              ;   in Loop: Header=BB75_3 Depth=1
	s_lshl_b64 s[44:45], s[0:1], 3
	s_add_nc_u64 s[46:47], s[0:1], 1
	s_wait_alu 0xfffe
	s_add_nc_u64 s[42:43], s[38:39], s[44:45]
	s_add_nc_u64 s[44:45], s[20:21], s[44:45]
	s_branch .LBB75_21
.LBB75_20:                              ;   in Loop: Header=BB75_21 Depth=2
	s_wait_alu 0xfffe
	s_or_b32 exec_lo, exec_lo, s0
	v_mul_lo_u32 v3, v13, s48
	v_mul_lo_u32 v24, v12, s49
	v_mad_co_u64_u32 v[20:21], null, v12, s48, 0
	s_load_b64 s[0:1], s[44:45], 0xc8
	s_load_b64 s[48:49], s[42:43], 0x0
	v_mul_lo_u32 v25, v15, s54
	v_mul_lo_u32 v26, v14, s55
	v_mad_co_u64_u32 v[22:23], null, v14, s54, 0
	v_add3_u32 v3, v21, v24, v3
	v_sub_co_u32 v10, vcc_lo, v10, v20
	s_add_nc_u64 s[46:47], s[46:47], -2
	s_add_nc_u64 s[42:43], s[42:43], -16
	s_wait_alu 0xfffd
	v_sub_co_ci_u32_e64 v3, null, v11, v3, vcc_lo
	v_mul_lo_u32 v11, s53, v10
	v_mad_co_u64_u32 v[8:9], null, s52, v10, v[8:9]
	s_delay_alu instid0(VALU_DEP_3)
	v_mul_lo_u32 v20, s52, v3
	v_mul_lo_u32 v21, s51, v10
	v_mad_co_u64_u32 v[6:7], null, s50, v10, v[6:7]
	v_mul_lo_u32 v3, s50, v3
	v_add3_u32 v10, v23, v26, v25
	s_wait_alu 0xfffe
	s_cmp_eq_u64 s[46:47], 0
	s_add_nc_u64 s[44:45], s[44:45], -16
	v_add3_u32 v9, v11, v9, v20
	v_sub_co_u32 v11, vcc_lo, v12, v22
	s_wait_alu 0xfffd
	v_sub_co_ci_u32_e64 v10, null, v13, v10, vcc_lo
	v_add3_u32 v7, v21, v7, v3
	s_wait_kmcnt 0x0
	v_mad_co_u64_u32 v[8:9], null, s0, v11, v[8:9]
	s_delay_alu instid0(VALU_DEP_3) | instskip(SKIP_4) | instid1(VALU_DEP_4)
	v_mul_lo_u32 v3, s0, v10
	v_mul_lo_u32 v12, s1, v11
	;; [unrolled: 1-line block ×4, first 2 shown]
	v_mad_co_u64_u32 v[6:7], null, s48, v11, v[6:7]
	v_add3_u32 v9, v12, v9, v3
	s_delay_alu instid0(VALU_DEP_2)
	v_add3_u32 v7, v13, v7, v10
	v_dual_mov_b32 v10, v14 :: v_dual_mov_b32 v11, v15
	s_cbranch_scc1 .LBB75_29
.LBB75_21:                              ;   Parent Loop BB75_3 Depth=1
                                        ; =>  This Inner Loop Header: Depth=2
	s_load_b64 s[48:49], s[44:45], 0x8
                                        ; implicit-def: $vgpr12_vgpr13
	s_mov_b32 s0, exec_lo
	s_wait_kmcnt 0x0
	v_or_b32_e32 v3, s49, v11
	s_delay_alu instid0(VALU_DEP_1)
	v_cmpx_ne_u64_e32 0, v[2:3]
	s_wait_alu 0xfffe
	s_xor_b32 s1, exec_lo, s0
	s_cbranch_execz .LBB75_23
; %bb.22:                               ;   in Loop: Header=BB75_21 Depth=2
	s_ashr_i32 s50, s49, 31
	v_ashrrev_i32_e32 v3, 31, v11
	s_wait_alu 0xfffe
	s_mov_b32 s51, s50
	s_wait_alu 0xfffe
	s_add_nc_u64 s[52:53], s[48:49], s[50:51]
	v_add_co_u32 v12, vcc_lo, v10, v3
	s_wait_alu 0xfffe
	s_xor_b64 s[52:53], s[52:53], s[50:51]
	s_wait_alu 0xfffd
	v_add_co_ci_u32_e64 v13, null, v11, v3, vcc_lo
	s_wait_alu 0xfffe
	s_cvt_f32_u32 s0, s52
	s_cvt_f32_u32 s26, s53
	s_sub_nc_u64 s[56:57], 0, s[52:53]
	v_xor_b32_e32 v22, v12, v3
	v_xor_b32_e32 v23, v13, v3
	s_wait_alu 0xfffe
	s_fmamk_f32 s0, s26, 0x4f800000, s0
	v_xor_b32_e32 v3, s50, v3
	s_wait_alu 0xfffe
	s_delay_alu instid0(SALU_CYCLE_1) | instskip(NEXT) | instid1(TRANS32_DEP_1)
	v_s_rcp_f32 s0, s0
	s_mul_f32 s0, s0, 0x5f7ffffc
	s_wait_alu 0xfffe
	s_delay_alu instid0(SALU_CYCLE_2) | instskip(SKIP_1) | instid1(SALU_CYCLE_2)
	s_mul_f32 s26, s0, 0x2f800000
	s_wait_alu 0xfffe
	s_trunc_f32 s26, s26
	s_wait_alu 0xfffe
	s_delay_alu instid0(SALU_CYCLE_2) | instskip(SKIP_2) | instid1(SALU_CYCLE_1)
	s_fmamk_f32 s0, s26, 0xcf800000, s0
	s_cvt_u32_f32 s55, s26
	s_wait_alu 0xfffe
	s_cvt_u32_f32 s54, s0
	s_wait_alu 0xfffe
	s_delay_alu instid0(SALU_CYCLE_2)
	s_mul_u64 s[58:59], s[56:57], s[54:55]
	s_wait_alu 0xfffe
	s_mul_hi_u32 s65, s54, s59
	s_mul_i32 s64, s54, s59
	s_mul_hi_u32 s26, s54, s58
	s_mul_i32 s41, s55, s58
	s_wait_alu 0xfffe
	s_add_nc_u64 s[64:65], s[26:27], s[64:65]
	s_mul_hi_u32 s0, s55, s58
	s_mul_hi_u32 s51, s55, s59
	s_add_co_u32 s26, s64, s41
	s_wait_alu 0xfffe
	s_add_co_ci_u32 s26, s65, s0
	s_mul_i32 s58, s55, s59
	s_add_co_ci_u32 s59, s51, 0
	s_wait_alu 0xfffe
	s_add_nc_u64 s[58:59], s[26:27], s[58:59]
	s_wait_alu 0xfffe
	s_add_co_u32 s54, s54, s58
	s_cselect_b32 s0, -1, 0
	s_wait_alu 0xfffe
	s_cmp_lg_u32 s0, 0
	s_add_co_ci_u32 s55, s55, s59
	s_wait_alu 0xfffe
	s_mul_u64 s[56:57], s[56:57], s[54:55]
	s_wait_alu 0xfffe
	s_mul_hi_u32 s59, s54, s57
	s_mul_i32 s58, s54, s57
	s_mul_hi_u32 s26, s54, s56
	s_mul_i32 s41, s55, s56
	s_wait_alu 0xfffe
	s_add_nc_u64 s[58:59], s[26:27], s[58:59]
	s_mul_hi_u32 s0, s55, s56
	s_mul_hi_u32 s51, s55, s57
	s_wait_alu 0xfffe
	s_add_co_u32 s26, s58, s41
	s_add_co_ci_u32 s26, s59, s0
	s_mul_i32 s56, s55, s57
	s_add_co_ci_u32 s57, s51, 0
	s_wait_alu 0xfffe
	s_add_nc_u64 s[56:57], s[26:27], s[56:57]
	s_wait_alu 0xfffe
	s_add_co_u32 s0, s54, s56
	s_cselect_b32 s26, -1, 0
	s_wait_alu 0xfffe
	v_mul_hi_u32 v24, v22, s0
	s_cmp_lg_u32 s26, 0
	v_mad_co_u64_u32 v[14:15], null, v23, s0, 0
	s_add_co_ci_u32 s26, s55, s57
	s_wait_alu 0xfffe
	v_mad_co_u64_u32 v[12:13], null, v22, s26, 0
	v_mad_co_u64_u32 v[20:21], null, v23, s26, 0
	s_delay_alu instid0(VALU_DEP_2) | instskip(SKIP_1) | instid1(VALU_DEP_3)
	v_add_co_u32 v12, vcc_lo, v24, v12
	s_wait_alu 0xfffd
	v_add_co_ci_u32_e64 v13, null, 0, v13, vcc_lo
	s_delay_alu instid0(VALU_DEP_2) | instskip(SKIP_1) | instid1(VALU_DEP_2)
	v_add_co_u32 v12, vcc_lo, v12, v14
	s_wait_alu 0xfffd
	v_add_co_ci_u32_e32 v12, vcc_lo, v13, v15, vcc_lo
	s_wait_alu 0xfffd
	v_add_co_ci_u32_e32 v13, vcc_lo, 0, v21, vcc_lo
	s_delay_alu instid0(VALU_DEP_2) | instskip(SKIP_1) | instid1(VALU_DEP_2)
	v_add_co_u32 v14, vcc_lo, v12, v20
	s_wait_alu 0xfffd
	v_add_co_ci_u32_e64 v15, null, 0, v13, vcc_lo
	s_delay_alu instid0(VALU_DEP_2) | instskip(SKIP_1) | instid1(VALU_DEP_3)
	v_mul_lo_u32 v20, s53, v14
	v_mad_co_u64_u32 v[12:13], null, s52, v14, 0
	v_mul_lo_u32 v21, s52, v15
	s_delay_alu instid0(VALU_DEP_2) | instskip(NEXT) | instid1(VALU_DEP_2)
	v_sub_co_u32 v12, vcc_lo, v22, v12
	v_add3_u32 v13, v13, v21, v20
	v_add_co_u32 v21, s0, v14, 2
	s_wait_alu 0xf1ff
	v_add_co_ci_u32_e64 v22, null, 0, v15, s0
	s_delay_alu instid0(VALU_DEP_3) | instskip(SKIP_3) | instid1(VALU_DEP_3)
	v_sub_nc_u32_e32 v20, v23, v13
	v_sub_co_u32 v24, s0, v12, s52
	s_wait_alu 0xfffd
	v_sub_co_ci_u32_e64 v13, null, v23, v13, vcc_lo
	v_subrev_co_ci_u32_e64 v20, null, s53, v20, vcc_lo
	s_delay_alu instid0(VALU_DEP_3) | instskip(SKIP_1) | instid1(VALU_DEP_2)
	v_cmp_le_u32_e32 vcc_lo, s52, v24
	s_wait_alu 0xf1ff
	v_subrev_co_ci_u32_e64 v20, null, 0, v20, s0
	s_wait_alu 0xfffd
	v_cndmask_b32_e64 v23, 0, -1, vcc_lo
	s_delay_alu instid0(VALU_DEP_2)
	v_cmp_le_u32_e32 vcc_lo, s53, v20
	s_wait_alu 0xfffd
	v_cndmask_b32_e64 v24, 0, -1, vcc_lo
	v_cmp_le_u32_e32 vcc_lo, s52, v12
	s_wait_alu 0xfffd
	v_cndmask_b32_e64 v12, 0, -1, vcc_lo
	;; [unrolled: 3-line block ×3, first 2 shown]
	v_cmp_eq_u32_e32 vcc_lo, s53, v20
	s_wait_alu 0xfffd
	v_cndmask_b32_e32 v20, v24, v23, vcc_lo
	v_add_co_u32 v23, vcc_lo, v14, 1
	s_wait_alu 0xfffd
	v_add_co_ci_u32_e64 v24, null, 0, v15, vcc_lo
	v_cmp_eq_u32_e32 vcc_lo, s53, v13
	s_wait_alu 0xfffd
	v_cndmask_b32_e32 v12, v25, v12, vcc_lo
	v_cmp_ne_u32_e32 vcc_lo, 0, v20
	s_wait_alu 0xfffd
	v_cndmask_b32_e32 v13, v24, v22, vcc_lo
	s_delay_alu instid0(VALU_DEP_3) | instskip(SKIP_2) | instid1(VALU_DEP_2)
	v_cmp_ne_u32_e64 s0, 0, v12
	v_cndmask_b32_e32 v12, v23, v21, vcc_lo
	s_wait_alu 0xf1ff
	v_cndmask_b32_e64 v13, v15, v13, s0
	s_delay_alu instid0(VALU_DEP_2) | instskip(NEXT) | instid1(VALU_DEP_2)
	v_cndmask_b32_e64 v12, v14, v12, s0
	v_xor_b32_e32 v13, v13, v3
	s_delay_alu instid0(VALU_DEP_2) | instskip(NEXT) | instid1(VALU_DEP_1)
	v_xor_b32_e32 v12, v12, v3
	v_sub_co_u32 v12, vcc_lo, v12, v3
	s_wait_alu 0xfffd
	s_delay_alu instid0(VALU_DEP_3)
	v_sub_co_ci_u32_e64 v13, null, v13, v3, vcc_lo
.LBB75_23:                              ;   in Loop: Header=BB75_21 Depth=2
	s_wait_alu 0xfffe
	s_and_not1_saveexec_b32 s0, s1
	s_cbranch_execz .LBB75_25
; %bb.24:                               ;   in Loop: Header=BB75_21 Depth=2
	v_cvt_f32_u32_e32 v3, s48
	s_sub_co_i32 s1, 0, s48
	s_delay_alu instid0(VALU_DEP_1) | instskip(NEXT) | instid1(TRANS32_DEP_1)
	v_rcp_iflag_f32_e32 v3, v3
	v_mul_f32_e32 v3, 0x4f7ffffe, v3
	s_delay_alu instid0(VALU_DEP_1) | instskip(SKIP_1) | instid1(VALU_DEP_1)
	v_cvt_u32_f32_e32 v3, v3
	s_wait_alu 0xfffe
	v_mul_lo_u32 v12, s1, v3
	s_delay_alu instid0(VALU_DEP_1) | instskip(NEXT) | instid1(VALU_DEP_1)
	v_mul_hi_u32 v12, v3, v12
	v_add_nc_u32_e32 v3, v3, v12
	s_delay_alu instid0(VALU_DEP_1) | instskip(NEXT) | instid1(VALU_DEP_1)
	v_mul_hi_u32 v3, v10, v3
	v_mul_lo_u32 v12, v3, s48
	v_add_nc_u32_e32 v13, 1, v3
	s_delay_alu instid0(VALU_DEP_2) | instskip(NEXT) | instid1(VALU_DEP_1)
	v_sub_nc_u32_e32 v12, v10, v12
	v_subrev_nc_u32_e32 v14, s48, v12
	v_cmp_le_u32_e32 vcc_lo, s48, v12
	s_wait_alu 0xfffd
	s_delay_alu instid0(VALU_DEP_2) | instskip(NEXT) | instid1(VALU_DEP_1)
	v_dual_cndmask_b32 v12, v12, v14 :: v_dual_cndmask_b32 v3, v3, v13
	v_cmp_le_u32_e32 vcc_lo, s48, v12
	s_delay_alu instid0(VALU_DEP_2) | instskip(SKIP_1) | instid1(VALU_DEP_1)
	v_add_nc_u32_e32 v13, 1, v3
	s_wait_alu 0xfffd
	v_dual_cndmask_b32 v12, v3, v13 :: v_dual_mov_b32 v13, v2
.LBB75_25:                              ;   in Loop: Header=BB75_21 Depth=2
	s_wait_alu 0xfffe
	s_or_b32 exec_lo, exec_lo, s0
	s_clause 0x1
	s_load_b64 s[54:55], s[44:45], 0x0
	s_load_b64 s[52:53], s[44:45], 0xd0
	;; [unrolled: 1-line block ×3, first 2 shown]
                                        ; implicit-def: $vgpr14_vgpr15
	s_mov_b32 s0, exec_lo
	s_wait_kmcnt 0x0
	v_or_b32_e32 v3, s55, v13
	s_delay_alu instid0(VALU_DEP_1)
	v_cmpx_ne_u64_e32 0, v[2:3]
	s_wait_alu 0xfffe
	s_xor_b32 s1, exec_lo, s0
	s_cbranch_execz .LBB75_27
; %bb.26:                               ;   in Loop: Header=BB75_21 Depth=2
	s_ashr_i32 s56, s55, 31
	v_ashrrev_i32_e32 v3, 31, v13
	s_wait_alu 0xfffe
	s_mov_b32 s57, s56
	s_wait_alu 0xfffe
	s_add_nc_u64 s[58:59], s[54:55], s[56:57]
	v_add_co_u32 v14, vcc_lo, v12, v3
	s_wait_alu 0xfffe
	s_xor_b64 s[58:59], s[58:59], s[56:57]
	s_wait_alu 0xfffd
	v_add_co_ci_u32_e64 v15, null, v13, v3, vcc_lo
	s_wait_alu 0xfffe
	s_cvt_f32_u32 s0, s58
	s_cvt_f32_u32 s26, s59
	s_sub_nc_u64 s[66:67], 0, s[58:59]
	v_xor_b32_e32 v24, v14, v3
	v_xor_b32_e32 v25, v15, v3
	s_wait_alu 0xfffe
	s_fmamk_f32 s0, s26, 0x4f800000, s0
	v_xor_b32_e32 v3, s56, v3
	s_wait_alu 0xfffe
	s_delay_alu instid0(SALU_CYCLE_1) | instskip(NEXT) | instid1(TRANS32_DEP_1)
	v_s_rcp_f32 s0, s0
	s_mul_f32 s0, s0, 0x5f7ffffc
	s_wait_alu 0xfffe
	s_delay_alu instid0(SALU_CYCLE_2) | instskip(SKIP_1) | instid1(SALU_CYCLE_2)
	s_mul_f32 s26, s0, 0x2f800000
	s_wait_alu 0xfffe
	s_trunc_f32 s26, s26
	s_wait_alu 0xfffe
	s_delay_alu instid0(SALU_CYCLE_2) | instskip(SKIP_2) | instid1(SALU_CYCLE_1)
	s_fmamk_f32 s0, s26, 0xcf800000, s0
	s_cvt_u32_f32 s65, s26
	s_wait_alu 0xfffe
	s_cvt_u32_f32 s64, s0
	s_delay_alu instid0(SALU_CYCLE_3) | instskip(NEXT) | instid1(SALU_CYCLE_1)
	s_mul_u64 s[68:69], s[66:67], s[64:65]
	s_mul_hi_u32 s71, s64, s69
	s_mul_i32 s70, s64, s69
	s_mul_hi_u32 s26, s64, s68
	s_mul_i32 s41, s65, s68
	s_wait_alu 0xfffe
	s_add_nc_u64 s[70:71], s[26:27], s[70:71]
	s_mul_hi_u32 s0, s65, s68
	s_mul_hi_u32 s57, s65, s69
	s_add_co_u32 s26, s70, s41
	s_wait_alu 0xfffe
	s_add_co_ci_u32 s26, s71, s0
	s_mul_i32 s68, s65, s69
	s_add_co_ci_u32 s69, s57, 0
	s_wait_alu 0xfffe
	s_add_nc_u64 s[68:69], s[26:27], s[68:69]
	s_delay_alu instid0(SALU_CYCLE_1) | instskip(SKIP_4) | instid1(SALU_CYCLE_1)
	s_add_co_u32 s64, s64, s68
	s_cselect_b32 s0, -1, 0
	s_wait_alu 0xfffe
	s_cmp_lg_u32 s0, 0
	s_add_co_ci_u32 s65, s65, s69
	s_mul_u64 s[66:67], s[66:67], s[64:65]
	s_delay_alu instid0(SALU_CYCLE_1)
	s_mul_hi_u32 s69, s64, s67
	s_mul_i32 s68, s64, s67
	s_mul_hi_u32 s26, s64, s66
	s_mul_i32 s41, s65, s66
	s_wait_alu 0xfffe
	s_add_nc_u64 s[68:69], s[26:27], s[68:69]
	s_mul_hi_u32 s0, s65, s66
	s_mul_hi_u32 s57, s65, s67
	s_add_co_u32 s26, s68, s41
	s_wait_alu 0xfffe
	s_add_co_ci_u32 s26, s69, s0
	s_mul_i32 s66, s65, s67
	s_add_co_ci_u32 s67, s57, 0
	s_wait_alu 0xfffe
	s_add_nc_u64 s[66:67], s[26:27], s[66:67]
	s_delay_alu instid0(SALU_CYCLE_1)
	s_add_co_u32 s0, s64, s66
	s_cselect_b32 s26, -1, 0
	s_wait_alu 0xfffe
	v_mul_hi_u32 v26, v24, s0
	s_cmp_lg_u32 s26, 0
	v_mad_co_u64_u32 v[20:21], null, v25, s0, 0
	s_add_co_ci_u32 s26, s65, s67
	s_wait_alu 0xfffe
	v_mad_co_u64_u32 v[14:15], null, v24, s26, 0
	v_mad_co_u64_u32 v[22:23], null, v25, s26, 0
	s_delay_alu instid0(VALU_DEP_2) | instskip(SKIP_1) | instid1(VALU_DEP_3)
	v_add_co_u32 v14, vcc_lo, v26, v14
	s_wait_alu 0xfffd
	v_add_co_ci_u32_e64 v15, null, 0, v15, vcc_lo
	s_delay_alu instid0(VALU_DEP_2) | instskip(SKIP_1) | instid1(VALU_DEP_2)
	v_add_co_u32 v14, vcc_lo, v14, v20
	s_wait_alu 0xfffd
	v_add_co_ci_u32_e32 v14, vcc_lo, v15, v21, vcc_lo
	s_wait_alu 0xfffd
	v_add_co_ci_u32_e32 v15, vcc_lo, 0, v23, vcc_lo
	s_delay_alu instid0(VALU_DEP_2) | instskip(SKIP_1) | instid1(VALU_DEP_2)
	v_add_co_u32 v20, vcc_lo, v14, v22
	s_wait_alu 0xfffd
	v_add_co_ci_u32_e64 v21, null, 0, v15, vcc_lo
	s_delay_alu instid0(VALU_DEP_2) | instskip(SKIP_1) | instid1(VALU_DEP_3)
	v_mul_lo_u32 v22, s59, v20
	v_mad_co_u64_u32 v[14:15], null, s58, v20, 0
	v_mul_lo_u32 v23, s58, v21
	s_delay_alu instid0(VALU_DEP_2) | instskip(NEXT) | instid1(VALU_DEP_2)
	v_sub_co_u32 v14, vcc_lo, v24, v14
	v_add3_u32 v15, v15, v23, v22
	v_add_co_u32 v23, s0, v20, 2
	s_wait_alu 0xf1ff
	v_add_co_ci_u32_e64 v24, null, 0, v21, s0
	s_delay_alu instid0(VALU_DEP_3) | instskip(SKIP_3) | instid1(VALU_DEP_3)
	v_sub_nc_u32_e32 v22, v25, v15
	v_sub_co_u32 v26, s0, v14, s58
	s_wait_alu 0xfffd
	v_sub_co_ci_u32_e64 v15, null, v25, v15, vcc_lo
	v_subrev_co_ci_u32_e64 v22, null, s59, v22, vcc_lo
	s_delay_alu instid0(VALU_DEP_3) | instskip(SKIP_1) | instid1(VALU_DEP_2)
	v_cmp_le_u32_e32 vcc_lo, s58, v26
	s_wait_alu 0xf1ff
	v_subrev_co_ci_u32_e64 v22, null, 0, v22, s0
	s_wait_alu 0xfffd
	v_cndmask_b32_e64 v25, 0, -1, vcc_lo
	s_delay_alu instid0(VALU_DEP_2)
	v_cmp_le_u32_e32 vcc_lo, s59, v22
	s_wait_alu 0xfffd
	v_cndmask_b32_e64 v26, 0, -1, vcc_lo
	v_cmp_le_u32_e32 vcc_lo, s58, v14
	s_wait_alu 0xfffd
	v_cndmask_b32_e64 v14, 0, -1, vcc_lo
	;; [unrolled: 3-line block ×3, first 2 shown]
	v_cmp_eq_u32_e32 vcc_lo, s59, v22
	s_wait_alu 0xfffd
	v_cndmask_b32_e32 v22, v26, v25, vcc_lo
	v_add_co_u32 v25, vcc_lo, v20, 1
	s_wait_alu 0xfffd
	v_add_co_ci_u32_e64 v26, null, 0, v21, vcc_lo
	v_cmp_eq_u32_e32 vcc_lo, s59, v15
	s_wait_alu 0xfffd
	v_cndmask_b32_e32 v14, v27, v14, vcc_lo
	v_cmp_ne_u32_e32 vcc_lo, 0, v22
	s_wait_alu 0xfffd
	v_cndmask_b32_e32 v15, v26, v24, vcc_lo
	s_delay_alu instid0(VALU_DEP_3) | instskip(SKIP_2) | instid1(VALU_DEP_2)
	v_cmp_ne_u32_e64 s0, 0, v14
	v_cndmask_b32_e32 v14, v25, v23, vcc_lo
	s_wait_alu 0xf1ff
	v_cndmask_b32_e64 v15, v21, v15, s0
	s_delay_alu instid0(VALU_DEP_2) | instskip(NEXT) | instid1(VALU_DEP_2)
	v_cndmask_b32_e64 v14, v20, v14, s0
	v_xor_b32_e32 v15, v15, v3
	s_delay_alu instid0(VALU_DEP_2) | instskip(NEXT) | instid1(VALU_DEP_1)
	v_xor_b32_e32 v14, v14, v3
	v_sub_co_u32 v14, vcc_lo, v14, v3
	s_wait_alu 0xfffd
	s_delay_alu instid0(VALU_DEP_3)
	v_sub_co_ci_u32_e64 v15, null, v15, v3, vcc_lo
.LBB75_27:                              ;   in Loop: Header=BB75_21 Depth=2
	s_wait_alu 0xfffe
	s_and_not1_saveexec_b32 s0, s1
	s_cbranch_execz .LBB75_20
; %bb.28:                               ;   in Loop: Header=BB75_21 Depth=2
	v_cvt_f32_u32_e32 v3, s54
	s_sub_co_i32 s1, 0, s54
	s_delay_alu instid0(VALU_DEP_1) | instskip(NEXT) | instid1(TRANS32_DEP_1)
	v_rcp_iflag_f32_e32 v3, v3
	v_mul_f32_e32 v3, 0x4f7ffffe, v3
	s_delay_alu instid0(VALU_DEP_1) | instskip(SKIP_1) | instid1(VALU_DEP_1)
	v_cvt_u32_f32_e32 v3, v3
	s_wait_alu 0xfffe
	v_mul_lo_u32 v14, s1, v3
	s_delay_alu instid0(VALU_DEP_1) | instskip(NEXT) | instid1(VALU_DEP_1)
	v_mul_hi_u32 v14, v3, v14
	v_add_nc_u32_e32 v3, v3, v14
	s_delay_alu instid0(VALU_DEP_1) | instskip(NEXT) | instid1(VALU_DEP_1)
	v_mul_hi_u32 v3, v12, v3
	v_mul_lo_u32 v14, v3, s54
	v_add_nc_u32_e32 v15, 1, v3
	s_delay_alu instid0(VALU_DEP_2) | instskip(NEXT) | instid1(VALU_DEP_1)
	v_sub_nc_u32_e32 v14, v12, v14
	v_subrev_nc_u32_e32 v20, s54, v14
	v_cmp_le_u32_e32 vcc_lo, s54, v14
	s_wait_alu 0xfffd
	s_delay_alu instid0(VALU_DEP_2) | instskip(NEXT) | instid1(VALU_DEP_1)
	v_dual_cndmask_b32 v14, v14, v20 :: v_dual_cndmask_b32 v3, v3, v15
	v_cmp_le_u32_e32 vcc_lo, s54, v14
	s_delay_alu instid0(VALU_DEP_2) | instskip(SKIP_1) | instid1(VALU_DEP_1)
	v_add_nc_u32_e32 v15, 1, v3
	s_wait_alu 0xfffd
	v_dual_cndmask_b32 v14, v3, v15 :: v_dual_mov_b32 v15, v2
	s_branch .LBB75_20
.LBB75_29:                              ;   in Loop: Header=BB75_3 Depth=1
	v_sub_co_u32 v10, vcc_lo, v4, v16
	s_wait_alu 0xfffd
	v_sub_co_ci_u32_e64 v11, null, v5, v17, vcc_lo
	v_mov_b32_e32 v12, 0
	s_delay_alu instid0(VALU_DEP_3)
	v_add_co_u32 v14, vcc_lo, v10, 2
	v_dual_mov_b32 v13, 0 :: v_dual_mov_b32 v16, 0
	s_wait_alu 0xfffd
	v_add_co_ci_u32_e64 v15, null, 0, v11, vcc_lo
	v_mov_b32_e32 v17, 0
	s_mov_b32 s1, exec_lo
	s_delay_alu instid0(VALU_DEP_2)
	v_cmpx_le_i64_e64 s[4:5], v[14:15]
	s_cbranch_execz .LBB75_35
; %bb.30:                               ;   in Loop: Header=BB75_3 Depth=1
	v_mov_b32_e32 v12, 0
	v_dual_mov_b32 v13, 0 :: v_dual_mov_b32 v14, 0
	v_mov_b32_e32 v15, 0
	s_mov_b32 s0, exec_lo
	v_cmpx_gt_i64_e64 s[10:11], v[4:5]
	s_cbranch_execz .LBB75_34
; %bb.31:                               ;   in Loop: Header=BB75_3 Depth=1
	v_lshlrev_b64_e32 v[8:9], 3, v[8:9]
	s_delay_alu instid0(VALU_DEP_1) | instskip(SKIP_1) | instid1(VALU_DEP_2)
	v_add_co_u32 v8, vcc_lo, s2, v8
	s_wait_alu 0xfffd
	v_add_co_ci_u32_e64 v9, null, s3, v9, vcc_lo
	v_add_co_u32 v14, vcc_lo, v4, 1
	s_wait_alu 0xfffd
	v_add_co_ci_u32_e64 v15, null, 0, v5, vcc_lo
	global_load_b64 v[12:13], v[8:9], off
	v_cmp_gt_i64_e32 vcc_lo, s[10:11], v[14:15]
	v_mov_b32_e32 v14, 0
	v_mov_b32_e32 v15, 0
	s_and_saveexec_b32 s26, vcc_lo
	s_wait_alu 0xfffe
	s_xor_b32 s26, exec_lo, s26
	s_cbranch_execz .LBB75_33
; %bb.32:                               ;   in Loop: Header=BB75_3 Depth=1
	s_lshl_b64 s[42:43], s[14:15], 3
	s_wait_alu 0xfffe
	v_add_co_u32 v8, vcc_lo, v8, s42
	s_wait_alu 0xfffd
	v_add_co_ci_u32_e64 v9, null, s43, v9, vcc_lo
	global_load_b64 v[14:15], v[8:9], off
.LBB75_33:                              ;   in Loop: Header=BB75_3 Depth=1
	s_wait_alu 0xfffe
	s_or_b32 exec_lo, exec_lo, s26
.LBB75_34:                              ;   in Loop: Header=BB75_3 Depth=1
	s_wait_alu 0xfffe
	s_or_b32 exec_lo, exec_lo, s0
	v_add_co_u32 v8, vcc_lo, v10, 1
	s_wait_alu 0xfffd
	v_add_co_ci_u32_e64 v9, null, 0, v11, vcc_lo
	v_cmp_le_i64_e32 vcc_lo, s[4:5], v[10:11]
	s_delay_alu instid0(VALU_DEP_2) | instskip(SKIP_4) | instid1(VALU_DEP_2)
	v_cmp_le_i64_e64 s0, s[4:5], v[8:9]
	s_wait_loadcnt 0x0
	s_wait_alu 0xfffd
	v_dual_cndmask_b32 v17, 0, v13 :: v_dual_cndmask_b32 v16, 0, v12
	s_wait_alu 0xf1ff
	v_cndmask_b32_e64 v13, 0, v15, s0
	v_cndmask_b32_e64 v12, 0, v14, s0
.LBB75_35:                              ;   in Loop: Header=BB75_3 Depth=1
	s_wait_alu 0xfffe
	s_or_b32 exec_lo, exec_lo, s1
	s_delay_alu instid0(SALU_CYCLE_1)
	s_mov_b32 s0, exec_lo
	v_cmpx_gt_i64_e64 s[10:11], v[4:5]
	s_cbranch_execz .LBB75_2
; %bb.36:                               ;   in Loop: Header=BB75_3 Depth=1
	v_lshlrev_b64_e32 v[6:7], 3, v[6:7]
	v_add_co_u32 v8, vcc_lo, v4, 1
	s_wait_alu 0xfffd
	v_add_co_ci_u32_e64 v9, null, 0, v5, vcc_lo
	s_mov_b32 s1, exec_lo
	v_add_co_u32 v3, vcc_lo, s24, v6
	s_wait_alu 0xfffd
	v_add_co_ci_u32_e64 v4, null, s25, v7, vcc_lo
	global_store_b64 v[3:4], v[16:17], off
	v_cmpx_gt_i64_e64 s[10:11], v[8:9]
	s_wait_alu 0xfffe
	s_xor_b32 s1, exec_lo, s1
	s_cbranch_execz .LBB75_2
; %bb.37:                               ;   in Loop: Header=BB75_3 Depth=1
	s_lshl_b64 s[42:43], s[18:19], 3
	s_wait_alu 0xfffe
	v_add_co_u32 v3, vcc_lo, v3, s42
	s_wait_alu 0xfffd
	v_add_co_ci_u32_e64 v4, null, s43, v4, vcc_lo
	global_store_b64 v[3:4], v[12:13], off
	s_branch .LBB75_2
.LBB75_38:
	s_endpgm
	.section	.rodata,"a",@progbits
	.p2align	6, 0x0
	.amdhsa_kernel _ZN2at6native16triu_tril_kernelIdlLb1ELi2ELb0EEEvNS_4cuda6detail10TensorInfoIT_T0_EENS4_IKS5_S6_EEllS6_
		.amdhsa_group_segment_fixed_size 0
		.amdhsa_private_segment_fixed_size 0
		.amdhsa_kernarg_size 1112
		.amdhsa_user_sgpr_count 2
		.amdhsa_user_sgpr_dispatch_ptr 0
		.amdhsa_user_sgpr_queue_ptr 0
		.amdhsa_user_sgpr_kernarg_segment_ptr 1
		.amdhsa_user_sgpr_dispatch_id 0
		.amdhsa_user_sgpr_private_segment_size 0
		.amdhsa_wavefront_size32 1
		.amdhsa_uses_dynamic_stack 0
		.amdhsa_enable_private_segment 0
		.amdhsa_system_sgpr_workgroup_id_x 1
		.amdhsa_system_sgpr_workgroup_id_y 0
		.amdhsa_system_sgpr_workgroup_id_z 0
		.amdhsa_system_sgpr_workgroup_info 0
		.amdhsa_system_vgpr_workitem_id 0
		.amdhsa_next_free_vgpr 28
		.amdhsa_next_free_sgpr 72
		.amdhsa_reserve_vcc 1
		.amdhsa_float_round_mode_32 0
		.amdhsa_float_round_mode_16_64 0
		.amdhsa_float_denorm_mode_32 3
		.amdhsa_float_denorm_mode_16_64 3
		.amdhsa_fp16_overflow 0
		.amdhsa_workgroup_processor_mode 1
		.amdhsa_memory_ordered 1
		.amdhsa_forward_progress 1
		.amdhsa_inst_pref_size 52
		.amdhsa_round_robin_scheduling 0
		.amdhsa_exception_fp_ieee_invalid_op 0
		.amdhsa_exception_fp_denorm_src 0
		.amdhsa_exception_fp_ieee_div_zero 0
		.amdhsa_exception_fp_ieee_overflow 0
		.amdhsa_exception_fp_ieee_underflow 0
		.amdhsa_exception_fp_ieee_inexact 0
		.amdhsa_exception_int_div_zero 0
	.end_amdhsa_kernel
	.section	.text._ZN2at6native16triu_tril_kernelIdlLb1ELi2ELb0EEEvNS_4cuda6detail10TensorInfoIT_T0_EENS4_IKS5_S6_EEllS6_,"axG",@progbits,_ZN2at6native16triu_tril_kernelIdlLb1ELi2ELb0EEEvNS_4cuda6detail10TensorInfoIT_T0_EENS4_IKS5_S6_EEllS6_,comdat
.Lfunc_end75:
	.size	_ZN2at6native16triu_tril_kernelIdlLb1ELi2ELb0EEEvNS_4cuda6detail10TensorInfoIT_T0_EENS4_IKS5_S6_EEllS6_, .Lfunc_end75-_ZN2at6native16triu_tril_kernelIdlLb1ELi2ELb0EEEvNS_4cuda6detail10TensorInfoIT_T0_EENS4_IKS5_S6_EEllS6_
                                        ; -- End function
	.set _ZN2at6native16triu_tril_kernelIdlLb1ELi2ELb0EEEvNS_4cuda6detail10TensorInfoIT_T0_EENS4_IKS5_S6_EEllS6_.num_vgpr, 28
	.set _ZN2at6native16triu_tril_kernelIdlLb1ELi2ELb0EEEvNS_4cuda6detail10TensorInfoIT_T0_EENS4_IKS5_S6_EEllS6_.num_agpr, 0
	.set _ZN2at6native16triu_tril_kernelIdlLb1ELi2ELb0EEEvNS_4cuda6detail10TensorInfoIT_T0_EENS4_IKS5_S6_EEllS6_.numbered_sgpr, 72
	.set _ZN2at6native16triu_tril_kernelIdlLb1ELi2ELb0EEEvNS_4cuda6detail10TensorInfoIT_T0_EENS4_IKS5_S6_EEllS6_.num_named_barrier, 0
	.set _ZN2at6native16triu_tril_kernelIdlLb1ELi2ELb0EEEvNS_4cuda6detail10TensorInfoIT_T0_EENS4_IKS5_S6_EEllS6_.private_seg_size, 0
	.set _ZN2at6native16triu_tril_kernelIdlLb1ELi2ELb0EEEvNS_4cuda6detail10TensorInfoIT_T0_EENS4_IKS5_S6_EEllS6_.uses_vcc, 1
	.set _ZN2at6native16triu_tril_kernelIdlLb1ELi2ELb0EEEvNS_4cuda6detail10TensorInfoIT_T0_EENS4_IKS5_S6_EEllS6_.uses_flat_scratch, 0
	.set _ZN2at6native16triu_tril_kernelIdlLb1ELi2ELb0EEEvNS_4cuda6detail10TensorInfoIT_T0_EENS4_IKS5_S6_EEllS6_.has_dyn_sized_stack, 0
	.set _ZN2at6native16triu_tril_kernelIdlLb1ELi2ELb0EEEvNS_4cuda6detail10TensorInfoIT_T0_EENS4_IKS5_S6_EEllS6_.has_recursion, 0
	.set _ZN2at6native16triu_tril_kernelIdlLb1ELi2ELb0EEEvNS_4cuda6detail10TensorInfoIT_T0_EENS4_IKS5_S6_EEllS6_.has_indirect_call, 0
	.section	.AMDGPU.csdata,"",@progbits
; Kernel info:
; codeLenInByte = 6540
; TotalNumSgprs: 74
; NumVgprs: 28
; ScratchSize: 0
; MemoryBound: 0
; FloatMode: 240
; IeeeMode: 1
; LDSByteSize: 0 bytes/workgroup (compile time only)
; SGPRBlocks: 0
; VGPRBlocks: 3
; NumSGPRsForWavesPerEU: 74
; NumVGPRsForWavesPerEU: 28
; Occupancy: 16
; WaveLimiterHint : 0
; COMPUTE_PGM_RSRC2:SCRATCH_EN: 0
; COMPUTE_PGM_RSRC2:USER_SGPR: 2
; COMPUTE_PGM_RSRC2:TRAP_HANDLER: 0
; COMPUTE_PGM_RSRC2:TGID_X_EN: 1
; COMPUTE_PGM_RSRC2:TGID_Y_EN: 0
; COMPUTE_PGM_RSRC2:TGID_Z_EN: 0
; COMPUTE_PGM_RSRC2:TIDIG_COMP_CNT: 0
	.section	.text._ZN2at6native16triu_tril_kernelIfiLb1ELi2ELb1EEEvNS_4cuda6detail10TensorInfoIT_T0_EENS4_IKS5_S6_EEllS6_,"axG",@progbits,_ZN2at6native16triu_tril_kernelIfiLb1ELi2ELb1EEEvNS_4cuda6detail10TensorInfoIT_T0_EENS4_IKS5_S6_EEllS6_,comdat
	.protected	_ZN2at6native16triu_tril_kernelIfiLb1ELi2ELb1EEEvNS_4cuda6detail10TensorInfoIT_T0_EENS4_IKS5_S6_EEllS6_ ; -- Begin function _ZN2at6native16triu_tril_kernelIfiLb1ELi2ELb1EEEvNS_4cuda6detail10TensorInfoIT_T0_EENS4_IKS5_S6_EEllS6_
	.globl	_ZN2at6native16triu_tril_kernelIfiLb1ELi2ELb1EEEvNS_4cuda6detail10TensorInfoIT_T0_EENS4_IKS5_S6_EEllS6_
	.p2align	8
	.type	_ZN2at6native16triu_tril_kernelIfiLb1ELi2ELb1EEEvNS_4cuda6detail10TensorInfoIT_T0_EENS4_IKS5_S6_EEllS6_,@function
_ZN2at6native16triu_tril_kernelIfiLb1ELi2ELb1EEEvNS_4cuda6detail10TensorInfoIT_T0_EENS4_IKS5_S6_EEllS6_: ; @_ZN2at6native16triu_tril_kernelIfiLb1ELi2ELb1EEEvNS_4cuda6detail10TensorInfoIT_T0_EENS4_IKS5_S6_EEllS6_
; %bb.0:
	s_clause 0x1
	s_load_b32 s2, s[0:1], 0x1d4
	s_load_b128 s[4:7], s[0:1], 0x1b0
	v_mov_b32_e32 v2, 0
	s_mov_b32 s3, exec_lo
	s_delay_alu instid0(VALU_DEP_1)
	v_mov_b32_e32 v1, v2
	s_wait_kmcnt 0x0
	s_and_b32 s2, s2, 0xffff
	s_delay_alu instid0(VALU_DEP_1) | instid1(SALU_CYCLE_1)
	v_mad_co_u64_u32 v[0:1], null, s2, ttmp9, v[0:1]
	s_delay_alu instid0(VALU_DEP_1) | instskip(NEXT) | instid1(VALU_DEP_1)
	v_lshlrev_b64_e32 v[0:1], 1, v[0:1]
	v_cmpx_gt_i64_e64 s[6:7], v[0:1]
	s_cbranch_execz .LBB76_60
; %bb.1:
	s_clause 0x1
	s_load_b32 s20, s[0:1], 0x1a8
	s_load_b32 s8, s[0:1], 0x1c0
	s_add_nc_u64 s[12:13], s[0:1], 0x1c8
	s_add_nc_u64 s[10:11], s[0:1], 0xd8
	s_load_b32 s3, s[12:13], 0x0
	s_mov_b32 s19, 0
	s_mov_b32 s57, 0
	s_wait_kmcnt 0x0
	s_ashr_i32 s21, s20, 31
	v_cvt_f32_u32_e32 v3, s8
	s_lshl_b64 s[22:23], s[20:21], 2
	s_add_co_i32 s9, s20, 6
	s_add_nc_u64 s[12:13], s[10:11], s[22:23]
	s_mul_i32 s3, s3, s2
	s_clause 0x1
	s_load_b32 s14, s[12:13], 0x0
	s_load_b64 s[16:17], s[0:1], 0x0
	v_rcp_iflag_f32_e32 v3, v3
	s_and_b32 s18, s20, 7
	s_add_co_i32 s33, s20, -3
	s_and_b32 s52, s9, 7
	s_lshl_b32 s53, s3, 1
	s_ashr_i32 s9, s8, 31
	v_cmp_gt_i64_e64 s56, s[20:21], 2
	s_add_nc_u64 s[20:21], s[0:1], s[22:23]
	s_wait_kmcnt 0x0
	v_cvt_f32_u32_e32 v4, s14
	s_ashr_i32 s15, s14, 31
	s_cmp_lg_u32 s18, 2
	s_cselect_b32 s54, -1, 0
	s_delay_alu instid0(VALU_DEP_1)
	v_rcp_iflag_f32_e32 v4, v4
	v_mul_f32_e32 v3, 0x4f7ffffe, v3
	s_cmp_gt_u32 s33, 6
	s_cselect_b32 s55, -1, 0
	s_sub_co_i32 s2, 0, s8
	s_wait_alu 0xfffe
	s_ashr_i32 s22, s9, 31
	s_ashr_i32 s24, s15, 31
	s_delay_alu instid0(TRANS32_DEP_1) | instskip(SKIP_1) | instid1(VALU_DEP_2)
	v_mul_f32_e32 v4, 0x4f7ffffe, v4
	v_cvt_u32_f32_e32 v3, v3
	v_cvt_u32_f32_e32 v24, v4
	s_delay_alu instid0(VALU_DEP_2) | instskip(NEXT) | instid1(VALU_DEP_1)
	v_mul_lo_u32 v5, s2, v3
	v_mul_hi_u32 v5, v3, v5
	s_delay_alu instid0(VALU_DEP_1)
	v_add_nc_u32_e32 v25, v3, v5
	s_branch .LBB76_3
.LBB76_2:                               ;   in Loop: Header=BB76_3 Depth=1
	s_wait_alu 0xfffe
	s_or_b32 exec_lo, exec_lo, s23
	v_add_co_u32 v0, vcc_lo, v0, s53
	s_wait_alu 0xfffd
	v_add_co_ci_u32_e64 v1, null, 0, v1, vcc_lo
	s_delay_alu instid0(VALU_DEP_1) | instskip(SKIP_1) | instid1(SALU_CYCLE_1)
	v_cmp_le_i64_e32 vcc_lo, s[6:7], v[0:1]
	s_or_b32 s57, vcc_lo, s57
	s_and_not1_b32 exec_lo, exec_lo, s57
	s_cbranch_execz .LBB76_60
.LBB76_3:                               ; =>This Loop Header: Depth=1
                                        ;     Child Loop BB76_16 Depth 2
                                        ;     Child Loop BB76_22 Depth 2
	v_or_b32_e32 v3, s9, v1
                                        ; implicit-def: $vgpr4_vgpr5
	s_mov_b32 s2, exec_lo
	s_delay_alu instid0(VALU_DEP_1)
	v_cmpx_ne_u64_e32 0, v[2:3]
	s_wait_alu 0xfffe
	s_xor_b32 s3, exec_lo, s2
	s_cbranch_execz .LBB76_5
; %bb.4:                                ;   in Loop: Header=BB76_3 Depth=1
	s_mov_b32 s23, s22
	v_ashrrev_i32_e32 v9, 31, v1
	s_wait_alu 0xfffe
	s_add_nc_u64 s[26:27], s[8:9], s[22:23]
	s_wait_alu 0xfffe
	s_xor_b64 s[26:27], s[26:27], s[22:23]
	v_add_co_u32 v3, vcc_lo, v0, v9
	s_wait_alu 0xfffe
	s_cvt_f32_u32 s2, s26
	s_cvt_f32_u32 s18, s27
	s_sub_nc_u64 s[30:31], 0, s[26:27]
	s_wait_alu 0xfffd
	v_add_co_ci_u32_e64 v4, null, v1, v9, vcc_lo
	s_wait_alu 0xfffe
	s_fmamk_f32 s2, s18, 0x4f800000, s2
	v_xor_b32_e32 v10, v3, v9
	s_delay_alu instid0(VALU_DEP_2) | instskip(SKIP_2) | instid1(TRANS32_DEP_1)
	v_xor_b32_e32 v11, v4, v9
	s_wait_alu 0xfffe
	v_s_rcp_f32 s2, s2
	s_mul_f32 s2, s2, 0x5f7ffffc
	s_wait_alu 0xfffe
	s_delay_alu instid0(SALU_CYCLE_2) | instskip(SKIP_1) | instid1(SALU_CYCLE_2)
	s_mul_f32 s18, s2, 0x2f800000
	s_wait_alu 0xfffe
	s_trunc_f32 s18, s18
	s_wait_alu 0xfffe
	s_delay_alu instid0(SALU_CYCLE_2) | instskip(SKIP_2) | instid1(SALU_CYCLE_1)
	s_fmamk_f32 s2, s18, 0xcf800000, s2
	s_cvt_u32_f32 s29, s18
	s_wait_alu 0xfffe
	s_cvt_u32_f32 s28, s2
	s_wait_alu 0xfffe
	s_delay_alu instid0(SALU_CYCLE_2)
	s_mul_u64 s[34:35], s[30:31], s[28:29]
	s_wait_alu 0xfffe
	s_mul_hi_u32 s37, s28, s35
	s_mul_i32 s36, s28, s35
	s_mul_hi_u32 s18, s28, s34
	s_mul_i32 s23, s29, s34
	s_wait_alu 0xfffe
	s_add_nc_u64 s[36:37], s[18:19], s[36:37]
	s_mul_hi_u32 s2, s29, s34
	s_mul_hi_u32 s25, s29, s35
	s_wait_alu 0xfffe
	s_add_co_u32 s18, s36, s23
	s_add_co_ci_u32 s18, s37, s2
	s_mul_i32 s34, s29, s35
	s_add_co_ci_u32 s35, s25, 0
	s_wait_alu 0xfffe
	s_add_nc_u64 s[34:35], s[18:19], s[34:35]
	s_wait_alu 0xfffe
	s_add_co_u32 s28, s28, s34
	s_cselect_b32 s2, -1, 0
	s_wait_alu 0xfffe
	s_cmp_lg_u32 s2, 0
	s_add_co_ci_u32 s29, s29, s35
	s_wait_alu 0xfffe
	s_mul_u64 s[30:31], s[30:31], s[28:29]
	s_wait_alu 0xfffe
	s_mul_hi_u32 s35, s28, s31
	s_mul_i32 s34, s28, s31
	s_mul_hi_u32 s18, s28, s30
	s_mul_i32 s23, s29, s30
	s_wait_alu 0xfffe
	s_add_nc_u64 s[34:35], s[18:19], s[34:35]
	s_mul_hi_u32 s2, s29, s30
	s_mul_hi_u32 s25, s29, s31
	s_wait_alu 0xfffe
	s_add_co_u32 s18, s34, s23
	s_add_co_ci_u32 s18, s35, s2
	s_mul_i32 s30, s29, s31
	s_add_co_ci_u32 s31, s25, 0
	s_wait_alu 0xfffe
	s_add_nc_u64 s[30:31], s[18:19], s[30:31]
	s_wait_alu 0xfffe
	s_add_co_u32 s2, s28, s30
	s_cselect_b32 s18, -1, 0
	s_wait_alu 0xfffe
	v_mul_hi_u32 v12, v10, s2
	s_cmp_lg_u32 s18, 0
	v_mad_co_u64_u32 v[5:6], null, v11, s2, 0
	s_add_co_ci_u32 s18, s29, s31
	s_wait_alu 0xfffe
	v_mad_co_u64_u32 v[3:4], null, v10, s18, 0
	v_mad_co_u64_u32 v[7:8], null, v11, s18, 0
	s_delay_alu instid0(VALU_DEP_2) | instskip(SKIP_1) | instid1(VALU_DEP_3)
	v_add_co_u32 v3, vcc_lo, v12, v3
	s_wait_alu 0xfffd
	v_add_co_ci_u32_e64 v4, null, 0, v4, vcc_lo
	s_delay_alu instid0(VALU_DEP_2) | instskip(SKIP_1) | instid1(VALU_DEP_2)
	v_add_co_u32 v3, vcc_lo, v3, v5
	s_wait_alu 0xfffd
	v_add_co_ci_u32_e32 v3, vcc_lo, v4, v6, vcc_lo
	s_wait_alu 0xfffd
	v_add_co_ci_u32_e32 v4, vcc_lo, 0, v8, vcc_lo
	s_delay_alu instid0(VALU_DEP_2) | instskip(SKIP_1) | instid1(VALU_DEP_2)
	v_add_co_u32 v5, vcc_lo, v3, v7
	s_wait_alu 0xfffd
	v_add_co_ci_u32_e64 v6, null, 0, v4, vcc_lo
	s_delay_alu instid0(VALU_DEP_2) | instskip(SKIP_1) | instid1(VALU_DEP_3)
	v_mul_lo_u32 v7, s27, v5
	v_mad_co_u64_u32 v[3:4], null, s26, v5, 0
	v_mul_lo_u32 v8, s26, v6
	s_delay_alu instid0(VALU_DEP_2) | instskip(NEXT) | instid1(VALU_DEP_2)
	v_sub_co_u32 v3, vcc_lo, v10, v3
	v_add3_u32 v4, v4, v8, v7
	v_add_co_u32 v8, s2, v5, 2
	s_wait_alu 0xf1ff
	v_add_co_ci_u32_e64 v10, null, 0, v6, s2
	s_delay_alu instid0(VALU_DEP_3) | instskip(SKIP_3) | instid1(VALU_DEP_3)
	v_sub_nc_u32_e32 v7, v11, v4
	v_sub_co_u32 v12, s2, v3, s26
	s_wait_alu 0xfffd
	v_sub_co_ci_u32_e64 v4, null, v11, v4, vcc_lo
	v_subrev_co_ci_u32_e64 v7, null, s27, v7, vcc_lo
	s_delay_alu instid0(VALU_DEP_3) | instskip(SKIP_1) | instid1(VALU_DEP_2)
	v_cmp_le_u32_e32 vcc_lo, s26, v12
	s_wait_alu 0xf1ff
	v_subrev_co_ci_u32_e64 v7, null, 0, v7, s2
	s_wait_alu 0xfffd
	v_cndmask_b32_e64 v11, 0, -1, vcc_lo
	s_delay_alu instid0(VALU_DEP_2)
	v_cmp_le_u32_e32 vcc_lo, s27, v7
	s_wait_alu 0xfffd
	v_cndmask_b32_e64 v12, 0, -1, vcc_lo
	v_cmp_le_u32_e32 vcc_lo, s26, v3
	s_wait_alu 0xfffd
	v_cndmask_b32_e64 v3, 0, -1, vcc_lo
	;; [unrolled: 3-line block ×3, first 2 shown]
	v_cmp_eq_u32_e32 vcc_lo, s27, v7
	s_wait_alu 0xfffd
	v_cndmask_b32_e32 v7, v12, v11, vcc_lo
	v_add_co_u32 v11, vcc_lo, v5, 1
	s_wait_alu 0xfffd
	v_add_co_ci_u32_e64 v12, null, 0, v6, vcc_lo
	v_cmp_eq_u32_e32 vcc_lo, s27, v4
	s_wait_alu 0xfffd
	v_cndmask_b32_e32 v3, v13, v3, vcc_lo
	v_cmp_ne_u32_e32 vcc_lo, 0, v7
	v_xor_b32_e32 v7, s22, v9
	s_wait_alu 0xfffd
	v_cndmask_b32_e32 v4, v12, v10, vcc_lo
	v_cmp_ne_u32_e64 s2, 0, v3
	v_cndmask_b32_e32 v3, v11, v8, vcc_lo
	s_wait_alu 0xf1ff
	s_delay_alu instid0(VALU_DEP_2) | instskip(NEXT) | instid1(VALU_DEP_2)
	v_cndmask_b32_e64 v4, v6, v4, s2
	v_cndmask_b32_e64 v3, v5, v3, s2
	s_delay_alu instid0(VALU_DEP_2) | instskip(NEXT) | instid1(VALU_DEP_2)
	v_xor_b32_e32 v5, v4, v7
	v_xor_b32_e32 v3, v3, v7
	s_delay_alu instid0(VALU_DEP_1) | instskip(SKIP_1) | instid1(VALU_DEP_3)
	v_sub_co_u32 v4, vcc_lo, v3, v7
	s_wait_alu 0xfffd
	v_sub_co_ci_u32_e64 v5, null, v5, v7, vcc_lo
.LBB76_5:                               ;   in Loop: Header=BB76_3 Depth=1
	s_wait_alu 0xfffe
	s_and_not1_saveexec_b32 s2, s3
	s_cbranch_execz .LBB76_7
; %bb.6:                                ;   in Loop: Header=BB76_3 Depth=1
	v_mul_hi_u32 v3, v0, v25
	s_delay_alu instid0(VALU_DEP_1) | instskip(NEXT) | instid1(VALU_DEP_1)
	v_mul_lo_u32 v4, v3, s8
	v_sub_nc_u32_e32 v4, v0, v4
	s_delay_alu instid0(VALU_DEP_1) | instskip(SKIP_2) | instid1(VALU_DEP_2)
	v_subrev_nc_u32_e32 v6, s8, v4
	v_cmp_le_u32_e32 vcc_lo, s8, v4
	s_wait_alu 0xfffd
	v_dual_cndmask_b32 v4, v4, v6 :: v_dual_add_nc_u32 v5, 1, v3
	s_delay_alu instid0(VALU_DEP_1) | instskip(NEXT) | instid1(VALU_DEP_2)
	v_cndmask_b32_e32 v3, v3, v5, vcc_lo
	v_cmp_le_u32_e32 vcc_lo, s8, v4
	s_delay_alu instid0(VALU_DEP_2) | instskip(SKIP_1) | instid1(VALU_DEP_1)
	v_add_nc_u32_e32 v5, 1, v3
	s_wait_alu 0xfffd
	v_dual_cndmask_b32 v4, v3, v5 :: v_dual_mov_b32 v5, v2
.LBB76_7:                               ;   in Loop: Header=BB76_3 Depth=1
	s_wait_alu 0xfffe
	s_or_b32 exec_lo, exec_lo, s2
	s_delay_alu instid0(VALU_DEP_1) | instskip(SKIP_1) | instid1(VALU_DEP_1)
	v_or_b32_e32 v3, s15, v5
                                        ; implicit-def: $vgpr6_vgpr7
	s_mov_b32 s2, exec_lo
	v_cmpx_ne_u64_e32 0, v[2:3]
	s_wait_alu 0xfffe
	s_xor_b32 s3, exec_lo, s2
	s_cbranch_execz .LBB76_9
; %bb.8:                                ;   in Loop: Header=BB76_3 Depth=1
	s_mov_b32 s25, s24
	v_ashrrev_i32_e32 v3, 31, v5
	s_wait_alu 0xfffe
	s_add_nc_u64 s[26:27], s[14:15], s[24:25]
	s_wait_alu 0xfffe
	s_xor_b64 s[26:27], s[26:27], s[24:25]
	v_add_co_u32 v6, vcc_lo, v4, v3
	s_wait_alu 0xfffe
	s_cvt_f32_u32 s2, s26
	s_cvt_f32_u32 s18, s27
	s_sub_nc_u64 s[30:31], 0, s[26:27]
	s_wait_alu 0xfffd
	v_add_co_ci_u32_e64 v5, null, v5, v3, vcc_lo
	s_wait_alu 0xfffe
	s_fmamk_f32 s2, s18, 0x4f800000, s2
	v_xor_b32_e32 v11, v6, v3
	s_delay_alu instid0(VALU_DEP_2) | instskip(SKIP_3) | instid1(TRANS32_DEP_1)
	v_xor_b32_e32 v12, v5, v3
	s_wait_alu 0xfffe
	v_s_rcp_f32 s2, s2
	v_xor_b32_e32 v3, s24, v3
	s_mul_f32 s2, s2, 0x5f7ffffc
	s_wait_alu 0xfffe
	s_delay_alu instid0(SALU_CYCLE_2) | instskip(SKIP_1) | instid1(SALU_CYCLE_2)
	s_mul_f32 s18, s2, 0x2f800000
	s_wait_alu 0xfffe
	s_trunc_f32 s18, s18
	s_wait_alu 0xfffe
	s_delay_alu instid0(SALU_CYCLE_2) | instskip(SKIP_2) | instid1(SALU_CYCLE_1)
	s_fmamk_f32 s2, s18, 0xcf800000, s2
	s_cvt_u32_f32 s29, s18
	s_wait_alu 0xfffe
	s_cvt_u32_f32 s28, s2
	s_wait_alu 0xfffe
	s_delay_alu instid0(SALU_CYCLE_2)
	s_mul_u64 s[34:35], s[30:31], s[28:29]
	s_wait_alu 0xfffe
	s_mul_hi_u32 s37, s28, s35
	s_mul_i32 s36, s28, s35
	s_mul_hi_u32 s18, s28, s34
	s_mul_i32 s23, s29, s34
	s_wait_alu 0xfffe
	s_add_nc_u64 s[36:37], s[18:19], s[36:37]
	s_mul_hi_u32 s2, s29, s34
	s_mul_hi_u32 s25, s29, s35
	s_wait_alu 0xfffe
	s_add_co_u32 s18, s36, s23
	s_add_co_ci_u32 s18, s37, s2
	s_mul_i32 s34, s29, s35
	s_add_co_ci_u32 s35, s25, 0
	s_wait_alu 0xfffe
	s_add_nc_u64 s[34:35], s[18:19], s[34:35]
	s_wait_alu 0xfffe
	s_add_co_u32 s28, s28, s34
	s_cselect_b32 s2, -1, 0
	s_wait_alu 0xfffe
	s_cmp_lg_u32 s2, 0
	s_add_co_ci_u32 s29, s29, s35
	s_wait_alu 0xfffe
	s_mul_u64 s[30:31], s[30:31], s[28:29]
	s_wait_alu 0xfffe
	s_mul_hi_u32 s35, s28, s31
	s_mul_i32 s34, s28, s31
	s_mul_hi_u32 s18, s28, s30
	s_mul_i32 s23, s29, s30
	s_wait_alu 0xfffe
	s_add_nc_u64 s[34:35], s[18:19], s[34:35]
	s_mul_hi_u32 s2, s29, s30
	s_mul_hi_u32 s25, s29, s31
	s_wait_alu 0xfffe
	s_add_co_u32 s18, s34, s23
	s_add_co_ci_u32 s18, s35, s2
	s_mul_i32 s30, s29, s31
	s_add_co_ci_u32 s31, s25, 0
	s_wait_alu 0xfffe
	s_add_nc_u64 s[30:31], s[18:19], s[30:31]
	s_wait_alu 0xfffe
	s_add_co_u32 s2, s28, s30
	s_cselect_b32 s18, -1, 0
	s_wait_alu 0xfffe
	v_mul_hi_u32 v13, v11, s2
	s_cmp_lg_u32 s18, 0
	v_mad_co_u64_u32 v[7:8], null, v12, s2, 0
	s_add_co_ci_u32 s18, s29, s31
	s_wait_alu 0xfffe
	v_mad_co_u64_u32 v[5:6], null, v11, s18, 0
	v_mad_co_u64_u32 v[9:10], null, v12, s18, 0
	s_delay_alu instid0(VALU_DEP_2) | instskip(SKIP_1) | instid1(VALU_DEP_3)
	v_add_co_u32 v5, vcc_lo, v13, v5
	s_wait_alu 0xfffd
	v_add_co_ci_u32_e64 v6, null, 0, v6, vcc_lo
	s_delay_alu instid0(VALU_DEP_2) | instskip(SKIP_1) | instid1(VALU_DEP_2)
	v_add_co_u32 v5, vcc_lo, v5, v7
	s_wait_alu 0xfffd
	v_add_co_ci_u32_e32 v5, vcc_lo, v6, v8, vcc_lo
	s_wait_alu 0xfffd
	v_add_co_ci_u32_e32 v6, vcc_lo, 0, v10, vcc_lo
	s_delay_alu instid0(VALU_DEP_2) | instskip(SKIP_1) | instid1(VALU_DEP_2)
	v_add_co_u32 v7, vcc_lo, v5, v9
	s_wait_alu 0xfffd
	v_add_co_ci_u32_e64 v8, null, 0, v6, vcc_lo
	s_delay_alu instid0(VALU_DEP_2) | instskip(SKIP_1) | instid1(VALU_DEP_3)
	v_mul_lo_u32 v9, s27, v7
	v_mad_co_u64_u32 v[5:6], null, s26, v7, 0
	v_mul_lo_u32 v10, s26, v8
	s_delay_alu instid0(VALU_DEP_2) | instskip(NEXT) | instid1(VALU_DEP_2)
	v_sub_co_u32 v5, vcc_lo, v11, v5
	v_add3_u32 v6, v6, v10, v9
	v_add_co_u32 v10, s2, v7, 2
	s_wait_alu 0xf1ff
	v_add_co_ci_u32_e64 v11, null, 0, v8, s2
	s_delay_alu instid0(VALU_DEP_3) | instskip(SKIP_3) | instid1(VALU_DEP_3)
	v_sub_nc_u32_e32 v9, v12, v6
	v_sub_co_u32 v13, s2, v5, s26
	s_wait_alu 0xfffd
	v_sub_co_ci_u32_e64 v6, null, v12, v6, vcc_lo
	v_subrev_co_ci_u32_e64 v9, null, s27, v9, vcc_lo
	s_delay_alu instid0(VALU_DEP_3) | instskip(SKIP_1) | instid1(VALU_DEP_2)
	v_cmp_le_u32_e32 vcc_lo, s26, v13
	s_wait_alu 0xf1ff
	v_subrev_co_ci_u32_e64 v9, null, 0, v9, s2
	s_wait_alu 0xfffd
	v_cndmask_b32_e64 v12, 0, -1, vcc_lo
	s_delay_alu instid0(VALU_DEP_2)
	v_cmp_le_u32_e32 vcc_lo, s27, v9
	s_wait_alu 0xfffd
	v_cndmask_b32_e64 v13, 0, -1, vcc_lo
	v_cmp_le_u32_e32 vcc_lo, s26, v5
	s_wait_alu 0xfffd
	v_cndmask_b32_e64 v5, 0, -1, vcc_lo
	;; [unrolled: 3-line block ×3, first 2 shown]
	v_cmp_eq_u32_e32 vcc_lo, s27, v9
	s_wait_alu 0xfffd
	v_cndmask_b32_e32 v9, v13, v12, vcc_lo
	v_add_co_u32 v12, vcc_lo, v7, 1
	s_wait_alu 0xfffd
	v_add_co_ci_u32_e64 v13, null, 0, v8, vcc_lo
	v_cmp_eq_u32_e32 vcc_lo, s27, v6
	s_wait_alu 0xfffd
	v_cndmask_b32_e32 v5, v14, v5, vcc_lo
	v_cmp_ne_u32_e32 vcc_lo, 0, v9
	s_wait_alu 0xfffd
	v_cndmask_b32_e32 v6, v13, v11, vcc_lo
	s_delay_alu instid0(VALU_DEP_3) | instskip(SKIP_2) | instid1(VALU_DEP_2)
	v_cmp_ne_u32_e64 s2, 0, v5
	v_cndmask_b32_e32 v5, v12, v10, vcc_lo
	s_wait_alu 0xf1ff
	v_cndmask_b32_e64 v6, v8, v6, s2
	s_delay_alu instid0(VALU_DEP_2) | instskip(NEXT) | instid1(VALU_DEP_2)
	v_cndmask_b32_e64 v5, v7, v5, s2
	v_xor_b32_e32 v7, v6, v3
	s_delay_alu instid0(VALU_DEP_2) | instskip(NEXT) | instid1(VALU_DEP_1)
	v_xor_b32_e32 v5, v5, v3
	v_sub_co_u32 v6, vcc_lo, v5, v3
	s_wait_alu 0xfffd
	s_delay_alu instid0(VALU_DEP_3)
	v_sub_co_ci_u32_e64 v7, null, v7, v3, vcc_lo
.LBB76_9:                               ;   in Loop: Header=BB76_3 Depth=1
	s_wait_alu 0xfffe
	s_and_not1_saveexec_b32 s2, s3
	s_cbranch_execz .LBB76_11
; %bb.10:                               ;   in Loop: Header=BB76_3 Depth=1
	s_sub_co_i32 s3, 0, s14
	s_wait_alu 0xfffe
	v_mul_lo_u32 v3, s3, v24
	s_delay_alu instid0(VALU_DEP_1) | instskip(NEXT) | instid1(VALU_DEP_1)
	v_mul_hi_u32 v3, v24, v3
	v_add_nc_u32_e32 v3, v24, v3
	s_delay_alu instid0(VALU_DEP_1) | instskip(NEXT) | instid1(VALU_DEP_1)
	v_mul_hi_u32 v3, v4, v3
	v_mul_lo_u32 v5, v3, s14
	v_add_nc_u32_e32 v6, 1, v3
	s_delay_alu instid0(VALU_DEP_2) | instskip(NEXT) | instid1(VALU_DEP_1)
	v_sub_nc_u32_e32 v5, v4, v5
	v_subrev_nc_u32_e32 v7, s14, v5
	v_cmp_le_u32_e32 vcc_lo, s14, v5
	s_wait_alu 0xfffd
	s_delay_alu instid0(VALU_DEP_2) | instskip(SKIP_2) | instid1(VALU_DEP_3)
	v_cndmask_b32_e32 v5, v5, v7, vcc_lo
	v_mov_b32_e32 v7, v2
	v_cndmask_b32_e32 v3, v3, v6, vcc_lo
	v_cmp_le_u32_e32 vcc_lo, s14, v5
	s_delay_alu instid0(VALU_DEP_2) | instskip(SKIP_1) | instid1(VALU_DEP_1)
	v_add_nc_u32_e32 v6, 1, v3
	s_wait_alu 0xfffd
	v_cndmask_b32_e32 v6, v3, v6, vcc_lo
.LBB76_11:                              ;   in Loop: Header=BB76_3 Depth=1
	s_wait_alu 0xfffe
	s_or_b32 exec_lo, exec_lo, s2
	v_mad_co_u64_u32 v[8:9], null, v4, s8, 0
	s_delay_alu instid0(VALU_DEP_2) | instskip(SKIP_3) | instid1(VALU_DEP_1)
	v_mad_co_u64_u32 v[9:10], null, v6, s14, 0
	s_mov_b32 s23, exec_lo
	v_sub_co_u32 v27, null, v0, v8
	v_sub_co_u32 v26, null, v4, v9
	v_sub_nc_u32_e32 v3, v27, v26
	s_delay_alu instid0(VALU_DEP_1) | instskip(NEXT) | instid1(VALU_DEP_1)
	v_ashrrev_i32_e32 v4, 31, v3
	v_cmpx_gt_i64_e64 s[4:5], v[3:4]
	s_cbranch_execz .LBB76_2
; %bb.12:                               ;   in Loop: Header=BB76_3 Depth=1
	s_load_b64 s[2:3], s[20:21], 0x64
	s_and_not1_b32 vcc_lo, exec_lo, s56
	s_wait_kmcnt 0x0
	v_mul_lo_u32 v3, s3, v27
	s_delay_alu instid0(VALU_DEP_1)
	v_mad_co_u64_u32 v[4:5], null, s2, v26, v[3:4]
	s_wait_alu 0xfffe
	s_cbranch_vccnz .LBB76_56
; %bb.13:                               ;   in Loop: Header=BB76_3 Depth=1
	s_mov_b32 s25, s52
	s_and_not1_b32 vcc_lo, exec_lo, s54
	s_mov_b32 s18, s33
	s_mov_b32 s2, s33
	s_wait_alu 0xfffe
	s_cbranch_vccz .LBB76_16
; %bb.14:                               ;   in Loop: Header=BB76_3 Depth=1
	s_and_not1_b32 vcc_lo, exec_lo, s55
	s_wait_alu 0xfffe
	s_cbranch_vccz .LBB76_21
	s_branch .LBB76_56
.LBB76_15:                              ;   in Loop: Header=BB76_16 Depth=2
	s_wait_alu 0xfffe
	s_or_b32 exec_lo, exec_lo, s2
	s_add_nc_u64 s[26:27], s[0:1], s[26:27]
	v_mul_lo_u32 v3, v8, s28
	s_load_b32 s2, s[26:27], 0x6c
	s_add_co_i32 s25, s25, -1
	s_add_co_i32 s18, s18, -1
	s_wait_alu 0xfffe
	s_cmp_lg_u32 s25, 0
	s_delay_alu instid0(VALU_DEP_1) | instskip(SKIP_2) | instid1(VALU_DEP_2)
	v_sub_nc_u32_e32 v3, v6, v3
	v_dual_mov_b32 v6, v8 :: v_dual_mov_b32 v7, v9
	s_wait_kmcnt 0x0
	v_mad_co_u64_u32 v[4:5], null, s2, v3, v[4:5]
	s_cbranch_scc0 .LBB76_20
.LBB76_16:                              ;   Parent Loop BB76_3 Depth=1
                                        ; =>  This Inner Loop Header: Depth=2
	s_lshl_b64 s[26:27], s[18:19], 2
                                        ; implicit-def: $vgpr8_vgpr9
	s_mov_b32 s2, exec_lo
	s_wait_alu 0xfffe
	s_add_nc_u64 s[28:29], s[10:11], s[26:27]
	s_load_b32 s28, s[28:29], 0x8
	s_wait_kmcnt 0x0
	s_ashr_i32 s29, s28, 31
	s_wait_alu 0xfffe
	v_or_b32_e32 v3, s29, v7
	s_delay_alu instid0(VALU_DEP_1)
	v_cmpx_ne_u64_e32 0, v[2:3]
	s_xor_b32 s36, exec_lo, s2
	s_cbranch_execz .LBB76_18
; %bb.17:                               ;   in Loop: Header=BB76_16 Depth=2
	s_ashr_i32 s30, s29, 31
	s_mov_b32 s43, s19
	s_wait_alu 0xfffe
	s_mov_b32 s31, s30
	s_mov_b32 s47, s19
	s_wait_alu 0xfffe
	s_add_nc_u64 s[34:35], s[28:29], s[30:31]
	v_ashrrev_i32_e32 v3, 31, v7
	s_wait_alu 0xfffe
	s_xor_b64 s[34:35], s[34:35], s[30:31]
	s_wait_alu 0xfffe
	s_cvt_f32_u32 s2, s34
	s_cvt_f32_u32 s29, s35
	s_sub_nc_u64 s[40:41], 0, s[34:35]
	v_add_co_u32 v5, vcc_lo, v6, v3
	s_wait_alu 0xfffe
	s_fmamk_f32 s2, s29, 0x4f800000, s2
	s_wait_alu 0xfffd
	v_add_co_ci_u32_e64 v7, null, v7, v3, vcc_lo
	v_xor_b32_e32 v5, v5, v3
	s_wait_alu 0xfffe
	v_s_rcp_f32 s2, s2
	s_delay_alu instid0(VALU_DEP_2) | instskip(SKIP_1) | instid1(TRANS32_DEP_1)
	v_xor_b32_e32 v13, v7, v3
	v_xor_b32_e32 v3, s30, v3
	s_mul_f32 s2, s2, 0x5f7ffffc
	s_wait_alu 0xfffe
	s_delay_alu instid0(SALU_CYCLE_2) | instskip(SKIP_1) | instid1(SALU_CYCLE_2)
	s_mul_f32 s29, s2, 0x2f800000
	s_wait_alu 0xfffe
	s_trunc_f32 s29, s29
	s_wait_alu 0xfffe
	s_delay_alu instid0(SALU_CYCLE_2) | instskip(SKIP_2) | instid1(SALU_CYCLE_1)
	s_fmamk_f32 s2, s29, 0xcf800000, s2
	s_cvt_u32_f32 s39, s29
	s_wait_alu 0xfffe
	s_cvt_u32_f32 s38, s2
	s_wait_alu 0xfffe
	s_delay_alu instid0(SALU_CYCLE_2)
	s_mul_u64 s[44:45], s[40:41], s[38:39]
	s_wait_alu 0xfffe
	s_mul_hi_u32 s49, s38, s45
	s_mul_i32 s48, s38, s45
	s_mul_hi_u32 s42, s38, s44
	s_mul_i32 s29, s39, s44
	s_wait_alu 0xfffe
	s_add_nc_u64 s[42:43], s[42:43], s[48:49]
	s_mul_hi_u32 s2, s39, s44
	s_mul_hi_u32 s31, s39, s45
	s_wait_alu 0xfffe
	s_add_co_u32 s29, s42, s29
	s_add_co_ci_u32 s46, s43, s2
	s_mul_i32 s44, s39, s45
	s_add_co_ci_u32 s45, s31, 0
	s_wait_alu 0xfffe
	s_add_nc_u64 s[42:43], s[46:47], s[44:45]
	s_mov_b32 s45, s19
	s_wait_alu 0xfffe
	s_add_co_u32 s38, s38, s42
	s_cselect_b32 s2, -1, 0
	s_wait_alu 0xfffe
	s_cmp_lg_u32 s2, 0
	s_add_co_ci_u32 s39, s39, s43
	s_mov_b32 s43, s19
	s_wait_alu 0xfffe
	s_mul_u64 s[40:41], s[40:41], s[38:39]
	s_wait_alu 0xfffe
	s_mul_hi_u32 s47, s38, s41
	s_mul_i32 s46, s38, s41
	s_mul_hi_u32 s44, s38, s40
	s_mul_i32 s29, s39, s40
	s_wait_alu 0xfffe
	s_add_nc_u64 s[44:45], s[44:45], s[46:47]
	s_mul_hi_u32 s2, s39, s40
	s_mul_hi_u32 s31, s39, s41
	s_wait_alu 0xfffe
	s_add_co_u32 s29, s44, s29
	s_add_co_ci_u32 s42, s45, s2
	s_mul_i32 s40, s39, s41
	s_add_co_ci_u32 s41, s31, 0
	s_wait_alu 0xfffe
	s_add_nc_u64 s[40:41], s[42:43], s[40:41]
	s_wait_alu 0xfffe
	s_add_co_u32 s2, s38, s40
	s_cselect_b32 s29, -1, 0
	s_wait_alu 0xfffe
	v_mul_hi_u32 v14, v5, s2
	s_cmp_lg_u32 s29, 0
	v_mad_co_u64_u32 v[9:10], null, v13, s2, 0
	s_add_co_ci_u32 s29, s39, s41
	s_wait_alu 0xfffe
	v_mad_co_u64_u32 v[7:8], null, v5, s29, 0
	v_mad_co_u64_u32 v[11:12], null, v13, s29, 0
	s_delay_alu instid0(VALU_DEP_2) | instskip(SKIP_1) | instid1(VALU_DEP_3)
	v_add_co_u32 v7, vcc_lo, v14, v7
	s_wait_alu 0xfffd
	v_add_co_ci_u32_e64 v8, null, 0, v8, vcc_lo
	s_delay_alu instid0(VALU_DEP_2) | instskip(SKIP_1) | instid1(VALU_DEP_2)
	v_add_co_u32 v7, vcc_lo, v7, v9
	s_wait_alu 0xfffd
	v_add_co_ci_u32_e32 v7, vcc_lo, v8, v10, vcc_lo
	s_wait_alu 0xfffd
	v_add_co_ci_u32_e32 v8, vcc_lo, 0, v12, vcc_lo
	s_delay_alu instid0(VALU_DEP_2) | instskip(SKIP_1) | instid1(VALU_DEP_2)
	v_add_co_u32 v9, vcc_lo, v7, v11
	s_wait_alu 0xfffd
	v_add_co_ci_u32_e64 v10, null, 0, v8, vcc_lo
	s_delay_alu instid0(VALU_DEP_2) | instskip(SKIP_1) | instid1(VALU_DEP_3)
	v_mul_lo_u32 v11, s35, v9
	v_mad_co_u64_u32 v[7:8], null, s34, v9, 0
	v_mul_lo_u32 v12, s34, v10
	s_delay_alu instid0(VALU_DEP_2) | instskip(NEXT) | instid1(VALU_DEP_2)
	v_sub_co_u32 v5, vcc_lo, v5, v7
	v_add3_u32 v8, v8, v12, v11
	s_delay_alu instid0(VALU_DEP_1) | instskip(SKIP_2) | instid1(VALU_DEP_2)
	v_sub_nc_u32_e32 v11, v13, v8
	s_wait_alu 0xfffd
	v_sub_co_ci_u32_e64 v8, null, v13, v8, vcc_lo
	v_subrev_co_ci_u32_e64 v7, null, s35, v11, vcc_lo
	v_add_co_u32 v11, s2, v9, 2
	s_wait_alu 0xf1ff
	v_add_co_ci_u32_e64 v12, null, 0, v10, s2
	v_sub_co_u32 v14, s2, v5, s34
	s_wait_alu 0xf1ff
	v_subrev_co_ci_u32_e64 v7, null, 0, v7, s2
	s_delay_alu instid0(VALU_DEP_2) | instskip(SKIP_2) | instid1(VALU_DEP_3)
	v_cmp_le_u32_e32 vcc_lo, s34, v14
	s_wait_alu 0xfffd
	v_cndmask_b32_e64 v13, 0, -1, vcc_lo
	v_cmp_le_u32_e32 vcc_lo, s35, v7
	s_wait_alu 0xfffd
	v_cndmask_b32_e64 v14, 0, -1, vcc_lo
	;; [unrolled: 3-line block ×4, first 2 shown]
	v_cmp_eq_u32_e32 vcc_lo, s35, v7
	s_wait_alu 0xfffd
	v_cndmask_b32_e32 v7, v14, v13, vcc_lo
	v_add_co_u32 v13, vcc_lo, v9, 1
	s_wait_alu 0xfffd
	v_add_co_ci_u32_e64 v14, null, 0, v10, vcc_lo
	v_cmp_eq_u32_e32 vcc_lo, s35, v8
	s_wait_alu 0xfffd
	v_cndmask_b32_e32 v5, v15, v5, vcc_lo
	v_cmp_ne_u32_e32 vcc_lo, 0, v7
	s_delay_alu instid0(VALU_DEP_2) | instskip(SKIP_4) | instid1(VALU_DEP_2)
	v_cmp_ne_u32_e64 s2, 0, v5
	s_wait_alu 0xfffd
	v_cndmask_b32_e32 v5, v13, v11, vcc_lo
	v_cndmask_b32_e32 v7, v14, v12, vcc_lo
	s_wait_alu 0xf1ff
	v_cndmask_b32_e64 v5, v9, v5, s2
	s_delay_alu instid0(VALU_DEP_2) | instskip(NEXT) | instid1(VALU_DEP_2)
	v_cndmask_b32_e64 v7, v10, v7, s2
	v_xor_b32_e32 v5, v5, v3
	s_delay_alu instid0(VALU_DEP_2) | instskip(NEXT) | instid1(VALU_DEP_2)
	v_xor_b32_e32 v7, v7, v3
	v_sub_co_u32 v8, vcc_lo, v5, v3
	s_wait_alu 0xfffd
	s_delay_alu instid0(VALU_DEP_2)
	v_sub_co_ci_u32_e64 v9, null, v7, v3, vcc_lo
.LBB76_18:                              ;   in Loop: Header=BB76_16 Depth=2
	s_wait_alu 0xfffe
	s_and_not1_saveexec_b32 s2, s36
	s_cbranch_execz .LBB76_15
; %bb.19:                               ;   in Loop: Header=BB76_16 Depth=2
	v_cvt_f32_u32_e32 v3, s28
	s_sub_co_i32 s29, 0, s28
	v_mov_b32_e32 v9, v2
	s_delay_alu instid0(VALU_DEP_2) | instskip(NEXT) | instid1(TRANS32_DEP_1)
	v_rcp_iflag_f32_e32 v3, v3
	v_mul_f32_e32 v3, 0x4f7ffffe, v3
	s_delay_alu instid0(VALU_DEP_1) | instskip(SKIP_1) | instid1(VALU_DEP_1)
	v_cvt_u32_f32_e32 v3, v3
	s_wait_alu 0xfffe
	v_mul_lo_u32 v5, s29, v3
	s_delay_alu instid0(VALU_DEP_1) | instskip(NEXT) | instid1(VALU_DEP_1)
	v_mul_hi_u32 v5, v3, v5
	v_add_nc_u32_e32 v3, v3, v5
	s_delay_alu instid0(VALU_DEP_1) | instskip(NEXT) | instid1(VALU_DEP_1)
	v_mul_hi_u32 v3, v6, v3
	v_mul_lo_u32 v5, v3, s28
	v_add_nc_u32_e32 v7, 1, v3
	s_delay_alu instid0(VALU_DEP_2) | instskip(NEXT) | instid1(VALU_DEP_1)
	v_sub_nc_u32_e32 v5, v6, v5
	v_cmp_le_u32_e32 vcc_lo, s28, v5
	v_subrev_nc_u32_e32 v8, s28, v5
	s_wait_alu 0xfffd
	v_cndmask_b32_e32 v3, v3, v7, vcc_lo
	s_delay_alu instid0(VALU_DEP_1) | instskip(NEXT) | instid1(VALU_DEP_3)
	v_add_nc_u32_e32 v7, 1, v3
	v_cndmask_b32_e32 v5, v5, v8, vcc_lo
	s_delay_alu instid0(VALU_DEP_1) | instskip(SKIP_1) | instid1(VALU_DEP_3)
	v_cmp_le_u32_e32 vcc_lo, s28, v5
	s_wait_alu 0xfffd
	v_cndmask_b32_e32 v8, v3, v7, vcc_lo
	s_branch .LBB76_15
.LBB76_20:                              ;   in Loop: Header=BB76_3 Depth=1
	s_mov_b32 s2, s18
	s_and_not1_b32 vcc_lo, exec_lo, s55
	s_wait_alu 0xfffe
	s_cbranch_vccnz .LBB76_56
.LBB76_21:                              ;   in Loop: Header=BB76_3 Depth=1
	s_add_co_i32 s26, s2, -7
.LBB76_22:                              ;   Parent Loop BB76_3 Depth=1
                                        ; =>  This Inner Loop Header: Depth=2
	s_wait_alu 0xfffe
	s_add_co_i32 s18, s26, 7
                                        ; implicit-def: $vgpr8_vgpr9
	s_mov_b32 s2, exec_lo
	s_wait_alu 0xfffe
	s_lshl_b64 s[34:35], s[18:19], 2
	s_wait_alu 0xfffe
	s_add_nc_u64 s[28:29], s[10:11], s[34:35]
	s_load_b32 s28, s[28:29], 0x8
	s_wait_kmcnt 0x0
	s_ashr_i32 s29, s28, 31
	s_wait_alu 0xfffe
	v_or_b32_e32 v3, s29, v7
	s_delay_alu instid0(VALU_DEP_1)
	v_cmpx_ne_u64_e32 0, v[2:3]
	s_xor_b32 s25, exec_lo, s2
	s_cbranch_execz .LBB76_24
; %bb.23:                               ;   in Loop: Header=BB76_22 Depth=2
	s_ashr_i32 s30, s29, 31
	v_ashrrev_i32_e32 v3, 31, v7
	s_wait_alu 0xfffe
	s_mov_b32 s31, s30
	s_wait_alu 0xfffe
	s_add_nc_u64 s[36:37], s[28:29], s[30:31]
	v_add_co_u32 v5, vcc_lo, v6, v3
	s_wait_alu 0xfffe
	s_xor_b64 s[36:37], s[36:37], s[30:31]
	s_wait_alu 0xfffd
	v_add_co_ci_u32_e64 v7, null, v7, v3, vcc_lo
	s_wait_alu 0xfffe
	s_cvt_f32_u32 s2, s36
	s_cvt_f32_u32 s18, s37
	s_sub_nc_u64 s[40:41], 0, s[36:37]
	v_xor_b32_e32 v5, v5, v3
	v_xor_b32_e32 v13, v7, v3
	s_wait_alu 0xfffe
	s_fmamk_f32 s2, s18, 0x4f800000, s2
	v_xor_b32_e32 v3, s30, v3
	s_wait_alu 0xfffe
	s_delay_alu instid0(SALU_CYCLE_1) | instskip(NEXT) | instid1(TRANS32_DEP_1)
	v_s_rcp_f32 s2, s2
	s_mul_f32 s2, s2, 0x5f7ffffc
	s_wait_alu 0xfffe
	s_delay_alu instid0(SALU_CYCLE_2) | instskip(SKIP_1) | instid1(SALU_CYCLE_2)
	s_mul_f32 s18, s2, 0x2f800000
	s_wait_alu 0xfffe
	s_trunc_f32 s18, s18
	s_wait_alu 0xfffe
	s_delay_alu instid0(SALU_CYCLE_2) | instskip(SKIP_2) | instid1(SALU_CYCLE_1)
	s_fmamk_f32 s2, s18, 0xcf800000, s2
	s_cvt_u32_f32 s39, s18
	s_wait_alu 0xfffe
	s_cvt_u32_f32 s38, s2
	s_wait_alu 0xfffe
	s_delay_alu instid0(SALU_CYCLE_2)
	s_mul_u64 s[42:43], s[40:41], s[38:39]
	s_wait_alu 0xfffe
	s_mul_hi_u32 s45, s38, s43
	s_mul_i32 s44, s38, s43
	s_mul_hi_u32 s18, s38, s42
	s_mul_i32 s27, s39, s42
	s_wait_alu 0xfffe
	s_add_nc_u64 s[44:45], s[18:19], s[44:45]
	s_mul_hi_u32 s2, s39, s42
	s_mul_hi_u32 s29, s39, s43
	s_wait_alu 0xfffe
	s_add_co_u32 s18, s44, s27
	s_add_co_ci_u32 s18, s45, s2
	s_mul_i32 s42, s39, s43
	s_add_co_ci_u32 s43, s29, 0
	s_wait_alu 0xfffe
	s_add_nc_u64 s[42:43], s[18:19], s[42:43]
	s_wait_alu 0xfffe
	s_add_co_u32 s38, s38, s42
	s_cselect_b32 s2, -1, 0
	s_wait_alu 0xfffe
	s_cmp_lg_u32 s2, 0
	s_add_co_ci_u32 s39, s39, s43
	s_wait_alu 0xfffe
	s_mul_u64 s[40:41], s[40:41], s[38:39]
	s_wait_alu 0xfffe
	s_mul_hi_u32 s43, s38, s41
	s_mul_i32 s42, s38, s41
	s_mul_hi_u32 s18, s38, s40
	s_mul_i32 s27, s39, s40
	s_wait_alu 0xfffe
	s_add_nc_u64 s[42:43], s[18:19], s[42:43]
	s_mul_hi_u32 s2, s39, s40
	s_mul_hi_u32 s29, s39, s41
	s_wait_alu 0xfffe
	s_add_co_u32 s18, s42, s27
	s_add_co_ci_u32 s18, s43, s2
	s_mul_i32 s40, s39, s41
	s_add_co_ci_u32 s41, s29, 0
	s_wait_alu 0xfffe
	s_add_nc_u64 s[40:41], s[18:19], s[40:41]
	s_wait_alu 0xfffe
	s_add_co_u32 s2, s38, s40
	s_cselect_b32 s18, -1, 0
	s_wait_alu 0xfffe
	v_mul_hi_u32 v14, v5, s2
	s_cmp_lg_u32 s18, 0
	v_mad_co_u64_u32 v[9:10], null, v13, s2, 0
	s_add_co_ci_u32 s18, s39, s41
	s_wait_alu 0xfffe
	v_mad_co_u64_u32 v[7:8], null, v5, s18, 0
	v_mad_co_u64_u32 v[11:12], null, v13, s18, 0
	s_delay_alu instid0(VALU_DEP_2) | instskip(SKIP_1) | instid1(VALU_DEP_3)
	v_add_co_u32 v7, vcc_lo, v14, v7
	s_wait_alu 0xfffd
	v_add_co_ci_u32_e64 v8, null, 0, v8, vcc_lo
	s_delay_alu instid0(VALU_DEP_2) | instskip(SKIP_1) | instid1(VALU_DEP_2)
	v_add_co_u32 v7, vcc_lo, v7, v9
	s_wait_alu 0xfffd
	v_add_co_ci_u32_e32 v7, vcc_lo, v8, v10, vcc_lo
	s_wait_alu 0xfffd
	v_add_co_ci_u32_e32 v8, vcc_lo, 0, v12, vcc_lo
	s_delay_alu instid0(VALU_DEP_2) | instskip(SKIP_1) | instid1(VALU_DEP_2)
	v_add_co_u32 v9, vcc_lo, v7, v11
	s_wait_alu 0xfffd
	v_add_co_ci_u32_e64 v10, null, 0, v8, vcc_lo
	s_delay_alu instid0(VALU_DEP_2) | instskip(SKIP_1) | instid1(VALU_DEP_3)
	v_mul_lo_u32 v11, s37, v9
	v_mad_co_u64_u32 v[7:8], null, s36, v9, 0
	v_mul_lo_u32 v12, s36, v10
	s_delay_alu instid0(VALU_DEP_2) | instskip(NEXT) | instid1(VALU_DEP_2)
	v_sub_co_u32 v5, vcc_lo, v5, v7
	v_add3_u32 v8, v8, v12, v11
	s_delay_alu instid0(VALU_DEP_1) | instskip(SKIP_2) | instid1(VALU_DEP_2)
	v_sub_nc_u32_e32 v11, v13, v8
	s_wait_alu 0xfffd
	v_sub_co_ci_u32_e64 v8, null, v13, v8, vcc_lo
	v_subrev_co_ci_u32_e64 v7, null, s37, v11, vcc_lo
	v_add_co_u32 v11, s2, v9, 2
	s_wait_alu 0xf1ff
	v_add_co_ci_u32_e64 v12, null, 0, v10, s2
	v_sub_co_u32 v14, s2, v5, s36
	s_wait_alu 0xf1ff
	v_subrev_co_ci_u32_e64 v7, null, 0, v7, s2
	s_delay_alu instid0(VALU_DEP_2) | instskip(SKIP_2) | instid1(VALU_DEP_3)
	v_cmp_le_u32_e32 vcc_lo, s36, v14
	s_wait_alu 0xfffd
	v_cndmask_b32_e64 v13, 0, -1, vcc_lo
	v_cmp_le_u32_e32 vcc_lo, s37, v7
	s_wait_alu 0xfffd
	v_cndmask_b32_e64 v14, 0, -1, vcc_lo
	;; [unrolled: 3-line block ×4, first 2 shown]
	v_cmp_eq_u32_e32 vcc_lo, s37, v7
	s_wait_alu 0xfffd
	v_cndmask_b32_e32 v7, v14, v13, vcc_lo
	v_add_co_u32 v13, vcc_lo, v9, 1
	s_wait_alu 0xfffd
	v_add_co_ci_u32_e64 v14, null, 0, v10, vcc_lo
	v_cmp_eq_u32_e32 vcc_lo, s37, v8
	s_wait_alu 0xfffd
	v_cndmask_b32_e32 v5, v15, v5, vcc_lo
	v_cmp_ne_u32_e32 vcc_lo, 0, v7
	s_delay_alu instid0(VALU_DEP_2) | instskip(SKIP_4) | instid1(VALU_DEP_2)
	v_cmp_ne_u32_e64 s2, 0, v5
	s_wait_alu 0xfffd
	v_cndmask_b32_e32 v5, v13, v11, vcc_lo
	v_cndmask_b32_e32 v7, v14, v12, vcc_lo
	s_wait_alu 0xf1ff
	v_cndmask_b32_e64 v5, v9, v5, s2
	s_delay_alu instid0(VALU_DEP_2) | instskip(NEXT) | instid1(VALU_DEP_2)
	v_cndmask_b32_e64 v7, v10, v7, s2
	v_xor_b32_e32 v5, v5, v3
	s_delay_alu instid0(VALU_DEP_2) | instskip(NEXT) | instid1(VALU_DEP_2)
	v_xor_b32_e32 v7, v7, v3
	v_sub_co_u32 v8, vcc_lo, v5, v3
	s_wait_alu 0xfffd
	s_delay_alu instid0(VALU_DEP_2)
	v_sub_co_ci_u32_e64 v9, null, v7, v3, vcc_lo
.LBB76_24:                              ;   in Loop: Header=BB76_22 Depth=2
	s_wait_alu 0xfffe
	s_and_not1_saveexec_b32 s2, s25
	s_cbranch_execz .LBB76_26
; %bb.25:                               ;   in Loop: Header=BB76_22 Depth=2
	v_cvt_f32_u32_e32 v3, s28
	s_sub_co_i32 s18, 0, s28
	v_mov_b32_e32 v9, v2
	s_delay_alu instid0(VALU_DEP_2) | instskip(NEXT) | instid1(TRANS32_DEP_1)
	v_rcp_iflag_f32_e32 v3, v3
	v_mul_f32_e32 v3, 0x4f7ffffe, v3
	s_delay_alu instid0(VALU_DEP_1) | instskip(SKIP_1) | instid1(VALU_DEP_1)
	v_cvt_u32_f32_e32 v3, v3
	s_wait_alu 0xfffe
	v_mul_lo_u32 v5, s18, v3
	s_delay_alu instid0(VALU_DEP_1) | instskip(NEXT) | instid1(VALU_DEP_1)
	v_mul_hi_u32 v5, v3, v5
	v_add_nc_u32_e32 v3, v3, v5
	s_delay_alu instid0(VALU_DEP_1) | instskip(NEXT) | instid1(VALU_DEP_1)
	v_mul_hi_u32 v3, v6, v3
	v_mul_lo_u32 v5, v3, s28
	v_add_nc_u32_e32 v7, 1, v3
	s_delay_alu instid0(VALU_DEP_2) | instskip(NEXT) | instid1(VALU_DEP_1)
	v_sub_nc_u32_e32 v5, v6, v5
	v_cmp_le_u32_e32 vcc_lo, s28, v5
	v_subrev_nc_u32_e32 v8, s28, v5
	s_wait_alu 0xfffd
	v_cndmask_b32_e32 v3, v3, v7, vcc_lo
	s_delay_alu instid0(VALU_DEP_1) | instskip(NEXT) | instid1(VALU_DEP_3)
	v_add_nc_u32_e32 v7, 1, v3
	v_cndmask_b32_e32 v5, v5, v8, vcc_lo
	s_delay_alu instid0(VALU_DEP_1) | instskip(SKIP_1) | instid1(VALU_DEP_3)
	v_cmp_le_u32_e32 vcc_lo, s28, v5
	s_wait_alu 0xfffd
	v_cndmask_b32_e32 v8, v3, v7, vcc_lo
.LBB76_26:                              ;   in Loop: Header=BB76_22 Depth=2
	s_wait_alu 0xfffe
	s_or_b32 exec_lo, exec_lo, s2
	s_add_co_i32 s18, s26, 6
	s_add_nc_u64 s[34:35], s[0:1], s[34:35]
	s_wait_alu 0xfffe
	s_lshl_b64 s[36:37], s[18:19], 2
                                        ; implicit-def: $vgpr10_vgpr11
	s_mov_b32 s2, exec_lo
	s_wait_alu 0xfffe
	s_add_nc_u64 s[30:31], s[10:11], s[36:37]
	s_clause 0x1
	s_load_b32 s25, s[34:35], 0x6c
	s_load_b32 s30, s[30:31], 0x8
	s_wait_kmcnt 0x0
	s_ashr_i32 s31, s30, 31
	s_wait_alu 0xfffe
	v_or_b32_e32 v3, s31, v9
	s_delay_alu instid0(VALU_DEP_1)
	v_cmpx_ne_u64_e32 0, v[2:3]
	s_xor_b32 s27, exec_lo, s2
	s_cbranch_execz .LBB76_28
; %bb.27:                               ;   in Loop: Header=BB76_22 Depth=2
	s_ashr_i32 s34, s31, 31
	v_ashrrev_i32_e32 v3, 31, v9
	s_wait_alu 0xfffe
	s_mov_b32 s35, s34
	s_wait_alu 0xfffe
	s_add_nc_u64 s[38:39], s[30:31], s[34:35]
	v_add_co_u32 v5, vcc_lo, v8, v3
	s_wait_alu 0xfffe
	s_xor_b64 s[38:39], s[38:39], s[34:35]
	s_wait_alu 0xfffd
	v_add_co_ci_u32_e64 v7, null, v9, v3, vcc_lo
	s_wait_alu 0xfffe
	s_cvt_f32_u32 s2, s38
	s_cvt_f32_u32 s18, s39
	s_sub_nc_u64 s[42:43], 0, s[38:39]
	v_xor_b32_e32 v5, v5, v3
	v_xor_b32_e32 v7, v7, v3
	s_wait_alu 0xfffe
	s_fmamk_f32 s2, s18, 0x4f800000, s2
	v_xor_b32_e32 v3, s34, v3
	s_wait_alu 0xfffe
	s_delay_alu instid0(SALU_CYCLE_1) | instskip(NEXT) | instid1(TRANS32_DEP_1)
	v_s_rcp_f32 s2, s2
	s_mul_f32 s2, s2, 0x5f7ffffc
	s_wait_alu 0xfffe
	s_delay_alu instid0(SALU_CYCLE_2) | instskip(SKIP_1) | instid1(SALU_CYCLE_2)
	s_mul_f32 s18, s2, 0x2f800000
	s_wait_alu 0xfffe
	s_trunc_f32 s18, s18
	s_wait_alu 0xfffe
	s_delay_alu instid0(SALU_CYCLE_2) | instskip(SKIP_2) | instid1(SALU_CYCLE_1)
	s_fmamk_f32 s2, s18, 0xcf800000, s2
	s_cvt_u32_f32 s41, s18
	s_wait_alu 0xfffe
	s_cvt_u32_f32 s40, s2
	s_wait_alu 0xfffe
	s_delay_alu instid0(SALU_CYCLE_2)
	s_mul_u64 s[44:45], s[42:43], s[40:41]
	s_wait_alu 0xfffe
	s_mul_hi_u32 s47, s40, s45
	s_mul_i32 s46, s40, s45
	s_mul_hi_u32 s18, s40, s44
	s_mul_i32 s29, s41, s44
	s_wait_alu 0xfffe
	s_add_nc_u64 s[46:47], s[18:19], s[46:47]
	s_mul_hi_u32 s2, s41, s44
	s_mul_hi_u32 s31, s41, s45
	s_wait_alu 0xfffe
	s_add_co_u32 s18, s46, s29
	s_add_co_ci_u32 s18, s47, s2
	s_mul_i32 s44, s41, s45
	s_add_co_ci_u32 s45, s31, 0
	s_wait_alu 0xfffe
	s_add_nc_u64 s[44:45], s[18:19], s[44:45]
	s_wait_alu 0xfffe
	s_add_co_u32 s40, s40, s44
	s_cselect_b32 s2, -1, 0
	s_wait_alu 0xfffe
	s_cmp_lg_u32 s2, 0
	s_add_co_ci_u32 s41, s41, s45
	s_wait_alu 0xfffe
	s_mul_u64 s[42:43], s[42:43], s[40:41]
	s_wait_alu 0xfffe
	s_mul_hi_u32 s45, s40, s43
	s_mul_i32 s44, s40, s43
	s_mul_hi_u32 s18, s40, s42
	s_mul_i32 s29, s41, s42
	s_wait_alu 0xfffe
	s_add_nc_u64 s[44:45], s[18:19], s[44:45]
	s_mul_hi_u32 s2, s41, s42
	s_mul_hi_u32 s31, s41, s43
	s_wait_alu 0xfffe
	s_add_co_u32 s18, s44, s29
	s_add_co_ci_u32 s18, s45, s2
	s_mul_i32 s42, s41, s43
	s_add_co_ci_u32 s43, s31, 0
	s_wait_alu 0xfffe
	s_add_nc_u64 s[42:43], s[18:19], s[42:43]
	s_wait_alu 0xfffe
	s_add_co_u32 s2, s40, s42
	s_cselect_b32 s18, -1, 0
	s_wait_alu 0xfffe
	v_mul_hi_u32 v15, v5, s2
	s_cmp_lg_u32 s18, 0
	v_mad_co_u64_u32 v[11:12], null, v7, s2, 0
	s_add_co_ci_u32 s18, s41, s43
	s_wait_alu 0xfffe
	v_mad_co_u64_u32 v[9:10], null, v5, s18, 0
	v_mad_co_u64_u32 v[13:14], null, v7, s18, 0
	s_delay_alu instid0(VALU_DEP_2) | instskip(SKIP_1) | instid1(VALU_DEP_3)
	v_add_co_u32 v9, vcc_lo, v15, v9
	s_wait_alu 0xfffd
	v_add_co_ci_u32_e64 v10, null, 0, v10, vcc_lo
	s_delay_alu instid0(VALU_DEP_2) | instskip(SKIP_1) | instid1(VALU_DEP_2)
	v_add_co_u32 v9, vcc_lo, v9, v11
	s_wait_alu 0xfffd
	v_add_co_ci_u32_e32 v9, vcc_lo, v10, v12, vcc_lo
	s_wait_alu 0xfffd
	v_add_co_ci_u32_e32 v10, vcc_lo, 0, v14, vcc_lo
	s_delay_alu instid0(VALU_DEP_2) | instskip(SKIP_1) | instid1(VALU_DEP_2)
	v_add_co_u32 v11, vcc_lo, v9, v13
	s_wait_alu 0xfffd
	v_add_co_ci_u32_e64 v12, null, 0, v10, vcc_lo
	s_delay_alu instid0(VALU_DEP_2) | instskip(SKIP_1) | instid1(VALU_DEP_3)
	v_mul_lo_u32 v13, s39, v11
	v_mad_co_u64_u32 v[9:10], null, s38, v11, 0
	v_mul_lo_u32 v14, s38, v12
	s_delay_alu instid0(VALU_DEP_2) | instskip(NEXT) | instid1(VALU_DEP_2)
	v_sub_co_u32 v5, vcc_lo, v5, v9
	v_add3_u32 v10, v10, v14, v13
	s_delay_alu instid0(VALU_DEP_1) | instskip(SKIP_2) | instid1(VALU_DEP_2)
	v_sub_nc_u32_e32 v13, v7, v10
	s_wait_alu 0xfffd
	v_sub_co_ci_u32_e64 v7, null, v7, v10, vcc_lo
	v_subrev_co_ci_u32_e64 v9, null, s39, v13, vcc_lo
	v_add_co_u32 v13, s2, v11, 2
	s_wait_alu 0xf1ff
	v_add_co_ci_u32_e64 v14, null, 0, v12, s2
	v_sub_co_u32 v15, s2, v5, s38
	s_wait_alu 0xf1ff
	v_subrev_co_ci_u32_e64 v9, null, 0, v9, s2
	s_delay_alu instid0(VALU_DEP_2) | instskip(SKIP_2) | instid1(VALU_DEP_3)
	v_cmp_le_u32_e32 vcc_lo, s38, v15
	s_wait_alu 0xfffd
	v_cndmask_b32_e64 v10, 0, -1, vcc_lo
	v_cmp_le_u32_e32 vcc_lo, s39, v9
	s_wait_alu 0xfffd
	v_cndmask_b32_e64 v15, 0, -1, vcc_lo
	;; [unrolled: 3-line block ×4, first 2 shown]
	v_cmp_eq_u32_e32 vcc_lo, s39, v9
	s_wait_alu 0xfffd
	v_cndmask_b32_e32 v9, v15, v10, vcc_lo
	v_add_co_u32 v10, vcc_lo, v11, 1
	s_wait_alu 0xfffd
	v_add_co_ci_u32_e64 v15, null, 0, v12, vcc_lo
	v_cmp_eq_u32_e32 vcc_lo, s39, v7
	s_wait_alu 0xfffd
	v_cndmask_b32_e32 v5, v16, v5, vcc_lo
	v_cmp_ne_u32_e32 vcc_lo, 0, v9
	s_delay_alu instid0(VALU_DEP_2) | instskip(SKIP_4) | instid1(VALU_DEP_2)
	v_cmp_ne_u32_e64 s2, 0, v5
	s_wait_alu 0xfffd
	v_cndmask_b32_e32 v5, v10, v13, vcc_lo
	v_cndmask_b32_e32 v7, v15, v14, vcc_lo
	s_wait_alu 0xf1ff
	v_cndmask_b32_e64 v5, v11, v5, s2
	s_delay_alu instid0(VALU_DEP_2) | instskip(NEXT) | instid1(VALU_DEP_2)
	v_cndmask_b32_e64 v7, v12, v7, s2
	v_xor_b32_e32 v5, v5, v3
	s_delay_alu instid0(VALU_DEP_2) | instskip(NEXT) | instid1(VALU_DEP_2)
	v_xor_b32_e32 v7, v7, v3
	v_sub_co_u32 v10, vcc_lo, v5, v3
	s_wait_alu 0xfffd
	s_delay_alu instid0(VALU_DEP_2)
	v_sub_co_ci_u32_e64 v11, null, v7, v3, vcc_lo
.LBB76_28:                              ;   in Loop: Header=BB76_22 Depth=2
	s_wait_alu 0xfffe
	s_and_not1_saveexec_b32 s2, s27
	s_cbranch_execz .LBB76_30
; %bb.29:                               ;   in Loop: Header=BB76_22 Depth=2
	v_cvt_f32_u32_e32 v3, s30
	s_sub_co_i32 s18, 0, s30
	v_mov_b32_e32 v11, v2
	s_delay_alu instid0(VALU_DEP_2) | instskip(NEXT) | instid1(TRANS32_DEP_1)
	v_rcp_iflag_f32_e32 v3, v3
	v_mul_f32_e32 v3, 0x4f7ffffe, v3
	s_delay_alu instid0(VALU_DEP_1) | instskip(SKIP_1) | instid1(VALU_DEP_1)
	v_cvt_u32_f32_e32 v3, v3
	s_wait_alu 0xfffe
	v_mul_lo_u32 v5, s18, v3
	s_delay_alu instid0(VALU_DEP_1) | instskip(NEXT) | instid1(VALU_DEP_1)
	v_mul_hi_u32 v5, v3, v5
	v_add_nc_u32_e32 v3, v3, v5
	s_delay_alu instid0(VALU_DEP_1) | instskip(NEXT) | instid1(VALU_DEP_1)
	v_mul_hi_u32 v3, v8, v3
	v_mul_lo_u32 v5, v3, s30
	v_add_nc_u32_e32 v7, 1, v3
	s_delay_alu instid0(VALU_DEP_2) | instskip(NEXT) | instid1(VALU_DEP_1)
	v_sub_nc_u32_e32 v5, v8, v5
	v_cmp_le_u32_e32 vcc_lo, s30, v5
	v_subrev_nc_u32_e32 v9, s30, v5
	s_wait_alu 0xfffd
	v_cndmask_b32_e32 v3, v3, v7, vcc_lo
	s_delay_alu instid0(VALU_DEP_1) | instskip(NEXT) | instid1(VALU_DEP_3)
	v_add_nc_u32_e32 v7, 1, v3
	v_cndmask_b32_e32 v5, v5, v9, vcc_lo
	s_delay_alu instid0(VALU_DEP_1) | instskip(SKIP_1) | instid1(VALU_DEP_3)
	v_cmp_le_u32_e32 vcc_lo, s30, v5
	s_wait_alu 0xfffd
	v_cndmask_b32_e32 v10, v3, v7, vcc_lo
.LBB76_30:                              ;   in Loop: Header=BB76_22 Depth=2
	s_wait_alu 0xfffe
	s_or_b32 exec_lo, exec_lo, s2
	s_add_co_i32 s18, s26, 5
	s_add_nc_u64 s[36:37], s[0:1], s[36:37]
	s_wait_alu 0xfffe
	s_lshl_b64 s[38:39], s[18:19], 2
                                        ; implicit-def: $vgpr12_vgpr13
	s_mov_b32 s2, exec_lo
	s_wait_alu 0xfffe
	s_add_nc_u64 s[34:35], s[10:11], s[38:39]
	s_clause 0x1
	s_load_b32 s29, s[36:37], 0x6c
	s_load_b32 s34, s[34:35], 0x8
	s_wait_kmcnt 0x0
	s_ashr_i32 s35, s34, 31
	s_wait_alu 0xfffe
	v_or_b32_e32 v3, s35, v11
	s_delay_alu instid0(VALU_DEP_1)
	v_cmpx_ne_u64_e32 0, v[2:3]
	s_xor_b32 s27, exec_lo, s2
	s_cbranch_execz .LBB76_32
; %bb.31:                               ;   in Loop: Header=BB76_22 Depth=2
	s_ashr_i32 s36, s35, 31
	v_ashrrev_i32_e32 v3, 31, v11
	s_wait_alu 0xfffe
	s_mov_b32 s37, s36
	s_wait_alu 0xfffe
	s_add_nc_u64 s[40:41], s[34:35], s[36:37]
	v_add_co_u32 v5, vcc_lo, v10, v3
	s_wait_alu 0xfffe
	s_xor_b64 s[40:41], s[40:41], s[36:37]
	s_wait_alu 0xfffd
	v_add_co_ci_u32_e64 v7, null, v11, v3, vcc_lo
	s_wait_alu 0xfffe
	s_cvt_f32_u32 s2, s40
	s_cvt_f32_u32 s18, s41
	s_sub_nc_u64 s[44:45], 0, s[40:41]
	v_xor_b32_e32 v5, v5, v3
	v_xor_b32_e32 v7, v7, v3
	s_wait_alu 0xfffe
	s_fmamk_f32 s2, s18, 0x4f800000, s2
	v_xor_b32_e32 v3, s36, v3
	s_wait_alu 0xfffe
	s_delay_alu instid0(SALU_CYCLE_1) | instskip(NEXT) | instid1(TRANS32_DEP_1)
	v_s_rcp_f32 s2, s2
	s_mul_f32 s2, s2, 0x5f7ffffc
	s_wait_alu 0xfffe
	s_delay_alu instid0(SALU_CYCLE_2) | instskip(SKIP_1) | instid1(SALU_CYCLE_2)
	s_mul_f32 s18, s2, 0x2f800000
	s_wait_alu 0xfffe
	s_trunc_f32 s18, s18
	s_wait_alu 0xfffe
	s_delay_alu instid0(SALU_CYCLE_2) | instskip(SKIP_2) | instid1(SALU_CYCLE_1)
	s_fmamk_f32 s2, s18, 0xcf800000, s2
	s_cvt_u32_f32 s43, s18
	s_wait_alu 0xfffe
	s_cvt_u32_f32 s42, s2
	s_wait_alu 0xfffe
	s_delay_alu instid0(SALU_CYCLE_2)
	s_mul_u64 s[46:47], s[44:45], s[42:43]
	s_wait_alu 0xfffe
	s_mul_hi_u32 s49, s42, s47
	s_mul_i32 s48, s42, s47
	s_mul_hi_u32 s18, s42, s46
	s_mul_i32 s31, s43, s46
	s_wait_alu 0xfffe
	s_add_nc_u64 s[48:49], s[18:19], s[48:49]
	s_mul_hi_u32 s2, s43, s46
	s_mul_hi_u32 s35, s43, s47
	s_wait_alu 0xfffe
	s_add_co_u32 s18, s48, s31
	s_add_co_ci_u32 s18, s49, s2
	s_mul_i32 s46, s43, s47
	s_add_co_ci_u32 s47, s35, 0
	s_wait_alu 0xfffe
	s_add_nc_u64 s[46:47], s[18:19], s[46:47]
	s_wait_alu 0xfffe
	s_add_co_u32 s42, s42, s46
	s_cselect_b32 s2, -1, 0
	s_wait_alu 0xfffe
	s_cmp_lg_u32 s2, 0
	s_add_co_ci_u32 s43, s43, s47
	s_wait_alu 0xfffe
	s_mul_u64 s[44:45], s[44:45], s[42:43]
	s_wait_alu 0xfffe
	s_mul_hi_u32 s47, s42, s45
	s_mul_i32 s46, s42, s45
	s_mul_hi_u32 s18, s42, s44
	s_mul_i32 s31, s43, s44
	s_wait_alu 0xfffe
	s_add_nc_u64 s[46:47], s[18:19], s[46:47]
	s_mul_hi_u32 s2, s43, s44
	s_mul_hi_u32 s35, s43, s45
	s_wait_alu 0xfffe
	s_add_co_u32 s18, s46, s31
	s_add_co_ci_u32 s18, s47, s2
	s_mul_i32 s44, s43, s45
	s_add_co_ci_u32 s45, s35, 0
	s_wait_alu 0xfffe
	s_add_nc_u64 s[44:45], s[18:19], s[44:45]
	s_wait_alu 0xfffe
	s_add_co_u32 s2, s42, s44
	s_cselect_b32 s18, -1, 0
	s_wait_alu 0xfffe
	v_mul_hi_u32 v9, v5, s2
	s_cmp_lg_u32 s18, 0
	v_mad_co_u64_u32 v[13:14], null, v7, s2, 0
	s_add_co_ci_u32 s18, s43, s45
	s_wait_alu 0xfffe
	v_mad_co_u64_u32 v[11:12], null, v5, s18, 0
	v_mad_co_u64_u32 v[15:16], null, v7, s18, 0
	s_delay_alu instid0(VALU_DEP_2) | instskip(SKIP_1) | instid1(VALU_DEP_3)
	v_add_co_u32 v9, vcc_lo, v9, v11
	s_wait_alu 0xfffd
	v_add_co_ci_u32_e64 v11, null, 0, v12, vcc_lo
	s_delay_alu instid0(VALU_DEP_2) | instskip(SKIP_1) | instid1(VALU_DEP_2)
	v_add_co_u32 v9, vcc_lo, v9, v13
	s_wait_alu 0xfffd
	v_add_co_ci_u32_e32 v9, vcc_lo, v11, v14, vcc_lo
	s_wait_alu 0xfffd
	v_add_co_ci_u32_e32 v11, vcc_lo, 0, v16, vcc_lo
	s_delay_alu instid0(VALU_DEP_2) | instskip(SKIP_1) | instid1(VALU_DEP_2)
	v_add_co_u32 v9, vcc_lo, v9, v15
	s_wait_alu 0xfffd
	v_add_co_ci_u32_e64 v13, null, 0, v11, vcc_lo
	s_delay_alu instid0(VALU_DEP_2) | instskip(SKIP_1) | instid1(VALU_DEP_3)
	v_mul_lo_u32 v14, s41, v9
	v_mad_co_u64_u32 v[11:12], null, s40, v9, 0
	v_mul_lo_u32 v15, s40, v13
	s_delay_alu instid0(VALU_DEP_2) | instskip(NEXT) | instid1(VALU_DEP_2)
	v_sub_co_u32 v5, vcc_lo, v5, v11
	v_add3_u32 v12, v12, v15, v14
	s_delay_alu instid0(VALU_DEP_1) | instskip(SKIP_2) | instid1(VALU_DEP_2)
	v_sub_nc_u32_e32 v14, v7, v12
	s_wait_alu 0xfffd
	v_sub_co_ci_u32_e64 v7, null, v7, v12, vcc_lo
	v_subrev_co_ci_u32_e64 v11, null, s41, v14, vcc_lo
	v_add_co_u32 v14, s2, v9, 2
	s_wait_alu 0xf1ff
	v_add_co_ci_u32_e64 v15, null, 0, v13, s2
	v_sub_co_u32 v16, s2, v5, s40
	s_wait_alu 0xf1ff
	v_subrev_co_ci_u32_e64 v11, null, 0, v11, s2
	s_delay_alu instid0(VALU_DEP_2) | instskip(SKIP_2) | instid1(VALU_DEP_3)
	v_cmp_le_u32_e32 vcc_lo, s40, v16
	s_wait_alu 0xfffd
	v_cndmask_b32_e64 v12, 0, -1, vcc_lo
	v_cmp_le_u32_e32 vcc_lo, s41, v11
	s_wait_alu 0xfffd
	v_cndmask_b32_e64 v16, 0, -1, vcc_lo
	;; [unrolled: 3-line block ×4, first 2 shown]
	v_cmp_eq_u32_e32 vcc_lo, s41, v11
	s_wait_alu 0xfffd
	v_cndmask_b32_e32 v11, v16, v12, vcc_lo
	v_add_co_u32 v12, vcc_lo, v9, 1
	s_wait_alu 0xfffd
	v_add_co_ci_u32_e64 v16, null, 0, v13, vcc_lo
	v_cmp_eq_u32_e32 vcc_lo, s41, v7
	s_wait_alu 0xfffd
	v_cndmask_b32_e32 v5, v17, v5, vcc_lo
	v_cmp_ne_u32_e32 vcc_lo, 0, v11
	s_delay_alu instid0(VALU_DEP_2) | instskip(SKIP_4) | instid1(VALU_DEP_2)
	v_cmp_ne_u32_e64 s2, 0, v5
	s_wait_alu 0xfffd
	v_cndmask_b32_e32 v5, v12, v14, vcc_lo
	v_cndmask_b32_e32 v7, v16, v15, vcc_lo
	s_wait_alu 0xf1ff
	v_cndmask_b32_e64 v5, v9, v5, s2
	s_delay_alu instid0(VALU_DEP_2) | instskip(NEXT) | instid1(VALU_DEP_2)
	v_cndmask_b32_e64 v7, v13, v7, s2
	v_xor_b32_e32 v5, v5, v3
	s_delay_alu instid0(VALU_DEP_2) | instskip(NEXT) | instid1(VALU_DEP_2)
	v_xor_b32_e32 v7, v7, v3
	v_sub_co_u32 v12, vcc_lo, v5, v3
	s_wait_alu 0xfffd
	s_delay_alu instid0(VALU_DEP_2)
	v_sub_co_ci_u32_e64 v13, null, v7, v3, vcc_lo
.LBB76_32:                              ;   in Loop: Header=BB76_22 Depth=2
	s_wait_alu 0xfffe
	s_and_not1_saveexec_b32 s2, s27
	s_cbranch_execz .LBB76_34
; %bb.33:                               ;   in Loop: Header=BB76_22 Depth=2
	v_cvt_f32_u32_e32 v3, s34
	s_sub_co_i32 s18, 0, s34
	v_mov_b32_e32 v13, v2
	s_delay_alu instid0(VALU_DEP_2) | instskip(NEXT) | instid1(TRANS32_DEP_1)
	v_rcp_iflag_f32_e32 v3, v3
	v_mul_f32_e32 v3, 0x4f7ffffe, v3
	s_delay_alu instid0(VALU_DEP_1) | instskip(SKIP_1) | instid1(VALU_DEP_1)
	v_cvt_u32_f32_e32 v3, v3
	s_wait_alu 0xfffe
	v_mul_lo_u32 v5, s18, v3
	s_delay_alu instid0(VALU_DEP_1) | instskip(NEXT) | instid1(VALU_DEP_1)
	v_mul_hi_u32 v5, v3, v5
	v_add_nc_u32_e32 v3, v3, v5
	s_delay_alu instid0(VALU_DEP_1) | instskip(NEXT) | instid1(VALU_DEP_1)
	v_mul_hi_u32 v3, v10, v3
	v_mul_lo_u32 v5, v3, s34
	v_add_nc_u32_e32 v7, 1, v3
	s_delay_alu instid0(VALU_DEP_2) | instskip(NEXT) | instid1(VALU_DEP_1)
	v_sub_nc_u32_e32 v5, v10, v5
	v_cmp_le_u32_e32 vcc_lo, s34, v5
	v_subrev_nc_u32_e32 v9, s34, v5
	s_wait_alu 0xfffd
	v_cndmask_b32_e32 v3, v3, v7, vcc_lo
	s_delay_alu instid0(VALU_DEP_1) | instskip(NEXT) | instid1(VALU_DEP_3)
	v_add_nc_u32_e32 v7, 1, v3
	v_cndmask_b32_e32 v5, v5, v9, vcc_lo
	s_delay_alu instid0(VALU_DEP_1) | instskip(SKIP_1) | instid1(VALU_DEP_3)
	v_cmp_le_u32_e32 vcc_lo, s34, v5
	s_wait_alu 0xfffd
	v_cndmask_b32_e32 v12, v3, v7, vcc_lo
.LBB76_34:                              ;   in Loop: Header=BB76_22 Depth=2
	s_wait_alu 0xfffe
	s_or_b32 exec_lo, exec_lo, s2
	s_add_co_i32 s18, s26, 4
	s_add_nc_u64 s[38:39], s[0:1], s[38:39]
	s_wait_alu 0xfffe
	s_lshl_b64 s[40:41], s[18:19], 2
                                        ; implicit-def: $vgpr14_vgpr15
	s_mov_b32 s2, exec_lo
	s_wait_alu 0xfffe
	s_add_nc_u64 s[36:37], s[10:11], s[40:41]
	s_clause 0x1
	s_load_b32 s31, s[38:39], 0x6c
	s_load_b32 s36, s[36:37], 0x8
	s_wait_kmcnt 0x0
	s_ashr_i32 s37, s36, 31
	s_wait_alu 0xfffe
	v_or_b32_e32 v3, s37, v13
	s_delay_alu instid0(VALU_DEP_1)
	v_cmpx_ne_u64_e32 0, v[2:3]
	s_xor_b32 s27, exec_lo, s2
	s_cbranch_execz .LBB76_36
; %bb.35:                               ;   in Loop: Header=BB76_22 Depth=2
	s_ashr_i32 s38, s37, 31
	v_ashrrev_i32_e32 v3, 31, v13
	s_wait_alu 0xfffe
	s_mov_b32 s39, s38
	s_wait_alu 0xfffe
	s_add_nc_u64 s[42:43], s[36:37], s[38:39]
	v_add_co_u32 v5, vcc_lo, v12, v3
	s_wait_alu 0xfffe
	s_xor_b64 s[42:43], s[42:43], s[38:39]
	s_wait_alu 0xfffd
	v_add_co_ci_u32_e64 v7, null, v13, v3, vcc_lo
	s_wait_alu 0xfffe
	s_cvt_f32_u32 s2, s42
	s_cvt_f32_u32 s18, s43
	s_sub_nc_u64 s[46:47], 0, s[42:43]
	v_xor_b32_e32 v5, v5, v3
	v_xor_b32_e32 v7, v7, v3
	s_wait_alu 0xfffe
	s_fmamk_f32 s2, s18, 0x4f800000, s2
	v_xor_b32_e32 v3, s38, v3
	s_wait_alu 0xfffe
	s_delay_alu instid0(SALU_CYCLE_1) | instskip(NEXT) | instid1(TRANS32_DEP_1)
	v_s_rcp_f32 s2, s2
	s_mul_f32 s2, s2, 0x5f7ffffc
	s_wait_alu 0xfffe
	s_delay_alu instid0(SALU_CYCLE_2) | instskip(SKIP_1) | instid1(SALU_CYCLE_2)
	s_mul_f32 s18, s2, 0x2f800000
	s_wait_alu 0xfffe
	s_trunc_f32 s18, s18
	s_wait_alu 0xfffe
	s_delay_alu instid0(SALU_CYCLE_2) | instskip(SKIP_2) | instid1(SALU_CYCLE_1)
	s_fmamk_f32 s2, s18, 0xcf800000, s2
	s_cvt_u32_f32 s45, s18
	s_wait_alu 0xfffe
	s_cvt_u32_f32 s44, s2
	s_wait_alu 0xfffe
	s_delay_alu instid0(SALU_CYCLE_2)
	s_mul_u64 s[48:49], s[46:47], s[44:45]
	s_wait_alu 0xfffe
	s_mul_hi_u32 s51, s44, s49
	s_mul_i32 s50, s44, s49
	s_mul_hi_u32 s18, s44, s48
	s_mul_i32 s35, s45, s48
	s_wait_alu 0xfffe
	s_add_nc_u64 s[50:51], s[18:19], s[50:51]
	s_mul_hi_u32 s2, s45, s48
	s_mul_hi_u32 s37, s45, s49
	s_wait_alu 0xfffe
	s_add_co_u32 s18, s50, s35
	s_add_co_ci_u32 s18, s51, s2
	s_mul_i32 s48, s45, s49
	s_add_co_ci_u32 s49, s37, 0
	s_wait_alu 0xfffe
	s_add_nc_u64 s[48:49], s[18:19], s[48:49]
	s_wait_alu 0xfffe
	s_add_co_u32 s44, s44, s48
	s_cselect_b32 s2, -1, 0
	s_wait_alu 0xfffe
	s_cmp_lg_u32 s2, 0
	s_add_co_ci_u32 s45, s45, s49
	s_wait_alu 0xfffe
	s_mul_u64 s[46:47], s[46:47], s[44:45]
	s_wait_alu 0xfffe
	s_mul_hi_u32 s49, s44, s47
	s_mul_i32 s48, s44, s47
	s_mul_hi_u32 s18, s44, s46
	s_mul_i32 s35, s45, s46
	s_wait_alu 0xfffe
	s_add_nc_u64 s[48:49], s[18:19], s[48:49]
	s_mul_hi_u32 s2, s45, s46
	s_mul_hi_u32 s37, s45, s47
	s_wait_alu 0xfffe
	s_add_co_u32 s18, s48, s35
	s_add_co_ci_u32 s18, s49, s2
	s_mul_i32 s46, s45, s47
	s_add_co_ci_u32 s47, s37, 0
	s_wait_alu 0xfffe
	s_add_nc_u64 s[46:47], s[18:19], s[46:47]
	s_wait_alu 0xfffe
	s_add_co_u32 s2, s44, s46
	s_cselect_b32 s18, -1, 0
	s_wait_alu 0xfffe
	v_mul_hi_u32 v9, v5, s2
	s_cmp_lg_u32 s18, 0
	v_mad_co_u64_u32 v[15:16], null, v7, s2, 0
	s_add_co_ci_u32 s18, s45, s47
	s_wait_alu 0xfffe
	v_mad_co_u64_u32 v[13:14], null, v5, s18, 0
	v_mad_co_u64_u32 v[17:18], null, v7, s18, 0
	s_delay_alu instid0(VALU_DEP_2) | instskip(SKIP_1) | instid1(VALU_DEP_3)
	v_add_co_u32 v9, vcc_lo, v9, v13
	s_wait_alu 0xfffd
	v_add_co_ci_u32_e64 v11, null, 0, v14, vcc_lo
	s_delay_alu instid0(VALU_DEP_2) | instskip(SKIP_1) | instid1(VALU_DEP_2)
	v_add_co_u32 v9, vcc_lo, v9, v15
	s_wait_alu 0xfffd
	v_add_co_ci_u32_e32 v9, vcc_lo, v11, v16, vcc_lo
	s_wait_alu 0xfffd
	v_add_co_ci_u32_e32 v11, vcc_lo, 0, v18, vcc_lo
	s_delay_alu instid0(VALU_DEP_2) | instskip(SKIP_1) | instid1(VALU_DEP_2)
	v_add_co_u32 v9, vcc_lo, v9, v17
	s_wait_alu 0xfffd
	v_add_co_ci_u32_e64 v11, null, 0, v11, vcc_lo
	s_delay_alu instid0(VALU_DEP_2) | instskip(SKIP_1) | instid1(VALU_DEP_3)
	v_mul_lo_u32 v15, s43, v9
	v_mad_co_u64_u32 v[13:14], null, s42, v9, 0
	v_mul_lo_u32 v16, s42, v11
	s_delay_alu instid0(VALU_DEP_2) | instskip(NEXT) | instid1(VALU_DEP_2)
	v_sub_co_u32 v5, vcc_lo, v5, v13
	v_add3_u32 v14, v14, v16, v15
	s_delay_alu instid0(VALU_DEP_1) | instskip(SKIP_2) | instid1(VALU_DEP_2)
	v_sub_nc_u32_e32 v15, v7, v14
	s_wait_alu 0xfffd
	v_sub_co_ci_u32_e64 v7, null, v7, v14, vcc_lo
	v_subrev_co_ci_u32_e64 v13, null, s43, v15, vcc_lo
	v_add_co_u32 v15, s2, v9, 2
	s_wait_alu 0xf1ff
	v_add_co_ci_u32_e64 v16, null, 0, v11, s2
	v_sub_co_u32 v17, s2, v5, s42
	s_wait_alu 0xf1ff
	v_subrev_co_ci_u32_e64 v13, null, 0, v13, s2
	s_delay_alu instid0(VALU_DEP_2) | instskip(SKIP_2) | instid1(VALU_DEP_3)
	v_cmp_le_u32_e32 vcc_lo, s42, v17
	s_wait_alu 0xfffd
	v_cndmask_b32_e64 v14, 0, -1, vcc_lo
	v_cmp_le_u32_e32 vcc_lo, s43, v13
	s_wait_alu 0xfffd
	v_cndmask_b32_e64 v17, 0, -1, vcc_lo
	;; [unrolled: 3-line block ×4, first 2 shown]
	v_cmp_eq_u32_e32 vcc_lo, s43, v13
	s_wait_alu 0xfffd
	v_cndmask_b32_e32 v13, v17, v14, vcc_lo
	v_add_co_u32 v14, vcc_lo, v9, 1
	s_wait_alu 0xfffd
	v_add_co_ci_u32_e64 v17, null, 0, v11, vcc_lo
	v_cmp_eq_u32_e32 vcc_lo, s43, v7
	s_wait_alu 0xfffd
	v_cndmask_b32_e32 v5, v18, v5, vcc_lo
	v_cmp_ne_u32_e32 vcc_lo, 0, v13
	s_delay_alu instid0(VALU_DEP_2) | instskip(SKIP_4) | instid1(VALU_DEP_2)
	v_cmp_ne_u32_e64 s2, 0, v5
	s_wait_alu 0xfffd
	v_cndmask_b32_e32 v5, v14, v15, vcc_lo
	v_cndmask_b32_e32 v7, v17, v16, vcc_lo
	s_wait_alu 0xf1ff
	v_cndmask_b32_e64 v5, v9, v5, s2
	s_delay_alu instid0(VALU_DEP_2) | instskip(NEXT) | instid1(VALU_DEP_2)
	v_cndmask_b32_e64 v7, v11, v7, s2
	v_xor_b32_e32 v5, v5, v3
	s_delay_alu instid0(VALU_DEP_2) | instskip(NEXT) | instid1(VALU_DEP_2)
	v_xor_b32_e32 v7, v7, v3
	v_sub_co_u32 v14, vcc_lo, v5, v3
	s_wait_alu 0xfffd
	s_delay_alu instid0(VALU_DEP_2)
	v_sub_co_ci_u32_e64 v15, null, v7, v3, vcc_lo
.LBB76_36:                              ;   in Loop: Header=BB76_22 Depth=2
	s_wait_alu 0xfffe
	s_and_not1_saveexec_b32 s2, s27
	s_cbranch_execz .LBB76_38
; %bb.37:                               ;   in Loop: Header=BB76_22 Depth=2
	v_cvt_f32_u32_e32 v3, s36
	s_sub_co_i32 s18, 0, s36
	v_mov_b32_e32 v15, v2
	s_delay_alu instid0(VALU_DEP_2) | instskip(NEXT) | instid1(TRANS32_DEP_1)
	v_rcp_iflag_f32_e32 v3, v3
	v_mul_f32_e32 v3, 0x4f7ffffe, v3
	s_delay_alu instid0(VALU_DEP_1) | instskip(SKIP_1) | instid1(VALU_DEP_1)
	v_cvt_u32_f32_e32 v3, v3
	s_wait_alu 0xfffe
	v_mul_lo_u32 v5, s18, v3
	s_delay_alu instid0(VALU_DEP_1) | instskip(NEXT) | instid1(VALU_DEP_1)
	v_mul_hi_u32 v5, v3, v5
	v_add_nc_u32_e32 v3, v3, v5
	s_delay_alu instid0(VALU_DEP_1) | instskip(NEXT) | instid1(VALU_DEP_1)
	v_mul_hi_u32 v3, v12, v3
	v_mul_lo_u32 v5, v3, s36
	v_add_nc_u32_e32 v7, 1, v3
	s_delay_alu instid0(VALU_DEP_2) | instskip(NEXT) | instid1(VALU_DEP_1)
	v_sub_nc_u32_e32 v5, v12, v5
	v_cmp_le_u32_e32 vcc_lo, s36, v5
	v_subrev_nc_u32_e32 v9, s36, v5
	s_wait_alu 0xfffd
	v_cndmask_b32_e32 v3, v3, v7, vcc_lo
	s_delay_alu instid0(VALU_DEP_1) | instskip(NEXT) | instid1(VALU_DEP_3)
	v_add_nc_u32_e32 v7, 1, v3
	v_cndmask_b32_e32 v5, v5, v9, vcc_lo
	s_delay_alu instid0(VALU_DEP_1) | instskip(SKIP_1) | instid1(VALU_DEP_3)
	v_cmp_le_u32_e32 vcc_lo, s36, v5
	s_wait_alu 0xfffd
	v_cndmask_b32_e32 v14, v3, v7, vcc_lo
.LBB76_38:                              ;   in Loop: Header=BB76_22 Depth=2
	s_wait_alu 0xfffe
	s_or_b32 exec_lo, exec_lo, s2
	s_add_co_i32 s18, s26, 3
	s_add_nc_u64 s[40:41], s[0:1], s[40:41]
	s_wait_alu 0xfffe
	s_lshl_b64 s[42:43], s[18:19], 2
                                        ; implicit-def: $vgpr16_vgpr17
	s_mov_b32 s2, exec_lo
	s_wait_alu 0xfffe
	s_add_nc_u64 s[38:39], s[10:11], s[42:43]
	s_clause 0x1
	s_load_b32 s35, s[40:41], 0x6c
	s_load_b32 s38, s[38:39], 0x8
	s_wait_kmcnt 0x0
	s_ashr_i32 s39, s38, 31
	s_wait_alu 0xfffe
	v_or_b32_e32 v3, s39, v15
	s_delay_alu instid0(VALU_DEP_1)
	v_cmpx_ne_u64_e32 0, v[2:3]
	s_xor_b32 s27, exec_lo, s2
	s_cbranch_execz .LBB76_40
; %bb.39:                               ;   in Loop: Header=BB76_22 Depth=2
	s_ashr_i32 s40, s39, 31
	v_ashrrev_i32_e32 v3, 31, v15
	s_wait_alu 0xfffe
	s_mov_b32 s41, s40
	s_wait_alu 0xfffe
	s_add_nc_u64 s[44:45], s[38:39], s[40:41]
	v_add_co_u32 v5, vcc_lo, v14, v3
	s_wait_alu 0xfffe
	s_xor_b64 s[44:45], s[44:45], s[40:41]
	s_wait_alu 0xfffd
	v_add_co_ci_u32_e64 v7, null, v15, v3, vcc_lo
	s_wait_alu 0xfffe
	s_cvt_f32_u32 s2, s44
	s_cvt_f32_u32 s18, s45
	s_sub_nc_u64 s[48:49], 0, s[44:45]
	v_xor_b32_e32 v5, v5, v3
	v_xor_b32_e32 v7, v7, v3
	s_wait_alu 0xfffe
	s_fmamk_f32 s2, s18, 0x4f800000, s2
	v_xor_b32_e32 v3, s40, v3
	s_wait_alu 0xfffe
	s_delay_alu instid0(SALU_CYCLE_1) | instskip(NEXT) | instid1(TRANS32_DEP_1)
	v_s_rcp_f32 s2, s2
	s_mul_f32 s2, s2, 0x5f7ffffc
	s_wait_alu 0xfffe
	s_delay_alu instid0(SALU_CYCLE_2) | instskip(SKIP_1) | instid1(SALU_CYCLE_2)
	s_mul_f32 s18, s2, 0x2f800000
	s_wait_alu 0xfffe
	s_trunc_f32 s18, s18
	s_wait_alu 0xfffe
	s_delay_alu instid0(SALU_CYCLE_2) | instskip(SKIP_2) | instid1(SALU_CYCLE_1)
	s_fmamk_f32 s2, s18, 0xcf800000, s2
	s_cvt_u32_f32 s47, s18
	s_wait_alu 0xfffe
	s_cvt_u32_f32 s46, s2
	s_wait_alu 0xfffe
	s_delay_alu instid0(SALU_CYCLE_2)
	s_mul_u64 s[50:51], s[48:49], s[46:47]
	s_wait_alu 0xfffe
	s_mul_hi_u32 s59, s46, s51
	s_mul_i32 s58, s46, s51
	s_mul_hi_u32 s18, s46, s50
	s_mul_i32 s37, s47, s50
	s_wait_alu 0xfffe
	s_add_nc_u64 s[58:59], s[18:19], s[58:59]
	s_mul_hi_u32 s2, s47, s50
	s_mul_hi_u32 s39, s47, s51
	s_add_co_u32 s18, s58, s37
	s_wait_alu 0xfffe
	s_add_co_ci_u32 s18, s59, s2
	s_mul_i32 s50, s47, s51
	s_add_co_ci_u32 s51, s39, 0
	s_wait_alu 0xfffe
	s_add_nc_u64 s[50:51], s[18:19], s[50:51]
	s_wait_alu 0xfffe
	s_add_co_u32 s46, s46, s50
	s_cselect_b32 s2, -1, 0
	s_wait_alu 0xfffe
	s_cmp_lg_u32 s2, 0
	s_add_co_ci_u32 s47, s47, s51
	s_wait_alu 0xfffe
	s_mul_u64 s[48:49], s[48:49], s[46:47]
	s_wait_alu 0xfffe
	s_mul_hi_u32 s51, s46, s49
	s_mul_i32 s50, s46, s49
	s_mul_hi_u32 s18, s46, s48
	s_mul_i32 s37, s47, s48
	s_wait_alu 0xfffe
	s_add_nc_u64 s[50:51], s[18:19], s[50:51]
	s_mul_hi_u32 s2, s47, s48
	s_mul_hi_u32 s39, s47, s49
	s_wait_alu 0xfffe
	s_add_co_u32 s18, s50, s37
	s_add_co_ci_u32 s18, s51, s2
	s_mul_i32 s48, s47, s49
	s_add_co_ci_u32 s49, s39, 0
	s_wait_alu 0xfffe
	s_add_nc_u64 s[48:49], s[18:19], s[48:49]
	s_wait_alu 0xfffe
	s_add_co_u32 s2, s46, s48
	s_cselect_b32 s18, -1, 0
	s_wait_alu 0xfffe
	v_mul_hi_u32 v9, v5, s2
	s_cmp_lg_u32 s18, 0
	v_mad_co_u64_u32 v[17:18], null, v7, s2, 0
	s_add_co_ci_u32 s18, s47, s49
	s_wait_alu 0xfffe
	v_mad_co_u64_u32 v[15:16], null, v5, s18, 0
	v_mad_co_u64_u32 v[19:20], null, v7, s18, 0
	s_delay_alu instid0(VALU_DEP_2) | instskip(SKIP_1) | instid1(VALU_DEP_3)
	v_add_co_u32 v9, vcc_lo, v9, v15
	s_wait_alu 0xfffd
	v_add_co_ci_u32_e64 v11, null, 0, v16, vcc_lo
	s_delay_alu instid0(VALU_DEP_2) | instskip(SKIP_1) | instid1(VALU_DEP_2)
	v_add_co_u32 v9, vcc_lo, v9, v17
	s_wait_alu 0xfffd
	v_add_co_ci_u32_e32 v9, vcc_lo, v11, v18, vcc_lo
	s_wait_alu 0xfffd
	v_add_co_ci_u32_e32 v11, vcc_lo, 0, v20, vcc_lo
	s_delay_alu instid0(VALU_DEP_2) | instskip(SKIP_1) | instid1(VALU_DEP_2)
	v_add_co_u32 v9, vcc_lo, v9, v19
	s_wait_alu 0xfffd
	v_add_co_ci_u32_e64 v11, null, 0, v11, vcc_lo
	s_delay_alu instid0(VALU_DEP_2) | instskip(SKIP_1) | instid1(VALU_DEP_3)
	v_mul_lo_u32 v13, s45, v9
	v_mad_co_u64_u32 v[15:16], null, s44, v9, 0
	v_mul_lo_u32 v17, s44, v11
	s_delay_alu instid0(VALU_DEP_2) | instskip(NEXT) | instid1(VALU_DEP_2)
	v_sub_co_u32 v5, vcc_lo, v5, v15
	v_add3_u32 v13, v16, v17, v13
	s_delay_alu instid0(VALU_DEP_1) | instskip(SKIP_2) | instid1(VALU_DEP_2)
	v_sub_nc_u32_e32 v16, v7, v13
	s_wait_alu 0xfffd
	v_sub_co_ci_u32_e64 v7, null, v7, v13, vcc_lo
	v_subrev_co_ci_u32_e64 v15, null, s45, v16, vcc_lo
	v_add_co_u32 v16, s2, v9, 2
	s_wait_alu 0xf1ff
	v_add_co_ci_u32_e64 v17, null, 0, v11, s2
	v_sub_co_u32 v18, s2, v5, s44
	s_wait_alu 0xf1ff
	v_subrev_co_ci_u32_e64 v15, null, 0, v15, s2
	s_delay_alu instid0(VALU_DEP_2) | instskip(SKIP_2) | instid1(VALU_DEP_3)
	v_cmp_le_u32_e32 vcc_lo, s44, v18
	s_wait_alu 0xfffd
	v_cndmask_b32_e64 v13, 0, -1, vcc_lo
	v_cmp_le_u32_e32 vcc_lo, s45, v15
	s_wait_alu 0xfffd
	v_cndmask_b32_e64 v18, 0, -1, vcc_lo
	;; [unrolled: 3-line block ×4, first 2 shown]
	v_cmp_eq_u32_e32 vcc_lo, s45, v15
	s_wait_alu 0xfffd
	v_cndmask_b32_e32 v13, v18, v13, vcc_lo
	v_add_co_u32 v15, vcc_lo, v9, 1
	s_wait_alu 0xfffd
	v_add_co_ci_u32_e64 v18, null, 0, v11, vcc_lo
	v_cmp_eq_u32_e32 vcc_lo, s45, v7
	s_wait_alu 0xfffd
	v_cndmask_b32_e32 v5, v19, v5, vcc_lo
	v_cmp_ne_u32_e32 vcc_lo, 0, v13
	s_delay_alu instid0(VALU_DEP_2) | instskip(SKIP_4) | instid1(VALU_DEP_2)
	v_cmp_ne_u32_e64 s2, 0, v5
	s_wait_alu 0xfffd
	v_cndmask_b32_e32 v5, v15, v16, vcc_lo
	v_cndmask_b32_e32 v7, v18, v17, vcc_lo
	s_wait_alu 0xf1ff
	v_cndmask_b32_e64 v5, v9, v5, s2
	s_delay_alu instid0(VALU_DEP_2) | instskip(NEXT) | instid1(VALU_DEP_2)
	v_cndmask_b32_e64 v7, v11, v7, s2
	v_xor_b32_e32 v5, v5, v3
	s_delay_alu instid0(VALU_DEP_2) | instskip(NEXT) | instid1(VALU_DEP_2)
	v_xor_b32_e32 v7, v7, v3
	v_sub_co_u32 v16, vcc_lo, v5, v3
	s_wait_alu 0xfffd
	s_delay_alu instid0(VALU_DEP_2)
	v_sub_co_ci_u32_e64 v17, null, v7, v3, vcc_lo
.LBB76_40:                              ;   in Loop: Header=BB76_22 Depth=2
	s_wait_alu 0xfffe
	s_and_not1_saveexec_b32 s2, s27
	s_cbranch_execz .LBB76_42
; %bb.41:                               ;   in Loop: Header=BB76_22 Depth=2
	v_cvt_f32_u32_e32 v3, s38
	s_sub_co_i32 s18, 0, s38
	v_mov_b32_e32 v17, v2
	s_delay_alu instid0(VALU_DEP_2) | instskip(NEXT) | instid1(TRANS32_DEP_1)
	v_rcp_iflag_f32_e32 v3, v3
	v_mul_f32_e32 v3, 0x4f7ffffe, v3
	s_delay_alu instid0(VALU_DEP_1) | instskip(SKIP_1) | instid1(VALU_DEP_1)
	v_cvt_u32_f32_e32 v3, v3
	s_wait_alu 0xfffe
	v_mul_lo_u32 v5, s18, v3
	s_delay_alu instid0(VALU_DEP_1) | instskip(NEXT) | instid1(VALU_DEP_1)
	v_mul_hi_u32 v5, v3, v5
	v_add_nc_u32_e32 v3, v3, v5
	s_delay_alu instid0(VALU_DEP_1) | instskip(NEXT) | instid1(VALU_DEP_1)
	v_mul_hi_u32 v3, v14, v3
	v_mul_lo_u32 v5, v3, s38
	v_add_nc_u32_e32 v7, 1, v3
	s_delay_alu instid0(VALU_DEP_2) | instskip(NEXT) | instid1(VALU_DEP_1)
	v_sub_nc_u32_e32 v5, v14, v5
	v_cmp_le_u32_e32 vcc_lo, s38, v5
	v_subrev_nc_u32_e32 v9, s38, v5
	s_wait_alu 0xfffd
	v_cndmask_b32_e32 v3, v3, v7, vcc_lo
	s_delay_alu instid0(VALU_DEP_1) | instskip(NEXT) | instid1(VALU_DEP_3)
	v_add_nc_u32_e32 v7, 1, v3
	v_cndmask_b32_e32 v5, v5, v9, vcc_lo
	s_delay_alu instid0(VALU_DEP_1) | instskip(SKIP_1) | instid1(VALU_DEP_3)
	v_cmp_le_u32_e32 vcc_lo, s38, v5
	s_wait_alu 0xfffd
	v_cndmask_b32_e32 v16, v3, v7, vcc_lo
.LBB76_42:                              ;   in Loop: Header=BB76_22 Depth=2
	s_wait_alu 0xfffe
	s_or_b32 exec_lo, exec_lo, s2
	s_add_co_i32 s18, s26, 2
	s_add_nc_u64 s[42:43], s[0:1], s[42:43]
	s_wait_alu 0xfffe
	s_lshl_b64 s[44:45], s[18:19], 2
                                        ; implicit-def: $vgpr18_vgpr19
	s_mov_b32 s2, exec_lo
	s_wait_alu 0xfffe
	s_add_nc_u64 s[40:41], s[10:11], s[44:45]
	s_clause 0x1
	s_load_b32 s37, s[42:43], 0x6c
	s_load_b32 s40, s[40:41], 0x8
	s_wait_kmcnt 0x0
	s_ashr_i32 s41, s40, 31
	s_wait_alu 0xfffe
	v_or_b32_e32 v3, s41, v17
	s_delay_alu instid0(VALU_DEP_1)
	v_cmpx_ne_u64_e32 0, v[2:3]
	s_xor_b32 s27, exec_lo, s2
	s_cbranch_execz .LBB76_44
; %bb.43:                               ;   in Loop: Header=BB76_22 Depth=2
	s_ashr_i32 s42, s41, 31
	v_ashrrev_i32_e32 v3, 31, v17
	s_wait_alu 0xfffe
	s_mov_b32 s43, s42
	s_wait_alu 0xfffe
	s_add_nc_u64 s[46:47], s[40:41], s[42:43]
	v_add_co_u32 v5, vcc_lo, v16, v3
	s_wait_alu 0xfffe
	s_xor_b64 s[46:47], s[46:47], s[42:43]
	s_wait_alu 0xfffd
	v_add_co_ci_u32_e64 v7, null, v17, v3, vcc_lo
	s_wait_alu 0xfffe
	s_cvt_f32_u32 s2, s46
	s_cvt_f32_u32 s18, s47
	s_sub_nc_u64 s[50:51], 0, s[46:47]
	v_xor_b32_e32 v5, v5, v3
	v_xor_b32_e32 v7, v7, v3
	s_wait_alu 0xfffe
	s_fmamk_f32 s2, s18, 0x4f800000, s2
	v_xor_b32_e32 v3, s42, v3
	s_wait_alu 0xfffe
	s_delay_alu instid0(SALU_CYCLE_1) | instskip(NEXT) | instid1(TRANS32_DEP_1)
	v_s_rcp_f32 s2, s2
	s_mul_f32 s2, s2, 0x5f7ffffc
	s_wait_alu 0xfffe
	s_delay_alu instid0(SALU_CYCLE_2) | instskip(SKIP_1) | instid1(SALU_CYCLE_2)
	s_mul_f32 s18, s2, 0x2f800000
	s_wait_alu 0xfffe
	s_trunc_f32 s18, s18
	s_wait_alu 0xfffe
	s_delay_alu instid0(SALU_CYCLE_2) | instskip(SKIP_2) | instid1(SALU_CYCLE_1)
	s_fmamk_f32 s2, s18, 0xcf800000, s2
	s_cvt_u32_f32 s49, s18
	s_wait_alu 0xfffe
	s_cvt_u32_f32 s48, s2
	s_wait_alu 0xfffe
	s_delay_alu instid0(SALU_CYCLE_2) | instskip(NEXT) | instid1(SALU_CYCLE_1)
	s_mul_u64 s[58:59], s[50:51], s[48:49]
	s_mul_hi_u32 s61, s48, s59
	s_mul_i32 s60, s48, s59
	s_mul_hi_u32 s18, s48, s58
	s_mul_i32 s39, s49, s58
	s_wait_alu 0xfffe
	s_add_nc_u64 s[60:61], s[18:19], s[60:61]
	s_mul_hi_u32 s2, s49, s58
	s_mul_hi_u32 s41, s49, s59
	s_add_co_u32 s18, s60, s39
	s_wait_alu 0xfffe
	s_add_co_ci_u32 s18, s61, s2
	s_mul_i32 s58, s49, s59
	s_add_co_ci_u32 s59, s41, 0
	s_wait_alu 0xfffe
	s_add_nc_u64 s[58:59], s[18:19], s[58:59]
	s_delay_alu instid0(SALU_CYCLE_1)
	s_add_co_u32 s48, s48, s58
	s_cselect_b32 s2, -1, 0
	s_wait_alu 0xfffe
	s_cmp_lg_u32 s2, 0
	s_add_co_ci_u32 s49, s49, s59
	s_wait_alu 0xfffe
	s_mul_u64 s[50:51], s[50:51], s[48:49]
	s_wait_alu 0xfffe
	s_mul_hi_u32 s59, s48, s51
	s_mul_i32 s58, s48, s51
	s_mul_hi_u32 s18, s48, s50
	s_mul_i32 s39, s49, s50
	s_wait_alu 0xfffe
	s_add_nc_u64 s[58:59], s[18:19], s[58:59]
	s_mul_hi_u32 s2, s49, s50
	s_mul_hi_u32 s41, s49, s51
	s_add_co_u32 s18, s58, s39
	s_wait_alu 0xfffe
	s_add_co_ci_u32 s18, s59, s2
	s_mul_i32 s50, s49, s51
	s_add_co_ci_u32 s51, s41, 0
	s_wait_alu 0xfffe
	s_add_nc_u64 s[50:51], s[18:19], s[50:51]
	s_wait_alu 0xfffe
	s_add_co_u32 s2, s48, s50
	s_cselect_b32 s18, -1, 0
	s_wait_alu 0xfffe
	v_mul_hi_u32 v9, v5, s2
	s_cmp_lg_u32 s18, 0
	v_mad_co_u64_u32 v[19:20], null, v7, s2, 0
	s_add_co_ci_u32 s18, s49, s51
	s_wait_alu 0xfffe
	v_mad_co_u64_u32 v[17:18], null, v5, s18, 0
	v_mad_co_u64_u32 v[21:22], null, v7, s18, 0
	s_delay_alu instid0(VALU_DEP_2) | instskip(SKIP_1) | instid1(VALU_DEP_3)
	v_add_co_u32 v9, vcc_lo, v9, v17
	s_wait_alu 0xfffd
	v_add_co_ci_u32_e64 v11, null, 0, v18, vcc_lo
	s_delay_alu instid0(VALU_DEP_2) | instskip(SKIP_1) | instid1(VALU_DEP_2)
	v_add_co_u32 v9, vcc_lo, v9, v19
	s_wait_alu 0xfffd
	v_add_co_ci_u32_e32 v9, vcc_lo, v11, v20, vcc_lo
	s_wait_alu 0xfffd
	v_add_co_ci_u32_e32 v11, vcc_lo, 0, v22, vcc_lo
	s_delay_alu instid0(VALU_DEP_2) | instskip(SKIP_1) | instid1(VALU_DEP_2)
	v_add_co_u32 v9, vcc_lo, v9, v21
	s_wait_alu 0xfffd
	v_add_co_ci_u32_e64 v11, null, 0, v11, vcc_lo
	s_delay_alu instid0(VALU_DEP_2) | instskip(SKIP_1) | instid1(VALU_DEP_3)
	v_mul_lo_u32 v13, s47, v9
	v_mad_co_u64_u32 v[17:18], null, s46, v9, 0
	v_mul_lo_u32 v15, s46, v11
	s_delay_alu instid0(VALU_DEP_2) | instskip(NEXT) | instid1(VALU_DEP_2)
	v_sub_co_u32 v5, vcc_lo, v5, v17
	v_add3_u32 v13, v18, v15, v13
	v_add_co_u32 v17, s2, v9, 2
	s_wait_alu 0xf1ff
	v_add_co_ci_u32_e64 v18, null, 0, v11, s2
	s_delay_alu instid0(VALU_DEP_3) | instskip(SKIP_3) | instid1(VALU_DEP_3)
	v_sub_nc_u32_e32 v15, v7, v13
	v_sub_co_u32 v19, s2, v5, s46
	s_wait_alu 0xfffd
	v_sub_co_ci_u32_e64 v7, null, v7, v13, vcc_lo
	v_subrev_co_ci_u32_e64 v15, null, s47, v15, vcc_lo
	s_delay_alu instid0(VALU_DEP_3) | instskip(SKIP_1) | instid1(VALU_DEP_2)
	v_cmp_le_u32_e32 vcc_lo, s46, v19
	s_wait_alu 0xf1ff
	v_subrev_co_ci_u32_e64 v15, null, 0, v15, s2
	s_wait_alu 0xfffd
	v_cndmask_b32_e64 v13, 0, -1, vcc_lo
	s_delay_alu instid0(VALU_DEP_2)
	v_cmp_le_u32_e32 vcc_lo, s47, v15
	s_wait_alu 0xfffd
	v_cndmask_b32_e64 v19, 0, -1, vcc_lo
	v_cmp_le_u32_e32 vcc_lo, s46, v5
	s_wait_alu 0xfffd
	v_cndmask_b32_e64 v5, 0, -1, vcc_lo
	;; [unrolled: 3-line block ×3, first 2 shown]
	v_cmp_eq_u32_e32 vcc_lo, s47, v15
	s_wait_alu 0xfffd
	v_cndmask_b32_e32 v13, v19, v13, vcc_lo
	v_add_co_u32 v15, vcc_lo, v9, 1
	s_wait_alu 0xfffd
	v_add_co_ci_u32_e64 v19, null, 0, v11, vcc_lo
	v_cmp_eq_u32_e32 vcc_lo, s47, v7
	s_wait_alu 0xfffd
	v_cndmask_b32_e32 v5, v20, v5, vcc_lo
	v_cmp_ne_u32_e32 vcc_lo, 0, v13
	s_delay_alu instid0(VALU_DEP_2) | instskip(SKIP_4) | instid1(VALU_DEP_2)
	v_cmp_ne_u32_e64 s2, 0, v5
	s_wait_alu 0xfffd
	v_cndmask_b32_e32 v5, v15, v17, vcc_lo
	v_cndmask_b32_e32 v7, v19, v18, vcc_lo
	s_wait_alu 0xf1ff
	v_cndmask_b32_e64 v5, v9, v5, s2
	s_delay_alu instid0(VALU_DEP_2) | instskip(NEXT) | instid1(VALU_DEP_2)
	v_cndmask_b32_e64 v7, v11, v7, s2
	v_xor_b32_e32 v5, v5, v3
	s_delay_alu instid0(VALU_DEP_2) | instskip(NEXT) | instid1(VALU_DEP_2)
	v_xor_b32_e32 v7, v7, v3
	v_sub_co_u32 v18, vcc_lo, v5, v3
	s_wait_alu 0xfffd
	s_delay_alu instid0(VALU_DEP_2)
	v_sub_co_ci_u32_e64 v19, null, v7, v3, vcc_lo
.LBB76_44:                              ;   in Loop: Header=BB76_22 Depth=2
	s_wait_alu 0xfffe
	s_and_not1_saveexec_b32 s2, s27
	s_cbranch_execz .LBB76_46
; %bb.45:                               ;   in Loop: Header=BB76_22 Depth=2
	v_cvt_f32_u32_e32 v3, s40
	s_sub_co_i32 s18, 0, s40
	v_mov_b32_e32 v19, v2
	s_delay_alu instid0(VALU_DEP_2) | instskip(NEXT) | instid1(TRANS32_DEP_1)
	v_rcp_iflag_f32_e32 v3, v3
	v_mul_f32_e32 v3, 0x4f7ffffe, v3
	s_delay_alu instid0(VALU_DEP_1) | instskip(SKIP_1) | instid1(VALU_DEP_1)
	v_cvt_u32_f32_e32 v3, v3
	s_wait_alu 0xfffe
	v_mul_lo_u32 v5, s18, v3
	s_delay_alu instid0(VALU_DEP_1) | instskip(NEXT) | instid1(VALU_DEP_1)
	v_mul_hi_u32 v5, v3, v5
	v_add_nc_u32_e32 v3, v3, v5
	s_delay_alu instid0(VALU_DEP_1) | instskip(NEXT) | instid1(VALU_DEP_1)
	v_mul_hi_u32 v3, v16, v3
	v_mul_lo_u32 v5, v3, s40
	v_add_nc_u32_e32 v7, 1, v3
	s_delay_alu instid0(VALU_DEP_2) | instskip(NEXT) | instid1(VALU_DEP_1)
	v_sub_nc_u32_e32 v5, v16, v5
	v_cmp_le_u32_e32 vcc_lo, s40, v5
	v_subrev_nc_u32_e32 v9, s40, v5
	s_wait_alu 0xfffd
	v_cndmask_b32_e32 v3, v3, v7, vcc_lo
	s_delay_alu instid0(VALU_DEP_1) | instskip(NEXT) | instid1(VALU_DEP_3)
	v_add_nc_u32_e32 v7, 1, v3
	v_cndmask_b32_e32 v5, v5, v9, vcc_lo
	s_delay_alu instid0(VALU_DEP_1) | instskip(SKIP_1) | instid1(VALU_DEP_3)
	v_cmp_le_u32_e32 vcc_lo, s40, v5
	s_wait_alu 0xfffd
	v_cndmask_b32_e32 v18, v3, v7, vcc_lo
.LBB76_46:                              ;   in Loop: Header=BB76_22 Depth=2
	s_wait_alu 0xfffe
	s_or_b32 exec_lo, exec_lo, s2
	s_add_co_i32 s18, s26, 1
	s_add_nc_u64 s[44:45], s[0:1], s[44:45]
	s_wait_alu 0xfffe
	s_lshl_b64 s[48:49], s[18:19], 2
                                        ; implicit-def: $vgpr20_vgpr21
	s_mov_b32 s2, exec_lo
	s_wait_alu 0xfffe
	s_add_nc_u64 s[42:43], s[10:11], s[48:49]
	s_clause 0x1
	s_load_b32 s39, s[44:45], 0x6c
	s_load_b32 s42, s[42:43], 0x8
	s_wait_kmcnt 0x0
	s_ashr_i32 s43, s42, 31
	s_wait_alu 0xfffe
	v_or_b32_e32 v3, s43, v19
	s_delay_alu instid0(VALU_DEP_1)
	v_cmpx_ne_u64_e32 0, v[2:3]
	s_xor_b32 s27, exec_lo, s2
	s_cbranch_execz .LBB76_48
; %bb.47:                               ;   in Loop: Header=BB76_22 Depth=2
	s_ashr_i32 s44, s43, 31
	v_ashrrev_i32_e32 v3, 31, v19
	s_wait_alu 0xfffe
	s_mov_b32 s45, s44
	s_wait_alu 0xfffe
	s_add_nc_u64 s[46:47], s[42:43], s[44:45]
	v_add_co_u32 v5, vcc_lo, v18, v3
	s_wait_alu 0xfffe
	s_xor_b64 s[46:47], s[46:47], s[44:45]
	s_wait_alu 0xfffd
	v_add_co_ci_u32_e64 v7, null, v19, v3, vcc_lo
	s_wait_alu 0xfffe
	s_cvt_f32_u32 s2, s46
	s_cvt_f32_u32 s18, s47
	s_sub_nc_u64 s[58:59], 0, s[46:47]
	v_xor_b32_e32 v5, v5, v3
	v_xor_b32_e32 v7, v7, v3
	s_wait_alu 0xfffe
	s_fmamk_f32 s2, s18, 0x4f800000, s2
	v_xor_b32_e32 v3, s44, v3
	s_wait_alu 0xfffe
	s_delay_alu instid0(SALU_CYCLE_1) | instskip(NEXT) | instid1(TRANS32_DEP_1)
	v_s_rcp_f32 s2, s2
	s_mul_f32 s2, s2, 0x5f7ffffc
	s_wait_alu 0xfffe
	s_delay_alu instid0(SALU_CYCLE_2) | instskip(SKIP_1) | instid1(SALU_CYCLE_2)
	s_mul_f32 s18, s2, 0x2f800000
	s_wait_alu 0xfffe
	s_trunc_f32 s18, s18
	s_wait_alu 0xfffe
	s_delay_alu instid0(SALU_CYCLE_2) | instskip(SKIP_2) | instid1(SALU_CYCLE_1)
	s_fmamk_f32 s2, s18, 0xcf800000, s2
	s_cvt_u32_f32 s51, s18
	s_wait_alu 0xfffe
	s_cvt_u32_f32 s50, s2
	s_wait_alu 0xfffe
	s_delay_alu instid0(SALU_CYCLE_2) | instskip(NEXT) | instid1(SALU_CYCLE_1)
	s_mul_u64 s[60:61], s[58:59], s[50:51]
	s_mul_hi_u32 s63, s50, s61
	s_mul_i32 s62, s50, s61
	s_mul_hi_u32 s18, s50, s60
	s_mul_i32 s41, s51, s60
	s_wait_alu 0xfffe
	s_add_nc_u64 s[62:63], s[18:19], s[62:63]
	s_mul_hi_u32 s2, s51, s60
	s_mul_hi_u32 s43, s51, s61
	s_add_co_u32 s18, s62, s41
	s_wait_alu 0xfffe
	s_add_co_ci_u32 s18, s63, s2
	s_mul_i32 s60, s51, s61
	s_add_co_ci_u32 s61, s43, 0
	s_wait_alu 0xfffe
	s_add_nc_u64 s[60:61], s[18:19], s[60:61]
	s_delay_alu instid0(SALU_CYCLE_1)
	s_add_co_u32 s50, s50, s60
	s_cselect_b32 s2, -1, 0
	s_wait_alu 0xfffe
	s_cmp_lg_u32 s2, 0
	s_add_co_ci_u32 s51, s51, s61
	s_wait_alu 0xfffe
	s_mul_u64 s[58:59], s[58:59], s[50:51]
	s_delay_alu instid0(SALU_CYCLE_1)
	s_mul_hi_u32 s61, s50, s59
	s_mul_i32 s60, s50, s59
	s_mul_hi_u32 s18, s50, s58
	s_mul_i32 s41, s51, s58
	s_wait_alu 0xfffe
	s_add_nc_u64 s[60:61], s[18:19], s[60:61]
	s_mul_hi_u32 s2, s51, s58
	s_mul_hi_u32 s43, s51, s59
	s_add_co_u32 s18, s60, s41
	s_wait_alu 0xfffe
	s_add_co_ci_u32 s18, s61, s2
	s_mul_i32 s58, s51, s59
	s_add_co_ci_u32 s59, s43, 0
	s_wait_alu 0xfffe
	s_add_nc_u64 s[58:59], s[18:19], s[58:59]
	s_delay_alu instid0(SALU_CYCLE_1)
	s_add_co_u32 s2, s50, s58
	s_cselect_b32 s18, -1, 0
	s_wait_alu 0xfffe
	v_mul_hi_u32 v9, v5, s2
	s_cmp_lg_u32 s18, 0
	v_mad_co_u64_u32 v[21:22], null, v7, s2, 0
	s_add_co_ci_u32 s18, s51, s59
	s_wait_alu 0xfffe
	v_mad_co_u64_u32 v[19:20], null, v5, s18, 0
	v_mad_co_u64_u32 v[28:29], null, v7, s18, 0
	s_delay_alu instid0(VALU_DEP_2) | instskip(SKIP_1) | instid1(VALU_DEP_3)
	v_add_co_u32 v9, vcc_lo, v9, v19
	s_wait_alu 0xfffd
	v_add_co_ci_u32_e64 v11, null, 0, v20, vcc_lo
	s_delay_alu instid0(VALU_DEP_2) | instskip(SKIP_1) | instid1(VALU_DEP_2)
	v_add_co_u32 v9, vcc_lo, v9, v21
	s_wait_alu 0xfffd
	v_add_co_ci_u32_e32 v9, vcc_lo, v11, v22, vcc_lo
	s_wait_alu 0xfffd
	v_add_co_ci_u32_e32 v11, vcc_lo, 0, v29, vcc_lo
	s_delay_alu instid0(VALU_DEP_2) | instskip(SKIP_1) | instid1(VALU_DEP_2)
	v_add_co_u32 v9, vcc_lo, v9, v28
	s_wait_alu 0xfffd
	v_add_co_ci_u32_e64 v11, null, 0, v11, vcc_lo
	s_delay_alu instid0(VALU_DEP_2) | instskip(SKIP_1) | instid1(VALU_DEP_3)
	v_mul_lo_u32 v13, s47, v9
	v_mad_co_u64_u32 v[19:20], null, s46, v9, 0
	v_mul_lo_u32 v15, s46, v11
	v_add_co_u32 v17, s2, v9, 2
	s_delay_alu instid0(VALU_DEP_3) | instskip(NEXT) | instid1(VALU_DEP_3)
	v_sub_co_u32 v5, vcc_lo, v5, v19
	v_add3_u32 v13, v20, v15, v13
	s_wait_alu 0xf1ff
	v_add_co_ci_u32_e64 v19, null, 0, v11, s2
	s_delay_alu instid0(VALU_DEP_3) | instskip(NEXT) | instid1(VALU_DEP_3)
	v_sub_co_u32 v20, s2, v5, s46
	v_sub_nc_u32_e32 v15, v7, v13
	s_wait_alu 0xfffd
	v_sub_co_ci_u32_e64 v7, null, v7, v13, vcc_lo
	s_delay_alu instid0(VALU_DEP_2) | instskip(SKIP_2) | instid1(VALU_DEP_2)
	v_subrev_co_ci_u32_e64 v15, null, s47, v15, vcc_lo
	v_cmp_le_u32_e32 vcc_lo, s46, v20
	s_wait_alu 0xf1ff
	v_subrev_co_ci_u32_e64 v15, null, 0, v15, s2
	s_wait_alu 0xfffd
	v_cndmask_b32_e64 v13, 0, -1, vcc_lo
	s_delay_alu instid0(VALU_DEP_2)
	v_cmp_le_u32_e32 vcc_lo, s47, v15
	s_wait_alu 0xfffd
	v_cndmask_b32_e64 v20, 0, -1, vcc_lo
	v_cmp_le_u32_e32 vcc_lo, s46, v5
	s_wait_alu 0xfffd
	v_cndmask_b32_e64 v5, 0, -1, vcc_lo
	;; [unrolled: 3-line block ×3, first 2 shown]
	v_cmp_eq_u32_e32 vcc_lo, s47, v15
	s_wait_alu 0xfffd
	v_cndmask_b32_e32 v13, v20, v13, vcc_lo
	v_add_co_u32 v15, vcc_lo, v9, 1
	s_wait_alu 0xfffd
	v_add_co_ci_u32_e64 v20, null, 0, v11, vcc_lo
	v_cmp_eq_u32_e32 vcc_lo, s47, v7
	s_wait_alu 0xfffd
	v_cndmask_b32_e32 v5, v21, v5, vcc_lo
	v_cmp_ne_u32_e32 vcc_lo, 0, v13
	s_delay_alu instid0(VALU_DEP_2) | instskip(SKIP_4) | instid1(VALU_DEP_2)
	v_cmp_ne_u32_e64 s2, 0, v5
	s_wait_alu 0xfffd
	v_cndmask_b32_e32 v5, v15, v17, vcc_lo
	v_cndmask_b32_e32 v7, v20, v19, vcc_lo
	s_wait_alu 0xf1ff
	v_cndmask_b32_e64 v5, v9, v5, s2
	s_delay_alu instid0(VALU_DEP_2) | instskip(NEXT) | instid1(VALU_DEP_2)
	v_cndmask_b32_e64 v7, v11, v7, s2
	v_xor_b32_e32 v5, v5, v3
	s_delay_alu instid0(VALU_DEP_2) | instskip(NEXT) | instid1(VALU_DEP_2)
	v_xor_b32_e32 v7, v7, v3
	v_sub_co_u32 v20, vcc_lo, v5, v3
	s_wait_alu 0xfffd
	s_delay_alu instid0(VALU_DEP_2)
	v_sub_co_ci_u32_e64 v21, null, v7, v3, vcc_lo
.LBB76_48:                              ;   in Loop: Header=BB76_22 Depth=2
	s_wait_alu 0xfffe
	s_and_not1_saveexec_b32 s2, s27
	s_cbranch_execz .LBB76_50
; %bb.49:                               ;   in Loop: Header=BB76_22 Depth=2
	v_cvt_f32_u32_e32 v3, s42
	s_sub_co_i32 s18, 0, s42
	v_mov_b32_e32 v21, v2
	s_delay_alu instid0(VALU_DEP_2) | instskip(NEXT) | instid1(TRANS32_DEP_1)
	v_rcp_iflag_f32_e32 v3, v3
	v_mul_f32_e32 v3, 0x4f7ffffe, v3
	s_delay_alu instid0(VALU_DEP_1) | instskip(SKIP_1) | instid1(VALU_DEP_1)
	v_cvt_u32_f32_e32 v3, v3
	s_wait_alu 0xfffe
	v_mul_lo_u32 v5, s18, v3
	s_delay_alu instid0(VALU_DEP_1) | instskip(NEXT) | instid1(VALU_DEP_1)
	v_mul_hi_u32 v5, v3, v5
	v_add_nc_u32_e32 v3, v3, v5
	s_delay_alu instid0(VALU_DEP_1) | instskip(NEXT) | instid1(VALU_DEP_1)
	v_mul_hi_u32 v3, v18, v3
	v_mul_lo_u32 v5, v3, s42
	v_add_nc_u32_e32 v7, 1, v3
	s_delay_alu instid0(VALU_DEP_2) | instskip(NEXT) | instid1(VALU_DEP_1)
	v_sub_nc_u32_e32 v5, v18, v5
	v_cmp_le_u32_e32 vcc_lo, s42, v5
	v_subrev_nc_u32_e32 v9, s42, v5
	s_wait_alu 0xfffd
	v_cndmask_b32_e32 v3, v3, v7, vcc_lo
	s_delay_alu instid0(VALU_DEP_1) | instskip(NEXT) | instid1(VALU_DEP_3)
	v_add_nc_u32_e32 v7, 1, v3
	v_cndmask_b32_e32 v5, v5, v9, vcc_lo
	s_delay_alu instid0(VALU_DEP_1) | instskip(SKIP_1) | instid1(VALU_DEP_3)
	v_cmp_le_u32_e32 vcc_lo, s42, v5
	s_wait_alu 0xfffd
	v_cndmask_b32_e32 v20, v3, v7, vcc_lo
.LBB76_50:                              ;   in Loop: Header=BB76_22 Depth=2
	s_wait_alu 0xfffe
	s_or_b32 exec_lo, exec_lo, s2
	s_mov_b32 s27, s19
	s_add_nc_u64 s[48:49], s[0:1], s[48:49]
	s_wait_alu 0xfffe
	s_lshl_b64 s[46:47], s[26:27], 2
                                        ; implicit-def: $vgpr22_vgpr23
	s_mov_b32 s2, exec_lo
	s_wait_alu 0xfffe
	s_add_nc_u64 s[44:45], s[10:11], s[46:47]
	s_clause 0x1
	s_load_b32 s27, s[48:49], 0x6c
	s_load_b32 s44, s[44:45], 0x8
	s_wait_kmcnt 0x0
	s_ashr_i32 s45, s44, 31
	s_wait_alu 0xfffe
	v_or_b32_e32 v3, s45, v21
	s_delay_alu instid0(VALU_DEP_1)
	v_cmpx_ne_u64_e32 0, v[2:3]
	s_xor_b32 s41, exec_lo, s2
	s_cbranch_execz .LBB76_52
; %bb.51:                               ;   in Loop: Header=BB76_22 Depth=2
	s_ashr_i32 s48, s45, 31
	v_ashrrev_i32_e32 v3, 31, v21
	s_wait_alu 0xfffe
	s_mov_b32 s49, s48
	s_wait_alu 0xfffe
	s_add_nc_u64 s[50:51], s[44:45], s[48:49]
	v_add_co_u32 v5, vcc_lo, v20, v3
	s_wait_alu 0xfffe
	s_xor_b64 s[50:51], s[50:51], s[48:49]
	s_wait_alu 0xfffd
	v_add_co_ci_u32_e64 v7, null, v21, v3, vcc_lo
	s_wait_alu 0xfffe
	s_cvt_f32_u32 s2, s50
	s_cvt_f32_u32 s18, s51
	s_sub_nc_u64 s[60:61], 0, s[50:51]
	v_xor_b32_e32 v5, v5, v3
	v_xor_b32_e32 v7, v7, v3
	s_wait_alu 0xfffe
	s_fmamk_f32 s2, s18, 0x4f800000, s2
	v_xor_b32_e32 v3, s48, v3
	s_wait_alu 0xfffe
	s_delay_alu instid0(SALU_CYCLE_1) | instskip(NEXT) | instid1(TRANS32_DEP_1)
	v_s_rcp_f32 s2, s2
	s_mul_f32 s2, s2, 0x5f7ffffc
	s_wait_alu 0xfffe
	s_delay_alu instid0(SALU_CYCLE_2) | instskip(SKIP_1) | instid1(SALU_CYCLE_2)
	s_mul_f32 s18, s2, 0x2f800000
	s_wait_alu 0xfffe
	s_trunc_f32 s18, s18
	s_wait_alu 0xfffe
	s_delay_alu instid0(SALU_CYCLE_2) | instskip(SKIP_2) | instid1(SALU_CYCLE_1)
	s_fmamk_f32 s2, s18, 0xcf800000, s2
	s_cvt_u32_f32 s59, s18
	s_wait_alu 0xfffe
	s_cvt_u32_f32 s58, s2
	s_delay_alu instid0(SALU_CYCLE_3) | instskip(NEXT) | instid1(SALU_CYCLE_1)
	s_mul_u64 s[62:63], s[60:61], s[58:59]
	s_mul_hi_u32 s65, s58, s63
	s_mul_i32 s64, s58, s63
	s_mul_hi_u32 s18, s58, s62
	s_mul_i32 s43, s59, s62
	s_wait_alu 0xfffe
	s_add_nc_u64 s[64:65], s[18:19], s[64:65]
	s_mul_hi_u32 s2, s59, s62
	s_mul_hi_u32 s45, s59, s63
	s_add_co_u32 s18, s64, s43
	s_wait_alu 0xfffe
	s_add_co_ci_u32 s18, s65, s2
	s_mul_i32 s62, s59, s63
	s_add_co_ci_u32 s63, s45, 0
	s_wait_alu 0xfffe
	s_add_nc_u64 s[62:63], s[18:19], s[62:63]
	s_delay_alu instid0(SALU_CYCLE_1) | instskip(SKIP_4) | instid1(SALU_CYCLE_1)
	s_add_co_u32 s58, s58, s62
	s_cselect_b32 s2, -1, 0
	s_wait_alu 0xfffe
	s_cmp_lg_u32 s2, 0
	s_add_co_ci_u32 s59, s59, s63
	s_mul_u64 s[60:61], s[60:61], s[58:59]
	s_delay_alu instid0(SALU_CYCLE_1)
	s_mul_hi_u32 s63, s58, s61
	s_mul_i32 s62, s58, s61
	s_mul_hi_u32 s18, s58, s60
	s_mul_i32 s43, s59, s60
	s_wait_alu 0xfffe
	s_add_nc_u64 s[62:63], s[18:19], s[62:63]
	s_mul_hi_u32 s2, s59, s60
	s_mul_hi_u32 s45, s59, s61
	s_add_co_u32 s18, s62, s43
	s_wait_alu 0xfffe
	s_add_co_ci_u32 s18, s63, s2
	s_mul_i32 s60, s59, s61
	s_add_co_ci_u32 s61, s45, 0
	s_wait_alu 0xfffe
	s_add_nc_u64 s[60:61], s[18:19], s[60:61]
	s_delay_alu instid0(SALU_CYCLE_1)
	s_add_co_u32 s2, s58, s60
	s_cselect_b32 s18, -1, 0
	s_wait_alu 0xfffe
	v_mul_hi_u32 v9, v5, s2
	s_cmp_lg_u32 s18, 0
	v_mad_co_u64_u32 v[28:29], null, v7, s2, 0
	s_add_co_ci_u32 s18, s59, s61
	s_wait_alu 0xfffe
	v_mad_co_u64_u32 v[21:22], null, v5, s18, 0
	v_mad_co_u64_u32 v[30:31], null, v7, s18, 0
	s_delay_alu instid0(VALU_DEP_2) | instskip(SKIP_1) | instid1(VALU_DEP_3)
	v_add_co_u32 v9, vcc_lo, v9, v21
	s_wait_alu 0xfffd
	v_add_co_ci_u32_e64 v11, null, 0, v22, vcc_lo
	s_delay_alu instid0(VALU_DEP_2) | instskip(SKIP_1) | instid1(VALU_DEP_2)
	v_add_co_u32 v9, vcc_lo, v9, v28
	s_wait_alu 0xfffd
	v_add_co_ci_u32_e32 v9, vcc_lo, v11, v29, vcc_lo
	s_wait_alu 0xfffd
	v_add_co_ci_u32_e32 v11, vcc_lo, 0, v31, vcc_lo
	s_delay_alu instid0(VALU_DEP_2) | instskip(SKIP_1) | instid1(VALU_DEP_2)
	v_add_co_u32 v9, vcc_lo, v9, v30
	s_wait_alu 0xfffd
	v_add_co_ci_u32_e64 v11, null, 0, v11, vcc_lo
	s_delay_alu instid0(VALU_DEP_2) | instskip(SKIP_1) | instid1(VALU_DEP_3)
	v_mul_lo_u32 v13, s51, v9
	v_mad_co_u64_u32 v[21:22], null, s50, v9, 0
	v_mul_lo_u32 v15, s50, v11
	v_add_co_u32 v17, s2, v9, 2
	s_wait_alu 0xf1ff
	v_add_co_ci_u32_e64 v19, null, 0, v11, s2
	s_delay_alu instid0(VALU_DEP_4) | instskip(NEXT) | instid1(VALU_DEP_4)
	v_sub_co_u32 v5, vcc_lo, v5, v21
	v_add3_u32 v13, v22, v15, v13
	s_delay_alu instid0(VALU_DEP_2) | instskip(NEXT) | instid1(VALU_DEP_2)
	v_sub_co_u32 v21, s2, v5, s50
	v_sub_nc_u32_e32 v15, v7, v13
	s_wait_alu 0xfffd
	v_sub_co_ci_u32_e64 v7, null, v7, v13, vcc_lo
	s_delay_alu instid0(VALU_DEP_2) | instskip(SKIP_2) | instid1(VALU_DEP_2)
	v_subrev_co_ci_u32_e64 v15, null, s51, v15, vcc_lo
	v_cmp_le_u32_e32 vcc_lo, s50, v21
	s_wait_alu 0xf1ff
	v_subrev_co_ci_u32_e64 v15, null, 0, v15, s2
	s_wait_alu 0xfffd
	v_cndmask_b32_e64 v13, 0, -1, vcc_lo
	s_delay_alu instid0(VALU_DEP_2)
	v_cmp_le_u32_e32 vcc_lo, s51, v15
	s_wait_alu 0xfffd
	v_cndmask_b32_e64 v21, 0, -1, vcc_lo
	v_cmp_le_u32_e32 vcc_lo, s50, v5
	s_wait_alu 0xfffd
	v_cndmask_b32_e64 v5, 0, -1, vcc_lo
	;; [unrolled: 3-line block ×3, first 2 shown]
	v_cmp_eq_u32_e32 vcc_lo, s51, v15
	s_wait_alu 0xfffd
	v_cndmask_b32_e32 v13, v21, v13, vcc_lo
	v_add_co_u32 v15, vcc_lo, v9, 1
	s_wait_alu 0xfffd
	v_add_co_ci_u32_e64 v21, null, 0, v11, vcc_lo
	v_cmp_eq_u32_e32 vcc_lo, s51, v7
	s_wait_alu 0xfffd
	v_cndmask_b32_e32 v5, v22, v5, vcc_lo
	v_cmp_ne_u32_e32 vcc_lo, 0, v13
	s_delay_alu instid0(VALU_DEP_2) | instskip(SKIP_4) | instid1(VALU_DEP_2)
	v_cmp_ne_u32_e64 s2, 0, v5
	s_wait_alu 0xfffd
	v_cndmask_b32_e32 v5, v15, v17, vcc_lo
	v_cndmask_b32_e32 v7, v21, v19, vcc_lo
	s_wait_alu 0xf1ff
	v_cndmask_b32_e64 v5, v9, v5, s2
	s_delay_alu instid0(VALU_DEP_2) | instskip(NEXT) | instid1(VALU_DEP_2)
	v_cndmask_b32_e64 v7, v11, v7, s2
	v_xor_b32_e32 v5, v5, v3
	s_delay_alu instid0(VALU_DEP_2) | instskip(NEXT) | instid1(VALU_DEP_2)
	v_xor_b32_e32 v7, v7, v3
	v_sub_co_u32 v22, vcc_lo, v5, v3
	s_wait_alu 0xfffd
	s_delay_alu instid0(VALU_DEP_2)
	v_sub_co_ci_u32_e64 v23, null, v7, v3, vcc_lo
.LBB76_52:                              ;   in Loop: Header=BB76_22 Depth=2
	s_wait_alu 0xfffe
	s_and_not1_saveexec_b32 s2, s41
	s_cbranch_execz .LBB76_54
; %bb.53:                               ;   in Loop: Header=BB76_22 Depth=2
	v_cvt_f32_u32_e32 v3, s44
	s_sub_co_i32 s18, 0, s44
	v_mov_b32_e32 v23, v2
	s_delay_alu instid0(VALU_DEP_2) | instskip(NEXT) | instid1(TRANS32_DEP_1)
	v_rcp_iflag_f32_e32 v3, v3
	v_mul_f32_e32 v3, 0x4f7ffffe, v3
	s_delay_alu instid0(VALU_DEP_1) | instskip(SKIP_1) | instid1(VALU_DEP_1)
	v_cvt_u32_f32_e32 v3, v3
	s_wait_alu 0xfffe
	v_mul_lo_u32 v5, s18, v3
	s_delay_alu instid0(VALU_DEP_1) | instskip(NEXT) | instid1(VALU_DEP_1)
	v_mul_hi_u32 v5, v3, v5
	v_add_nc_u32_e32 v3, v3, v5
	s_delay_alu instid0(VALU_DEP_1) | instskip(NEXT) | instid1(VALU_DEP_1)
	v_mul_hi_u32 v3, v20, v3
	v_mul_lo_u32 v5, v3, s44
	v_add_nc_u32_e32 v7, 1, v3
	s_delay_alu instid0(VALU_DEP_2) | instskip(NEXT) | instid1(VALU_DEP_1)
	v_sub_nc_u32_e32 v5, v20, v5
	v_cmp_le_u32_e32 vcc_lo, s44, v5
	v_subrev_nc_u32_e32 v9, s44, v5
	s_wait_alu 0xfffd
	v_cndmask_b32_e32 v3, v3, v7, vcc_lo
	s_delay_alu instid0(VALU_DEP_1) | instskip(NEXT) | instid1(VALU_DEP_3)
	v_add_nc_u32_e32 v7, 1, v3
	v_cndmask_b32_e32 v5, v5, v9, vcc_lo
	s_delay_alu instid0(VALU_DEP_1) | instskip(SKIP_1) | instid1(VALU_DEP_3)
	v_cmp_le_u32_e32 vcc_lo, s44, v5
	s_wait_alu 0xfffd
	v_cndmask_b32_e32 v22, v3, v7, vcc_lo
.LBB76_54:                              ;   in Loop: Header=BB76_22 Depth=2
	s_wait_alu 0xfffe
	s_or_b32 exec_lo, exec_lo, s2
	v_mul_lo_u32 v3, v8, s28
	v_mul_lo_u32 v5, v10, s30
	;; [unrolled: 1-line block ×5, first 2 shown]
	s_add_nc_u64 s[40:41], s[0:1], s[46:47]
	v_mul_lo_u32 v11, v16, s38
	s_load_b32 s2, s[40:41], 0x6c
	v_sub_nc_u32_e32 v3, v6, v3
	v_sub_nc_u32_e32 v5, v8, v5
	;; [unrolled: 1-line block ×4, first 2 shown]
	v_mul_lo_u32 v8, v20, s42
	v_mul_lo_u32 v3, s25, v3
	;; [unrolled: 1-line block ×4, first 2 shown]
	v_sub_nc_u32_e32 v10, v14, v11
	v_sub_nc_u32_e32 v11, v16, v13
	v_mul_lo_u32 v6, s31, v6
	v_mul_lo_u32 v7, s35, v7
	s_add_co_i32 s26, s26, -8
	v_mul_lo_u32 v10, s37, v10
	v_add3_u32 v3, v3, v4, v5
	v_sub_nc_u32_e32 v4, v18, v8
	v_sub_nc_u32_e32 v5, v20, v9
	v_mul_lo_u32 v8, s39, v11
	s_wait_alu 0xfffe
	s_cmp_eq_u32 s26, -8
	v_add3_u32 v3, v6, v3, v7
	v_mul_lo_u32 v4, s27, v4
	s_wait_kmcnt 0x0
	v_mul_lo_u32 v5, s2, v5
	s_delay_alu instid0(VALU_DEP_3) | instskip(NEXT) | instid1(VALU_DEP_1)
	v_add3_u32 v3, v10, v3, v8
	v_add3_u32 v4, v4, v3, v5
	s_cbranch_scc1 .LBB76_56
; %bb.55:                               ;   in Loop: Header=BB76_22 Depth=2
	v_dual_mov_b32 v6, v22 :: v_dual_mov_b32 v7, v23
	s_branch .LBB76_22
.LBB76_56:                              ;   in Loop: Header=BB76_3 Depth=1
	s_load_b32 s2, s[12:13], 0x4
	s_wait_kmcnt 0x0
	v_cmp_gt_i32_e32 vcc_lo, s2, v27
	s_and_b32 exec_lo, exec_lo, vcc_lo
	s_cbranch_execz .LBB76_2
; %bb.57:                               ;   in Loop: Header=BB76_3 Depth=1
	v_ashrrev_i32_e32 v5, 31, v4
	v_add_nc_u32_e32 v3, 1, v27
	s_delay_alu instid0(VALU_DEP_2) | instskip(NEXT) | instid1(VALU_DEP_1)
	v_lshlrev_b64_e32 v[5:6], 2, v[4:5]
	v_add_co_u32 v5, vcc_lo, s16, v5
	s_wait_alu 0xfffd
	s_delay_alu instid0(VALU_DEP_2)
	v_add_co_ci_u32_e64 v6, null, s17, v6, vcc_lo
	v_cmp_gt_i32_e32 vcc_lo, s2, v3
	global_store_b32 v[5:6], v2, off
	s_and_b32 exec_lo, exec_lo, vcc_lo
	s_cbranch_execz .LBB76_2
; %bb.58:                               ;   in Loop: Header=BB76_3 Depth=1
	v_sub_nc_u32_e32 v5, v3, v26
	s_delay_alu instid0(VALU_DEP_1) | instskip(NEXT) | instid1(VALU_DEP_1)
	v_ashrrev_i32_e32 v6, 31, v5
	v_cmp_gt_i64_e32 vcc_lo, s[4:5], v[5:6]
	s_and_b32 exec_lo, exec_lo, vcc_lo
	s_cbranch_execz .LBB76_2
; %bb.59:                               ;   in Loop: Header=BB76_3 Depth=1
	v_add_nc_u32_e32 v3, s3, v4
	s_delay_alu instid0(VALU_DEP_1) | instskip(NEXT) | instid1(VALU_DEP_1)
	v_ashrrev_i32_e32 v4, 31, v3
	v_lshlrev_b64_e32 v[3:4], 2, v[3:4]
	s_delay_alu instid0(VALU_DEP_1) | instskip(SKIP_1) | instid1(VALU_DEP_2)
	v_add_co_u32 v3, vcc_lo, s16, v3
	s_wait_alu 0xfffd
	v_add_co_ci_u32_e64 v4, null, s17, v4, vcc_lo
	global_store_b32 v[3:4], v2, off
	s_branch .LBB76_2
.LBB76_60:
	s_endpgm
	.section	.rodata,"a",@progbits
	.p2align	6, 0x0
	.amdhsa_kernel _ZN2at6native16triu_tril_kernelIfiLb1ELi2ELb1EEEvNS_4cuda6detail10TensorInfoIT_T0_EENS4_IKS5_S6_EEllS6_
		.amdhsa_group_segment_fixed_size 0
		.amdhsa_private_segment_fixed_size 0
		.amdhsa_kernarg_size 712
		.amdhsa_user_sgpr_count 2
		.amdhsa_user_sgpr_dispatch_ptr 0
		.amdhsa_user_sgpr_queue_ptr 0
		.amdhsa_user_sgpr_kernarg_segment_ptr 1
		.amdhsa_user_sgpr_dispatch_id 0
		.amdhsa_user_sgpr_private_segment_size 0
		.amdhsa_wavefront_size32 1
		.amdhsa_uses_dynamic_stack 0
		.amdhsa_enable_private_segment 0
		.amdhsa_system_sgpr_workgroup_id_x 1
		.amdhsa_system_sgpr_workgroup_id_y 0
		.amdhsa_system_sgpr_workgroup_id_z 0
		.amdhsa_system_sgpr_workgroup_info 0
		.amdhsa_system_vgpr_workitem_id 0
		.amdhsa_next_free_vgpr 32
		.amdhsa_next_free_sgpr 66
		.amdhsa_reserve_vcc 1
		.amdhsa_float_round_mode_32 0
		.amdhsa_float_round_mode_16_64 0
		.amdhsa_float_denorm_mode_32 3
		.amdhsa_float_denorm_mode_16_64 3
		.amdhsa_fp16_overflow 0
		.amdhsa_workgroup_processor_mode 1
		.amdhsa_memory_ordered 1
		.amdhsa_forward_progress 1
		.amdhsa_inst_pref_size 95
		.amdhsa_round_robin_scheduling 0
		.amdhsa_exception_fp_ieee_invalid_op 0
		.amdhsa_exception_fp_denorm_src 0
		.amdhsa_exception_fp_ieee_div_zero 0
		.amdhsa_exception_fp_ieee_overflow 0
		.amdhsa_exception_fp_ieee_underflow 0
		.amdhsa_exception_fp_ieee_inexact 0
		.amdhsa_exception_int_div_zero 0
	.end_amdhsa_kernel
	.section	.text._ZN2at6native16triu_tril_kernelIfiLb1ELi2ELb1EEEvNS_4cuda6detail10TensorInfoIT_T0_EENS4_IKS5_S6_EEllS6_,"axG",@progbits,_ZN2at6native16triu_tril_kernelIfiLb1ELi2ELb1EEEvNS_4cuda6detail10TensorInfoIT_T0_EENS4_IKS5_S6_EEllS6_,comdat
.Lfunc_end76:
	.size	_ZN2at6native16triu_tril_kernelIfiLb1ELi2ELb1EEEvNS_4cuda6detail10TensorInfoIT_T0_EENS4_IKS5_S6_EEllS6_, .Lfunc_end76-_ZN2at6native16triu_tril_kernelIfiLb1ELi2ELb1EEEvNS_4cuda6detail10TensorInfoIT_T0_EENS4_IKS5_S6_EEllS6_
                                        ; -- End function
	.set _ZN2at6native16triu_tril_kernelIfiLb1ELi2ELb1EEEvNS_4cuda6detail10TensorInfoIT_T0_EENS4_IKS5_S6_EEllS6_.num_vgpr, 32
	.set _ZN2at6native16triu_tril_kernelIfiLb1ELi2ELb1EEEvNS_4cuda6detail10TensorInfoIT_T0_EENS4_IKS5_S6_EEllS6_.num_agpr, 0
	.set _ZN2at6native16triu_tril_kernelIfiLb1ELi2ELb1EEEvNS_4cuda6detail10TensorInfoIT_T0_EENS4_IKS5_S6_EEllS6_.numbered_sgpr, 66
	.set _ZN2at6native16triu_tril_kernelIfiLb1ELi2ELb1EEEvNS_4cuda6detail10TensorInfoIT_T0_EENS4_IKS5_S6_EEllS6_.num_named_barrier, 0
	.set _ZN2at6native16triu_tril_kernelIfiLb1ELi2ELb1EEEvNS_4cuda6detail10TensorInfoIT_T0_EENS4_IKS5_S6_EEllS6_.private_seg_size, 0
	.set _ZN2at6native16triu_tril_kernelIfiLb1ELi2ELb1EEEvNS_4cuda6detail10TensorInfoIT_T0_EENS4_IKS5_S6_EEllS6_.uses_vcc, 1
	.set _ZN2at6native16triu_tril_kernelIfiLb1ELi2ELb1EEEvNS_4cuda6detail10TensorInfoIT_T0_EENS4_IKS5_S6_EEllS6_.uses_flat_scratch, 0
	.set _ZN2at6native16triu_tril_kernelIfiLb1ELi2ELb1EEEvNS_4cuda6detail10TensorInfoIT_T0_EENS4_IKS5_S6_EEllS6_.has_dyn_sized_stack, 0
	.set _ZN2at6native16triu_tril_kernelIfiLb1ELi2ELb1EEEvNS_4cuda6detail10TensorInfoIT_T0_EENS4_IKS5_S6_EEllS6_.has_recursion, 0
	.set _ZN2at6native16triu_tril_kernelIfiLb1ELi2ELb1EEEvNS_4cuda6detail10TensorInfoIT_T0_EENS4_IKS5_S6_EEllS6_.has_indirect_call, 0
	.section	.AMDGPU.csdata,"",@progbits
; Kernel info:
; codeLenInByte = 12148
; TotalNumSgprs: 68
; NumVgprs: 32
; ScratchSize: 0
; MemoryBound: 0
; FloatMode: 240
; IeeeMode: 1
; LDSByteSize: 0 bytes/workgroup (compile time only)
; SGPRBlocks: 0
; VGPRBlocks: 3
; NumSGPRsForWavesPerEU: 68
; NumVGPRsForWavesPerEU: 32
; Occupancy: 16
; WaveLimiterHint : 0
; COMPUTE_PGM_RSRC2:SCRATCH_EN: 0
; COMPUTE_PGM_RSRC2:USER_SGPR: 2
; COMPUTE_PGM_RSRC2:TRAP_HANDLER: 0
; COMPUTE_PGM_RSRC2:TGID_X_EN: 1
; COMPUTE_PGM_RSRC2:TGID_Y_EN: 0
; COMPUTE_PGM_RSRC2:TGID_Z_EN: 0
; COMPUTE_PGM_RSRC2:TIDIG_COMP_CNT: 0
	.section	.text._ZN2at6native16triu_tril_kernelIfiLb1ELi2ELb0EEEvNS_4cuda6detail10TensorInfoIT_T0_EENS4_IKS5_S6_EEllS6_,"axG",@progbits,_ZN2at6native16triu_tril_kernelIfiLb1ELi2ELb0EEEvNS_4cuda6detail10TensorInfoIT_T0_EENS4_IKS5_S6_EEllS6_,comdat
	.protected	_ZN2at6native16triu_tril_kernelIfiLb1ELi2ELb0EEEvNS_4cuda6detail10TensorInfoIT_T0_EENS4_IKS5_S6_EEllS6_ ; -- Begin function _ZN2at6native16triu_tril_kernelIfiLb1ELi2ELb0EEEvNS_4cuda6detail10TensorInfoIT_T0_EENS4_IKS5_S6_EEllS6_
	.globl	_ZN2at6native16triu_tril_kernelIfiLb1ELi2ELb0EEEvNS_4cuda6detail10TensorInfoIT_T0_EENS4_IKS5_S6_EEllS6_
	.p2align	8
	.type	_ZN2at6native16triu_tril_kernelIfiLb1ELi2ELb0EEEvNS_4cuda6detail10TensorInfoIT_T0_EENS4_IKS5_S6_EEllS6_,@function
_ZN2at6native16triu_tril_kernelIfiLb1ELi2ELb0EEEvNS_4cuda6detail10TensorInfoIT_T0_EENS4_IKS5_S6_EEllS6_: ; @_ZN2at6native16triu_tril_kernelIfiLb1ELi2ELb0EEEvNS_4cuda6detail10TensorInfoIT_T0_EENS4_IKS5_S6_EEllS6_
; %bb.0:
	s_clause 0x1
	s_load_b32 s2, s[0:1], 0x1d4
	s_load_b128 s[4:7], s[0:1], 0x1b0
	v_mov_b32_e32 v2, 0
	s_delay_alu instid0(VALU_DEP_1) | instskip(SKIP_3) | instid1(VALU_DEP_1)
	v_mov_b32_e32 v1, v2
	s_wait_kmcnt 0x0
	s_and_b32 s21, s2, 0xffff
	s_mov_b32 s2, exec_lo
	v_mad_co_u64_u32 v[0:1], null, s21, ttmp9, v[0:1]
	s_delay_alu instid0(VALU_DEP_1) | instskip(NEXT) | instid1(VALU_DEP_1)
	v_lshlrev_b64_e32 v[0:1], 1, v[0:1]
	v_cmpx_gt_i64_e64 s[6:7], v[0:1]
	s_cbranch_execz .LBB77_47
; %bb.1:
	s_clause 0x2
	s_load_b32 s24, s[0:1], 0x1a8
	s_load_b32 s8, s[0:1], 0x1c0
	s_load_b64 s[10:11], s[0:1], 0xd8
	s_add_nc_u64 s[12:13], s[0:1], 0xd8
	s_add_nc_u64 s[14:15], s[0:1], 0x1c8
	s_load_b32 s26, s[14:15], 0x0
	s_load_b64 s[14:15], s[0:1], 0x0
	s_wait_kmcnt 0x0
	s_ashr_i32 s25, s24, 31
	v_cvt_f32_u32_e32 v3, s8
	s_lshl_b64 s[16:17], s[24:25], 2
	s_and_b32 s48, s24, 3
	s_add_nc_u64 s[18:19], s[12:13], s[16:17]
	s_add_nc_u64 s[22:23], s[0:1], s[16:17]
	s_load_b64 s[2:3], s[18:19], 0x0
	v_rcp_iflag_f32_e32 v3, v3
	s_clause 0x1
	s_load_b64 s[16:17], s[18:19], 0x64
	s_load_b64 s[18:19], s[22:23], 0x64
	s_mul_i32 s26, s26, s21
	s_ashr_i32 s9, s8, 31
	s_add_co_i32 s33, s24, -3
	s_lshl_b32 s50, s26, 1
	v_cmp_gt_i64_e64 s49, s[24:25], 2
	s_mov_b32 s23, 0
	v_mul_f32_e32 v3, 0x4f7ffffe, v3
	s_delay_alu instid0(VALU_DEP_1)
	v_cvt_u32_f32_e32 v18, v3
	s_wait_kmcnt 0x0
	s_mov_b32 s20, s2
	s_ashr_i32 s21, s2, 31
	s_wait_alu 0xfffe
	v_cvt_f32_u32_e32 v4, s20
	s_cmp_lg_u32 s48, 2
	s_mov_b32 s24, s17
	s_cselect_b32 s51, -1, 0
	s_cmp_gt_u32 s33, 2
	v_rcp_iflag_f32_e32 v4, v4
	s_cselect_b32 s52, -1, 0
	s_ashr_i32 s25, s17, 31
	s_ashr_i32 s27, s19, 31
	s_mov_b32 s26, s19
	s_ashr_i32 s28, s9, 31
	s_mov_b32 s17, 0
	s_delay_alu instid0(TRANS32_DEP_1) | instskip(NEXT) | instid1(VALU_DEP_1)
	v_mul_f32_e32 v3, 0x4f7ffffe, v4
	v_cvt_u32_f32_e32 v19, v3
	s_branch .LBB77_3
.LBB77_2:                               ;   in Loop: Header=BB77_3 Depth=1
	s_wait_alu 0xfffe
	s_or_b32 exec_lo, exec_lo, s2
	v_add_co_u32 v0, vcc_lo, v0, s50
	s_wait_alu 0xfffd
	v_add_co_ci_u32_e64 v1, null, 0, v1, vcc_lo
	s_delay_alu instid0(VALU_DEP_1)
	v_cmp_le_i64_e32 vcc_lo, s[6:7], v[0:1]
	s_or_b32 s17, vcc_lo, s17
	s_wait_alu 0xfffe
	s_and_not1_b32 exec_lo, exec_lo, s17
	s_cbranch_execz .LBB77_47
.LBB77_3:                               ; =>This Loop Header: Depth=1
                                        ;     Child Loop BB77_15 Depth 2
                                        ;     Child Loop BB77_20 Depth 2
	v_or_b32_e32 v3, s9, v1
                                        ; implicit-def: $vgpr4_vgpr5
	s_mov_b32 s2, exec_lo
	s_delay_alu instid0(VALU_DEP_1)
	v_cmpx_ne_u64_e32 0, v[2:3]
	s_wait_alu 0xfffe
	s_xor_b32 s19, exec_lo, s2
	s_cbranch_execz .LBB77_5
; %bb.4:                                ;   in Loop: Header=BB77_3 Depth=1
	s_mov_b32 s29, s28
	v_ashrrev_i32_e32 v9, 31, v1
	s_wait_alu 0xfffe
	s_add_nc_u64 s[30:31], s[8:9], s[28:29]
	s_wait_alu 0xfffe
	s_xor_b64 s[30:31], s[30:31], s[28:29]
	v_add_co_u32 v3, vcc_lo, v0, v9
	s_wait_alu 0xfffe
	s_cvt_f32_u32 s2, s30
	s_cvt_f32_u32 s22, s31
	s_sub_nc_u64 s[36:37], 0, s[30:31]
	s_wait_alu 0xfffd
	v_add_co_ci_u32_e64 v4, null, v1, v9, vcc_lo
	s_wait_alu 0xfffe
	s_fmamk_f32 s2, s22, 0x4f800000, s2
	v_xor_b32_e32 v10, v3, v9
	s_delay_alu instid0(VALU_DEP_2) | instskip(SKIP_2) | instid1(TRANS32_DEP_1)
	v_xor_b32_e32 v11, v4, v9
	s_wait_alu 0xfffe
	v_s_rcp_f32 s2, s2
	s_mul_f32 s2, s2, 0x5f7ffffc
	s_wait_alu 0xfffe
	s_delay_alu instid0(SALU_CYCLE_2) | instskip(SKIP_1) | instid1(SALU_CYCLE_2)
	s_mul_f32 s22, s2, 0x2f800000
	s_wait_alu 0xfffe
	s_trunc_f32 s22, s22
	s_wait_alu 0xfffe
	s_delay_alu instid0(SALU_CYCLE_2) | instskip(SKIP_2) | instid1(SALU_CYCLE_1)
	s_fmamk_f32 s2, s22, 0xcf800000, s2
	s_cvt_u32_f32 s35, s22
	s_wait_alu 0xfffe
	s_cvt_u32_f32 s34, s2
	s_wait_alu 0xfffe
	s_delay_alu instid0(SALU_CYCLE_2)
	s_mul_u64 s[38:39], s[36:37], s[34:35]
	s_wait_alu 0xfffe
	s_mul_hi_u32 s41, s34, s39
	s_mul_i32 s40, s34, s39
	s_mul_hi_u32 s22, s34, s38
	s_mul_i32 s29, s35, s38
	s_wait_alu 0xfffe
	s_add_nc_u64 s[40:41], s[22:23], s[40:41]
	s_mul_hi_u32 s2, s35, s38
	s_mul_hi_u32 s42, s35, s39
	s_wait_alu 0xfffe
	s_add_co_u32 s22, s40, s29
	s_add_co_ci_u32 s22, s41, s2
	s_mul_i32 s38, s35, s39
	s_add_co_ci_u32 s39, s42, 0
	s_wait_alu 0xfffe
	s_add_nc_u64 s[38:39], s[22:23], s[38:39]
	s_wait_alu 0xfffe
	s_add_co_u32 s34, s34, s38
	s_cselect_b32 s2, -1, 0
	s_wait_alu 0xfffe
	s_cmp_lg_u32 s2, 0
	s_add_co_ci_u32 s35, s35, s39
	s_wait_alu 0xfffe
	s_mul_u64 s[36:37], s[36:37], s[34:35]
	s_wait_alu 0xfffe
	s_mul_hi_u32 s39, s34, s37
	s_mul_i32 s38, s34, s37
	s_mul_hi_u32 s22, s34, s36
	s_mul_i32 s29, s35, s36
	s_wait_alu 0xfffe
	s_add_nc_u64 s[38:39], s[22:23], s[38:39]
	s_mul_hi_u32 s2, s35, s36
	s_mul_hi_u32 s40, s35, s37
	s_wait_alu 0xfffe
	s_add_co_u32 s22, s38, s29
	s_add_co_ci_u32 s22, s39, s2
	s_mul_i32 s36, s35, s37
	s_add_co_ci_u32 s37, s40, 0
	s_wait_alu 0xfffe
	s_add_nc_u64 s[36:37], s[22:23], s[36:37]
	s_wait_alu 0xfffe
	s_add_co_u32 s2, s34, s36
	s_cselect_b32 s22, -1, 0
	s_wait_alu 0xfffe
	v_mul_hi_u32 v12, v10, s2
	s_cmp_lg_u32 s22, 0
	v_mad_co_u64_u32 v[5:6], null, v11, s2, 0
	s_add_co_ci_u32 s22, s35, s37
	s_wait_alu 0xfffe
	v_mad_co_u64_u32 v[3:4], null, v10, s22, 0
	v_mad_co_u64_u32 v[7:8], null, v11, s22, 0
	s_delay_alu instid0(VALU_DEP_2) | instskip(SKIP_1) | instid1(VALU_DEP_3)
	v_add_co_u32 v3, vcc_lo, v12, v3
	s_wait_alu 0xfffd
	v_add_co_ci_u32_e64 v4, null, 0, v4, vcc_lo
	s_delay_alu instid0(VALU_DEP_2) | instskip(SKIP_1) | instid1(VALU_DEP_2)
	v_add_co_u32 v3, vcc_lo, v3, v5
	s_wait_alu 0xfffd
	v_add_co_ci_u32_e32 v3, vcc_lo, v4, v6, vcc_lo
	s_wait_alu 0xfffd
	v_add_co_ci_u32_e32 v4, vcc_lo, 0, v8, vcc_lo
	s_delay_alu instid0(VALU_DEP_2) | instskip(SKIP_1) | instid1(VALU_DEP_2)
	v_add_co_u32 v5, vcc_lo, v3, v7
	s_wait_alu 0xfffd
	v_add_co_ci_u32_e64 v6, null, 0, v4, vcc_lo
	s_delay_alu instid0(VALU_DEP_2) | instskip(SKIP_1) | instid1(VALU_DEP_3)
	v_mul_lo_u32 v7, s31, v5
	v_mad_co_u64_u32 v[3:4], null, s30, v5, 0
	v_mul_lo_u32 v8, s30, v6
	s_delay_alu instid0(VALU_DEP_2) | instskip(NEXT) | instid1(VALU_DEP_2)
	v_sub_co_u32 v3, vcc_lo, v10, v3
	v_add3_u32 v4, v4, v8, v7
	v_add_co_u32 v8, s2, v5, 2
	s_wait_alu 0xf1ff
	v_add_co_ci_u32_e64 v10, null, 0, v6, s2
	s_delay_alu instid0(VALU_DEP_3) | instskip(SKIP_3) | instid1(VALU_DEP_3)
	v_sub_nc_u32_e32 v7, v11, v4
	v_sub_co_u32 v12, s2, v3, s30
	s_wait_alu 0xfffd
	v_sub_co_ci_u32_e64 v4, null, v11, v4, vcc_lo
	v_subrev_co_ci_u32_e64 v7, null, s31, v7, vcc_lo
	s_delay_alu instid0(VALU_DEP_3) | instskip(SKIP_1) | instid1(VALU_DEP_2)
	v_cmp_le_u32_e32 vcc_lo, s30, v12
	s_wait_alu 0xf1ff
	v_subrev_co_ci_u32_e64 v7, null, 0, v7, s2
	s_wait_alu 0xfffd
	v_cndmask_b32_e64 v11, 0, -1, vcc_lo
	s_delay_alu instid0(VALU_DEP_2)
	v_cmp_le_u32_e32 vcc_lo, s31, v7
	s_wait_alu 0xfffd
	v_cndmask_b32_e64 v12, 0, -1, vcc_lo
	v_cmp_le_u32_e32 vcc_lo, s30, v3
	s_wait_alu 0xfffd
	v_cndmask_b32_e64 v3, 0, -1, vcc_lo
	;; [unrolled: 3-line block ×3, first 2 shown]
	v_cmp_eq_u32_e32 vcc_lo, s31, v7
	s_wait_alu 0xfffd
	v_cndmask_b32_e32 v7, v12, v11, vcc_lo
	v_add_co_u32 v11, vcc_lo, v5, 1
	s_wait_alu 0xfffd
	v_add_co_ci_u32_e64 v12, null, 0, v6, vcc_lo
	v_cmp_eq_u32_e32 vcc_lo, s31, v4
	s_wait_alu 0xfffd
	v_cndmask_b32_e32 v3, v13, v3, vcc_lo
	v_cmp_ne_u32_e32 vcc_lo, 0, v7
	v_xor_b32_e32 v7, s28, v9
	s_wait_alu 0xfffd
	v_cndmask_b32_e32 v4, v12, v10, vcc_lo
	v_cmp_ne_u32_e64 s2, 0, v3
	v_cndmask_b32_e32 v3, v11, v8, vcc_lo
	s_wait_alu 0xf1ff
	s_delay_alu instid0(VALU_DEP_2) | instskip(NEXT) | instid1(VALU_DEP_2)
	v_cndmask_b32_e64 v4, v6, v4, s2
	v_cndmask_b32_e64 v3, v5, v3, s2
	s_delay_alu instid0(VALU_DEP_2) | instskip(NEXT) | instid1(VALU_DEP_2)
	v_xor_b32_e32 v5, v4, v7
	v_xor_b32_e32 v3, v3, v7
	s_delay_alu instid0(VALU_DEP_1) | instskip(SKIP_1) | instid1(VALU_DEP_3)
	v_sub_co_u32 v4, vcc_lo, v3, v7
	s_wait_alu 0xfffd
	v_sub_co_ci_u32_e64 v5, null, v5, v7, vcc_lo
.LBB77_5:                               ;   in Loop: Header=BB77_3 Depth=1
	s_wait_alu 0xfffe
	s_and_not1_saveexec_b32 s2, s19
	s_cbranch_execz .LBB77_7
; %bb.6:                                ;   in Loop: Header=BB77_3 Depth=1
	s_sub_co_i32 s19, 0, s8
	s_wait_alu 0xfffe
	v_mul_lo_u32 v3, s19, v18
	s_delay_alu instid0(VALU_DEP_1) | instskip(NEXT) | instid1(VALU_DEP_1)
	v_mul_hi_u32 v3, v18, v3
	v_add_nc_u32_e32 v3, v18, v3
	s_delay_alu instid0(VALU_DEP_1) | instskip(NEXT) | instid1(VALU_DEP_1)
	v_mul_hi_u32 v3, v0, v3
	v_mul_lo_u32 v4, v3, s8
	v_add_nc_u32_e32 v5, 1, v3
	s_delay_alu instid0(VALU_DEP_2) | instskip(NEXT) | instid1(VALU_DEP_1)
	v_sub_nc_u32_e32 v4, v0, v4
	v_subrev_nc_u32_e32 v6, s8, v4
	v_cmp_le_u32_e32 vcc_lo, s8, v4
	s_wait_alu 0xfffd
	s_delay_alu instid0(VALU_DEP_2) | instskip(NEXT) | instid1(VALU_DEP_1)
	v_dual_cndmask_b32 v4, v4, v6 :: v_dual_cndmask_b32 v3, v3, v5
	v_cmp_le_u32_e32 vcc_lo, s8, v4
	s_delay_alu instid0(VALU_DEP_2) | instskip(SKIP_1) | instid1(VALU_DEP_1)
	v_add_nc_u32_e32 v5, 1, v3
	s_wait_alu 0xfffd
	v_dual_cndmask_b32 v4, v3, v5 :: v_dual_mov_b32 v5, v2
.LBB77_7:                               ;   in Loop: Header=BB77_3 Depth=1
	s_wait_alu 0xfffe
	s_or_b32 exec_lo, exec_lo, s2
	s_delay_alu instid0(VALU_DEP_1) | instskip(SKIP_1) | instid1(VALU_DEP_1)
	v_or_b32_e32 v3, s21, v5
                                        ; implicit-def: $vgpr8_vgpr9
	s_mov_b32 s2, exec_lo
	v_cmpx_ne_u64_e32 0, v[2:3]
	s_wait_alu 0xfffe
	s_xor_b32 s19, exec_lo, s2
	s_cbranch_execz .LBB77_9
; %bb.8:                                ;   in Loop: Header=BB77_3 Depth=1
	s_ashr_i32 s30, s21, 31
	v_ashrrev_i32_e32 v3, 31, v5
	s_wait_alu 0xfffe
	s_mov_b32 s31, s30
	s_wait_alu 0xfffe
	s_add_nc_u64 s[34:35], s[20:21], s[30:31]
	v_add_co_u32 v6, vcc_lo, v4, v3
	s_wait_alu 0xfffe
	s_xor_b64 s[34:35], s[34:35], s[30:31]
	s_wait_alu 0xfffd
	v_add_co_ci_u32_e64 v5, null, v5, v3, vcc_lo
	s_wait_alu 0xfffe
	s_cvt_f32_u32 s2, s34
	s_cvt_f32_u32 s22, s35
	s_sub_nc_u64 s[38:39], 0, s[34:35]
	v_xor_b32_e32 v11, v6, v3
	v_xor_b32_e32 v12, v5, v3
	s_wait_alu 0xfffe
	s_fmamk_f32 s2, s22, 0x4f800000, s2
	v_xor_b32_e32 v3, s30, v3
	s_wait_alu 0xfffe
	s_delay_alu instid0(SALU_CYCLE_1) | instskip(NEXT) | instid1(TRANS32_DEP_1)
	v_s_rcp_f32 s2, s2
	s_mul_f32 s2, s2, 0x5f7ffffc
	s_wait_alu 0xfffe
	s_delay_alu instid0(SALU_CYCLE_2) | instskip(SKIP_1) | instid1(SALU_CYCLE_2)
	s_mul_f32 s22, s2, 0x2f800000
	s_wait_alu 0xfffe
	s_trunc_f32 s22, s22
	s_wait_alu 0xfffe
	s_delay_alu instid0(SALU_CYCLE_2) | instskip(SKIP_2) | instid1(SALU_CYCLE_1)
	s_fmamk_f32 s2, s22, 0xcf800000, s2
	s_cvt_u32_f32 s37, s22
	s_wait_alu 0xfffe
	s_cvt_u32_f32 s36, s2
	s_wait_alu 0xfffe
	s_delay_alu instid0(SALU_CYCLE_2)
	s_mul_u64 s[40:41], s[38:39], s[36:37]
	s_wait_alu 0xfffe
	s_mul_hi_u32 s43, s36, s41
	s_mul_i32 s42, s36, s41
	s_mul_hi_u32 s22, s36, s40
	s_mul_i32 s29, s37, s40
	s_wait_alu 0xfffe
	s_add_nc_u64 s[42:43], s[22:23], s[42:43]
	s_mul_hi_u32 s2, s37, s40
	s_mul_hi_u32 s31, s37, s41
	s_wait_alu 0xfffe
	s_add_co_u32 s22, s42, s29
	s_add_co_ci_u32 s22, s43, s2
	s_mul_i32 s40, s37, s41
	s_add_co_ci_u32 s41, s31, 0
	s_wait_alu 0xfffe
	s_add_nc_u64 s[40:41], s[22:23], s[40:41]
	s_wait_alu 0xfffe
	s_add_co_u32 s36, s36, s40
	s_cselect_b32 s2, -1, 0
	s_wait_alu 0xfffe
	s_cmp_lg_u32 s2, 0
	s_add_co_ci_u32 s37, s37, s41
	s_wait_alu 0xfffe
	s_mul_u64 s[38:39], s[38:39], s[36:37]
	s_wait_alu 0xfffe
	s_mul_hi_u32 s41, s36, s39
	s_mul_i32 s40, s36, s39
	s_mul_hi_u32 s22, s36, s38
	s_mul_i32 s29, s37, s38
	s_wait_alu 0xfffe
	s_add_nc_u64 s[40:41], s[22:23], s[40:41]
	s_mul_hi_u32 s2, s37, s38
	s_mul_hi_u32 s31, s37, s39
	s_wait_alu 0xfffe
	s_add_co_u32 s22, s40, s29
	s_add_co_ci_u32 s22, s41, s2
	s_mul_i32 s38, s37, s39
	s_add_co_ci_u32 s39, s31, 0
	s_wait_alu 0xfffe
	s_add_nc_u64 s[38:39], s[22:23], s[38:39]
	s_wait_alu 0xfffe
	s_add_co_u32 s2, s36, s38
	s_cselect_b32 s22, -1, 0
	s_wait_alu 0xfffe
	v_mul_hi_u32 v13, v11, s2
	s_cmp_lg_u32 s22, 0
	v_mad_co_u64_u32 v[7:8], null, v12, s2, 0
	s_add_co_ci_u32 s22, s37, s39
	s_wait_alu 0xfffe
	v_mad_co_u64_u32 v[5:6], null, v11, s22, 0
	v_mad_co_u64_u32 v[9:10], null, v12, s22, 0
	s_delay_alu instid0(VALU_DEP_2) | instskip(SKIP_1) | instid1(VALU_DEP_3)
	v_add_co_u32 v5, vcc_lo, v13, v5
	s_wait_alu 0xfffd
	v_add_co_ci_u32_e64 v6, null, 0, v6, vcc_lo
	s_delay_alu instid0(VALU_DEP_2) | instskip(SKIP_1) | instid1(VALU_DEP_2)
	v_add_co_u32 v5, vcc_lo, v5, v7
	s_wait_alu 0xfffd
	v_add_co_ci_u32_e32 v5, vcc_lo, v6, v8, vcc_lo
	s_wait_alu 0xfffd
	v_add_co_ci_u32_e32 v6, vcc_lo, 0, v10, vcc_lo
	s_delay_alu instid0(VALU_DEP_2) | instskip(SKIP_1) | instid1(VALU_DEP_2)
	v_add_co_u32 v7, vcc_lo, v5, v9
	s_wait_alu 0xfffd
	v_add_co_ci_u32_e64 v8, null, 0, v6, vcc_lo
	s_delay_alu instid0(VALU_DEP_2) | instskip(SKIP_1) | instid1(VALU_DEP_3)
	v_mul_lo_u32 v9, s35, v7
	v_mad_co_u64_u32 v[5:6], null, s34, v7, 0
	v_mul_lo_u32 v10, s34, v8
	s_delay_alu instid0(VALU_DEP_2) | instskip(NEXT) | instid1(VALU_DEP_2)
	v_sub_co_u32 v5, vcc_lo, v11, v5
	v_add3_u32 v6, v6, v10, v9
	v_add_co_u32 v10, s2, v7, 2
	s_wait_alu 0xf1ff
	v_add_co_ci_u32_e64 v11, null, 0, v8, s2
	s_delay_alu instid0(VALU_DEP_3) | instskip(SKIP_3) | instid1(VALU_DEP_3)
	v_sub_nc_u32_e32 v9, v12, v6
	v_sub_co_u32 v13, s2, v5, s34
	s_wait_alu 0xfffd
	v_sub_co_ci_u32_e64 v6, null, v12, v6, vcc_lo
	v_subrev_co_ci_u32_e64 v9, null, s35, v9, vcc_lo
	s_delay_alu instid0(VALU_DEP_3) | instskip(SKIP_1) | instid1(VALU_DEP_2)
	v_cmp_le_u32_e32 vcc_lo, s34, v13
	s_wait_alu 0xf1ff
	v_subrev_co_ci_u32_e64 v9, null, 0, v9, s2
	s_wait_alu 0xfffd
	v_cndmask_b32_e64 v12, 0, -1, vcc_lo
	s_delay_alu instid0(VALU_DEP_2)
	v_cmp_le_u32_e32 vcc_lo, s35, v9
	s_wait_alu 0xfffd
	v_cndmask_b32_e64 v13, 0, -1, vcc_lo
	v_cmp_le_u32_e32 vcc_lo, s34, v5
	s_wait_alu 0xfffd
	v_cndmask_b32_e64 v5, 0, -1, vcc_lo
	;; [unrolled: 3-line block ×3, first 2 shown]
	v_cmp_eq_u32_e32 vcc_lo, s35, v9
	s_wait_alu 0xfffd
	v_cndmask_b32_e32 v9, v13, v12, vcc_lo
	v_add_co_u32 v12, vcc_lo, v7, 1
	s_wait_alu 0xfffd
	v_add_co_ci_u32_e64 v13, null, 0, v8, vcc_lo
	v_cmp_eq_u32_e32 vcc_lo, s35, v6
	s_wait_alu 0xfffd
	v_cndmask_b32_e32 v5, v14, v5, vcc_lo
	v_cmp_ne_u32_e32 vcc_lo, 0, v9
	s_wait_alu 0xfffd
	v_cndmask_b32_e32 v6, v13, v11, vcc_lo
	s_delay_alu instid0(VALU_DEP_3) | instskip(SKIP_2) | instid1(VALU_DEP_2)
	v_cmp_ne_u32_e64 s2, 0, v5
	v_cndmask_b32_e32 v5, v12, v10, vcc_lo
	s_wait_alu 0xf1ff
	v_cndmask_b32_e64 v6, v8, v6, s2
	s_delay_alu instid0(VALU_DEP_2) | instskip(NEXT) | instid1(VALU_DEP_2)
	v_cndmask_b32_e64 v5, v7, v5, s2
	v_xor_b32_e32 v6, v6, v3
	s_delay_alu instid0(VALU_DEP_2) | instskip(NEXT) | instid1(VALU_DEP_1)
	v_xor_b32_e32 v5, v5, v3
	v_sub_co_u32 v8, vcc_lo, v5, v3
	s_wait_alu 0xfffd
	s_delay_alu instid0(VALU_DEP_3)
	v_sub_co_ci_u32_e64 v9, null, v6, v3, vcc_lo
.LBB77_9:                               ;   in Loop: Header=BB77_3 Depth=1
	s_wait_alu 0xfffe
	s_and_not1_saveexec_b32 s2, s19
	s_cbranch_execz .LBB77_11
; %bb.10:                               ;   in Loop: Header=BB77_3 Depth=1
	s_sub_co_i32 s19, 0, s20
	v_mov_b32_e32 v9, v2
	s_wait_alu 0xfffe
	v_mul_lo_u32 v3, s19, v19
	s_delay_alu instid0(VALU_DEP_1) | instskip(NEXT) | instid1(VALU_DEP_1)
	v_mul_hi_u32 v3, v19, v3
	v_add_nc_u32_e32 v3, v19, v3
	s_delay_alu instid0(VALU_DEP_1) | instskip(NEXT) | instid1(VALU_DEP_1)
	v_mul_hi_u32 v3, v4, v3
	v_mul_lo_u32 v5, v3, s20
	v_add_nc_u32_e32 v6, 1, v3
	s_delay_alu instid0(VALU_DEP_2) | instskip(NEXT) | instid1(VALU_DEP_1)
	v_sub_nc_u32_e32 v5, v4, v5
	v_cmp_le_u32_e32 vcc_lo, s20, v5
	v_subrev_nc_u32_e32 v7, s20, v5
	s_wait_alu 0xfffd
	v_cndmask_b32_e32 v3, v3, v6, vcc_lo
	s_delay_alu instid0(VALU_DEP_1) | instskip(NEXT) | instid1(VALU_DEP_3)
	v_add_nc_u32_e32 v6, 1, v3
	v_cndmask_b32_e32 v5, v5, v7, vcc_lo
	s_delay_alu instid0(VALU_DEP_1) | instskip(SKIP_1) | instid1(VALU_DEP_3)
	v_cmp_le_u32_e32 vcc_lo, s20, v5
	s_wait_alu 0xfffd
	v_cndmask_b32_e32 v8, v3, v6, vcc_lo
.LBB77_11:                              ;   in Loop: Header=BB77_3 Depth=1
	s_wait_alu 0xfffe
	s_or_b32 exec_lo, exec_lo, s2
	v_mad_co_u64_u32 v[5:6], null, v4, s8, 0
	s_delay_alu instid0(VALU_DEP_2) | instskip(SKIP_3) | instid1(VALU_DEP_2)
	v_mad_co_u64_u32 v[6:7], null, v8, s20, 0
	s_and_not1_b32 vcc_lo, exec_lo, s49
	v_sub_co_u32 v20, null, v0, v5
	v_sub_co_u32 v21, null, v4, v6
	v_mul_lo_u32 v3, s24, v20
	v_mul_lo_u32 v5, s26, v20
	s_delay_alu instid0(VALU_DEP_2) | instskip(NEXT) | instid1(VALU_DEP_1)
	v_mad_co_u64_u32 v[6:7], null, s16, v21, v[3:4]
	v_mad_co_u64_u32 v[4:5], null, s18, v21, v[5:6]
	s_wait_alu 0xfffe
	s_cbranch_vccnz .LBB77_38
; %bb.12:                               ;   in Loop: Header=BB77_3 Depth=1
	s_mov_b32 s19, 1
	s_and_not1_b32 vcc_lo, exec_lo, s51
	s_mov_b32 s22, s33
	s_mov_b32 s2, s33
	s_wait_alu 0xfffe
	s_cbranch_vccz .LBB77_15
; %bb.13:                               ;   in Loop: Header=BB77_3 Depth=1
	s_and_b32 vcc_lo, exec_lo, s52
	s_mov_b32 s22, s2
	s_wait_alu 0xfffe
	s_cbranch_vccnz .LBB77_20
	s_branch .LBB77_38
.LBB77_14:                              ;   in Loop: Header=BB77_15 Depth=2
	s_wait_alu 0xfffe
	s_or_b32 exec_lo, exec_lo, s2
	s_add_nc_u64 s[36:37], s[0:1], s[36:37]
	s_clause 0x1
	s_load_b32 s2, s[34:35], 0x6c
	s_load_b32 s29, s[36:37], 0x6c
	v_mul_lo_u32 v3, v10, s30
	s_add_co_i32 s22, s22, -1
	s_delay_alu instid0(VALU_DEP_1) | instskip(SKIP_2) | instid1(VALU_DEP_2)
	v_sub_nc_u32_e32 v3, v8, v3
	v_dual_mov_b32 v8, v10 :: v_dual_mov_b32 v9, v11
	s_wait_kmcnt 0x0
	v_mad_co_u64_u32 v[6:7], null, s2, v3, v[6:7]
	v_mad_co_u64_u32 v[4:5], null, s29, v3, v[4:5]
	s_xor_b32 s2, s48, s19
	s_add_co_i32 s19, s19, 1
	s_wait_alu 0xfffe
	s_cmp_lg_u32 s2, 2
	s_cbranch_scc0 .LBB77_19
.LBB77_15:                              ;   Parent Loop BB77_3 Depth=1
                                        ; =>  This Inner Loop Header: Depth=2
	s_lshl_b64 s[36:37], s[22:23], 2
                                        ; implicit-def: $vgpr10_vgpr11
	s_mov_b32 s2, exec_lo
	s_wait_alu 0xfffe
	s_add_nc_u64 s[34:35], s[12:13], s[36:37]
	s_load_b32 s30, s[34:35], 0x8
	s_wait_kmcnt 0x0
	s_ashr_i32 s31, s30, 31
	s_wait_alu 0xfffe
	v_or_b32_e32 v3, s31, v9
	s_delay_alu instid0(VALU_DEP_1)
	v_cmpx_ne_u64_e32 0, v[2:3]
	s_xor_b32 s29, exec_lo, s2
	s_cbranch_execz .LBB77_17
; %bb.16:                               ;   in Loop: Header=BB77_15 Depth=2
	s_ashr_i32 s38, s31, 31
	s_mov_b32 s47, s23
	s_wait_alu 0xfffe
	s_mov_b32 s39, s38
	s_mov_b32 s57, s23
	s_wait_alu 0xfffe
	s_add_nc_u64 s[40:41], s[30:31], s[38:39]
	v_ashrrev_i32_e32 v3, 31, v9
	s_wait_alu 0xfffe
	s_xor_b64 s[40:41], s[40:41], s[38:39]
	s_wait_alu 0xfffe
	s_cvt_f32_u32 s2, s40
	s_cvt_f32_u32 s31, s41
	s_sub_nc_u64 s[44:45], 0, s[40:41]
	v_add_co_u32 v5, vcc_lo, v8, v3
	s_wait_alu 0xfffe
	s_fmamk_f32 s2, s31, 0x4f800000, s2
	s_wait_alu 0xfffd
	v_add_co_ci_u32_e64 v7, null, v9, v3, vcc_lo
	v_xor_b32_e32 v5, v5, v3
	s_wait_alu 0xfffe
	v_s_rcp_f32 s2, s2
	s_delay_alu instid0(VALU_DEP_2) | instskip(SKIP_1) | instid1(TRANS32_DEP_1)
	v_xor_b32_e32 v7, v7, v3
	v_xor_b32_e32 v3, s38, v3
	s_mul_f32 s2, s2, 0x5f7ffffc
	s_wait_alu 0xfffe
	s_delay_alu instid0(SALU_CYCLE_2) | instskip(SKIP_1) | instid1(SALU_CYCLE_2)
	s_mul_f32 s31, s2, 0x2f800000
	s_wait_alu 0xfffe
	s_trunc_f32 s31, s31
	s_wait_alu 0xfffe
	s_delay_alu instid0(SALU_CYCLE_2) | instskip(SKIP_2) | instid1(SALU_CYCLE_1)
	s_fmamk_f32 s2, s31, 0xcf800000, s2
	s_cvt_u32_f32 s43, s31
	s_wait_alu 0xfffe
	s_cvt_u32_f32 s42, s2
	s_wait_alu 0xfffe
	s_delay_alu instid0(SALU_CYCLE_2) | instskip(NEXT) | instid1(SALU_CYCLE_1)
	s_mul_u64 s[54:55], s[44:45], s[42:43]
	s_mul_hi_u32 s59, s42, s55
	s_mul_i32 s58, s42, s55
	s_mul_hi_u32 s46, s42, s54
	s_mul_i32 s31, s43, s54
	s_wait_alu 0xfffe
	s_add_nc_u64 s[46:47], s[46:47], s[58:59]
	s_mul_hi_u32 s2, s43, s54
	s_mul_hi_u32 s39, s43, s55
	s_wait_alu 0xfffe
	s_add_co_u32 s31, s46, s31
	s_add_co_ci_u32 s56, s47, s2
	s_mul_i32 s54, s43, s55
	s_add_co_ci_u32 s55, s39, 0
	s_delay_alu instid0(SALU_CYCLE_1)
	s_add_nc_u64 s[46:47], s[56:57], s[54:55]
	s_mov_b32 s55, s23
	s_wait_alu 0xfffe
	s_add_co_u32 s42, s42, s46
	s_cselect_b32 s2, -1, 0
	s_wait_alu 0xfffe
	s_cmp_lg_u32 s2, 0
	s_add_co_ci_u32 s43, s43, s47
	s_mov_b32 s47, s23
	s_wait_alu 0xfffe
	s_mul_u64 s[44:45], s[44:45], s[42:43]
	s_wait_alu 0xfffe
	s_mul_hi_u32 s57, s42, s45
	s_mul_i32 s56, s42, s45
	s_mul_hi_u32 s54, s42, s44
	s_mul_i32 s31, s43, s44
	s_add_nc_u64 s[54:55], s[54:55], s[56:57]
	s_mul_hi_u32 s2, s43, s44
	s_mul_hi_u32 s39, s43, s45
	s_wait_alu 0xfffe
	s_add_co_u32 s31, s54, s31
	s_add_co_ci_u32 s46, s55, s2
	s_mul_i32 s44, s43, s45
	s_add_co_ci_u32 s45, s39, 0
	s_wait_alu 0xfffe
	s_add_nc_u64 s[44:45], s[46:47], s[44:45]
	s_wait_alu 0xfffe
	s_add_co_u32 s2, s42, s44
	s_cselect_b32 s31, -1, 0
	s_wait_alu 0xfffe
	v_mul_hi_u32 v15, v5, s2
	s_cmp_lg_u32 s31, 0
	v_mad_co_u64_u32 v[11:12], null, v7, s2, 0
	s_add_co_ci_u32 s31, s43, s45
	s_wait_alu 0xfffe
	v_mad_co_u64_u32 v[9:10], null, v5, s31, 0
	v_mad_co_u64_u32 v[13:14], null, v7, s31, 0
	s_delay_alu instid0(VALU_DEP_2) | instskip(SKIP_1) | instid1(VALU_DEP_3)
	v_add_co_u32 v9, vcc_lo, v15, v9
	s_wait_alu 0xfffd
	v_add_co_ci_u32_e64 v10, null, 0, v10, vcc_lo
	s_delay_alu instid0(VALU_DEP_2) | instskip(SKIP_1) | instid1(VALU_DEP_2)
	v_add_co_u32 v9, vcc_lo, v9, v11
	s_wait_alu 0xfffd
	v_add_co_ci_u32_e32 v9, vcc_lo, v10, v12, vcc_lo
	s_wait_alu 0xfffd
	v_add_co_ci_u32_e32 v10, vcc_lo, 0, v14, vcc_lo
	s_delay_alu instid0(VALU_DEP_2) | instskip(SKIP_1) | instid1(VALU_DEP_2)
	v_add_co_u32 v11, vcc_lo, v9, v13
	s_wait_alu 0xfffd
	v_add_co_ci_u32_e64 v12, null, 0, v10, vcc_lo
	s_delay_alu instid0(VALU_DEP_2) | instskip(SKIP_1) | instid1(VALU_DEP_3)
	v_mul_lo_u32 v13, s41, v11
	v_mad_co_u64_u32 v[9:10], null, s40, v11, 0
	v_mul_lo_u32 v14, s40, v12
	s_delay_alu instid0(VALU_DEP_2) | instskip(NEXT) | instid1(VALU_DEP_2)
	v_sub_co_u32 v5, vcc_lo, v5, v9
	v_add3_u32 v10, v10, v14, v13
	s_delay_alu instid0(VALU_DEP_1) | instskip(SKIP_2) | instid1(VALU_DEP_2)
	v_sub_nc_u32_e32 v13, v7, v10
	s_wait_alu 0xfffd
	v_sub_co_ci_u32_e64 v7, null, v7, v10, vcc_lo
	v_subrev_co_ci_u32_e64 v9, null, s41, v13, vcc_lo
	v_add_co_u32 v13, s2, v11, 2
	s_wait_alu 0xf1ff
	v_add_co_ci_u32_e64 v14, null, 0, v12, s2
	v_sub_co_u32 v15, s2, v5, s40
	s_wait_alu 0xf1ff
	v_subrev_co_ci_u32_e64 v9, null, 0, v9, s2
	s_delay_alu instid0(VALU_DEP_2) | instskip(SKIP_2) | instid1(VALU_DEP_3)
	v_cmp_le_u32_e32 vcc_lo, s40, v15
	s_wait_alu 0xfffd
	v_cndmask_b32_e64 v10, 0, -1, vcc_lo
	v_cmp_le_u32_e32 vcc_lo, s41, v9
	s_wait_alu 0xfffd
	v_cndmask_b32_e64 v15, 0, -1, vcc_lo
	;; [unrolled: 3-line block ×4, first 2 shown]
	v_cmp_eq_u32_e32 vcc_lo, s41, v9
	s_wait_alu 0xfffd
	v_cndmask_b32_e32 v9, v15, v10, vcc_lo
	v_add_co_u32 v10, vcc_lo, v11, 1
	s_wait_alu 0xfffd
	v_add_co_ci_u32_e64 v15, null, 0, v12, vcc_lo
	v_cmp_eq_u32_e32 vcc_lo, s41, v7
	s_wait_alu 0xfffd
	v_cndmask_b32_e32 v5, v16, v5, vcc_lo
	v_cmp_ne_u32_e32 vcc_lo, 0, v9
	s_delay_alu instid0(VALU_DEP_2) | instskip(SKIP_4) | instid1(VALU_DEP_2)
	v_cmp_ne_u32_e64 s2, 0, v5
	s_wait_alu 0xfffd
	v_cndmask_b32_e32 v5, v10, v13, vcc_lo
	v_cndmask_b32_e32 v7, v15, v14, vcc_lo
	s_wait_alu 0xf1ff
	v_cndmask_b32_e64 v5, v11, v5, s2
	s_delay_alu instid0(VALU_DEP_2) | instskip(NEXT) | instid1(VALU_DEP_2)
	v_cndmask_b32_e64 v7, v12, v7, s2
	v_xor_b32_e32 v5, v5, v3
	s_delay_alu instid0(VALU_DEP_2) | instskip(NEXT) | instid1(VALU_DEP_2)
	v_xor_b32_e32 v7, v7, v3
	v_sub_co_u32 v10, vcc_lo, v5, v3
	s_wait_alu 0xfffd
	s_delay_alu instid0(VALU_DEP_2)
	v_sub_co_ci_u32_e64 v11, null, v7, v3, vcc_lo
.LBB77_17:                              ;   in Loop: Header=BB77_15 Depth=2
	s_wait_alu 0xfffe
	s_and_not1_saveexec_b32 s2, s29
	s_cbranch_execz .LBB77_14
; %bb.18:                               ;   in Loop: Header=BB77_15 Depth=2
	v_cvt_f32_u32_e32 v3, s30
	s_sub_co_i32 s29, 0, s30
	v_mov_b32_e32 v11, v2
	s_delay_alu instid0(VALU_DEP_2) | instskip(NEXT) | instid1(TRANS32_DEP_1)
	v_rcp_iflag_f32_e32 v3, v3
	v_mul_f32_e32 v3, 0x4f7ffffe, v3
	s_delay_alu instid0(VALU_DEP_1) | instskip(SKIP_1) | instid1(VALU_DEP_1)
	v_cvt_u32_f32_e32 v3, v3
	s_wait_alu 0xfffe
	v_mul_lo_u32 v5, s29, v3
	s_delay_alu instid0(VALU_DEP_1) | instskip(NEXT) | instid1(VALU_DEP_1)
	v_mul_hi_u32 v5, v3, v5
	v_add_nc_u32_e32 v3, v3, v5
	s_delay_alu instid0(VALU_DEP_1) | instskip(NEXT) | instid1(VALU_DEP_1)
	v_mul_hi_u32 v3, v8, v3
	v_mul_lo_u32 v5, v3, s30
	v_add_nc_u32_e32 v7, 1, v3
	s_delay_alu instid0(VALU_DEP_2) | instskip(NEXT) | instid1(VALU_DEP_1)
	v_sub_nc_u32_e32 v5, v8, v5
	v_cmp_le_u32_e32 vcc_lo, s30, v5
	v_subrev_nc_u32_e32 v9, s30, v5
	s_wait_alu 0xfffd
	v_cndmask_b32_e32 v3, v3, v7, vcc_lo
	s_delay_alu instid0(VALU_DEP_1) | instskip(NEXT) | instid1(VALU_DEP_3)
	v_add_nc_u32_e32 v7, 1, v3
	v_cndmask_b32_e32 v5, v5, v9, vcc_lo
	s_delay_alu instid0(VALU_DEP_1) | instskip(SKIP_1) | instid1(VALU_DEP_3)
	v_cmp_le_u32_e32 vcc_lo, s30, v5
	s_wait_alu 0xfffd
	v_cndmask_b32_e32 v10, v3, v7, vcc_lo
	s_branch .LBB77_14
.LBB77_19:                              ;   in Loop: Header=BB77_3 Depth=1
	s_mov_b32 s2, s22
	s_and_b32 vcc_lo, exec_lo, s52
	s_wait_alu 0xfffe
	s_mov_b32 s22, s2
	s_cbranch_vccz .LBB77_38
.LBB77_20:                              ;   Parent Loop BB77_3 Depth=1
                                        ; =>  This Inner Loop Header: Depth=2
	s_wait_alu 0xfffe
	s_lshl_b64 s[42:43], s[22:23], 2
                                        ; implicit-def: $vgpr10_vgpr11
	s_mov_b32 s2, exec_lo
	s_wait_alu 0xfffe
	s_add_nc_u64 s[36:37], s[12:13], s[42:43]
	s_load_b32 s30, s[36:37], 0x8
	s_wait_kmcnt 0x0
	s_ashr_i32 s31, s30, 31
	s_wait_alu 0xfffe
	v_or_b32_e32 v3, s31, v9
	s_delay_alu instid0(VALU_DEP_1)
	v_cmpx_ne_u64_e32 0, v[2:3]
	s_xor_b32 s19, exec_lo, s2
	s_cbranch_execz .LBB77_22
; %bb.21:                               ;   in Loop: Header=BB77_20 Depth=2
	s_ashr_i32 s34, s31, 31
	s_mov_b32 s47, s23
	s_wait_alu 0xfffe
	s_mov_b32 s35, s34
	s_mov_b32 s57, s23
	s_wait_alu 0xfffe
	s_add_nc_u64 s[38:39], s[30:31], s[34:35]
	v_ashrrev_i32_e32 v3, 31, v9
	s_wait_alu 0xfffe
	s_xor_b64 s[38:39], s[38:39], s[34:35]
	s_wait_alu 0xfffe
	s_cvt_f32_u32 s2, s38
	s_cvt_f32_u32 s29, s39
	s_sub_nc_u64 s[44:45], 0, s[38:39]
	v_add_co_u32 v5, vcc_lo, v8, v3
	s_wait_alu 0xfffe
	s_fmamk_f32 s2, s29, 0x4f800000, s2
	s_wait_alu 0xfffd
	v_add_co_ci_u32_e64 v7, null, v9, v3, vcc_lo
	v_xor_b32_e32 v5, v5, v3
	s_wait_alu 0xfffe
	v_s_rcp_f32 s2, s2
	s_delay_alu instid0(VALU_DEP_2) | instskip(SKIP_1) | instid1(TRANS32_DEP_1)
	v_xor_b32_e32 v7, v7, v3
	v_xor_b32_e32 v3, s34, v3
	s_mul_f32 s2, s2, 0x5f7ffffc
	s_wait_alu 0xfffe
	s_delay_alu instid0(SALU_CYCLE_2) | instskip(SKIP_1) | instid1(SALU_CYCLE_2)
	s_mul_f32 s29, s2, 0x2f800000
	s_wait_alu 0xfffe
	s_trunc_f32 s29, s29
	s_wait_alu 0xfffe
	s_delay_alu instid0(SALU_CYCLE_2) | instskip(SKIP_2) | instid1(SALU_CYCLE_1)
	s_fmamk_f32 s2, s29, 0xcf800000, s2
	s_cvt_u32_f32 s41, s29
	s_wait_alu 0xfffe
	s_cvt_u32_f32 s40, s2
	s_wait_alu 0xfffe
	s_delay_alu instid0(SALU_CYCLE_2) | instskip(NEXT) | instid1(SALU_CYCLE_1)
	s_mul_u64 s[54:55], s[44:45], s[40:41]
	s_mul_hi_u32 s59, s40, s55
	s_mul_i32 s58, s40, s55
	s_mul_hi_u32 s46, s40, s54
	s_mul_i32 s29, s41, s54
	s_wait_alu 0xfffe
	s_add_nc_u64 s[46:47], s[46:47], s[58:59]
	s_mul_hi_u32 s2, s41, s54
	s_mul_hi_u32 s31, s41, s55
	s_wait_alu 0xfffe
	s_add_co_u32 s29, s46, s29
	s_add_co_ci_u32 s56, s47, s2
	s_mul_i32 s54, s41, s55
	s_add_co_ci_u32 s55, s31, 0
	s_delay_alu instid0(SALU_CYCLE_1)
	s_add_nc_u64 s[46:47], s[56:57], s[54:55]
	s_mov_b32 s55, s23
	s_wait_alu 0xfffe
	s_add_co_u32 s40, s40, s46
	s_cselect_b32 s2, -1, 0
	s_wait_alu 0xfffe
	s_cmp_lg_u32 s2, 0
	s_add_co_ci_u32 s41, s41, s47
	s_mov_b32 s47, s23
	s_wait_alu 0xfffe
	s_mul_u64 s[44:45], s[44:45], s[40:41]
	s_wait_alu 0xfffe
	s_mul_hi_u32 s57, s40, s45
	s_mul_i32 s56, s40, s45
	s_mul_hi_u32 s54, s40, s44
	s_mul_i32 s29, s41, s44
	s_add_nc_u64 s[54:55], s[54:55], s[56:57]
	s_mul_hi_u32 s2, s41, s44
	s_mul_hi_u32 s31, s41, s45
	s_wait_alu 0xfffe
	s_add_co_u32 s29, s54, s29
	s_add_co_ci_u32 s46, s55, s2
	s_mul_i32 s44, s41, s45
	s_add_co_ci_u32 s45, s31, 0
	s_wait_alu 0xfffe
	s_add_nc_u64 s[44:45], s[46:47], s[44:45]
	s_wait_alu 0xfffe
	s_add_co_u32 s2, s40, s44
	s_cselect_b32 s29, -1, 0
	s_wait_alu 0xfffe
	v_mul_hi_u32 v15, v5, s2
	s_cmp_lg_u32 s29, 0
	v_mad_co_u64_u32 v[11:12], null, v7, s2, 0
	s_add_co_ci_u32 s29, s41, s45
	s_wait_alu 0xfffe
	v_mad_co_u64_u32 v[9:10], null, v5, s29, 0
	v_mad_co_u64_u32 v[13:14], null, v7, s29, 0
	s_delay_alu instid0(VALU_DEP_2) | instskip(SKIP_1) | instid1(VALU_DEP_3)
	v_add_co_u32 v9, vcc_lo, v15, v9
	s_wait_alu 0xfffd
	v_add_co_ci_u32_e64 v10, null, 0, v10, vcc_lo
	s_delay_alu instid0(VALU_DEP_2) | instskip(SKIP_1) | instid1(VALU_DEP_2)
	v_add_co_u32 v9, vcc_lo, v9, v11
	s_wait_alu 0xfffd
	v_add_co_ci_u32_e32 v9, vcc_lo, v10, v12, vcc_lo
	s_wait_alu 0xfffd
	v_add_co_ci_u32_e32 v10, vcc_lo, 0, v14, vcc_lo
	s_delay_alu instid0(VALU_DEP_2) | instskip(SKIP_1) | instid1(VALU_DEP_2)
	v_add_co_u32 v11, vcc_lo, v9, v13
	s_wait_alu 0xfffd
	v_add_co_ci_u32_e64 v12, null, 0, v10, vcc_lo
	s_delay_alu instid0(VALU_DEP_2) | instskip(SKIP_1) | instid1(VALU_DEP_3)
	v_mul_lo_u32 v13, s39, v11
	v_mad_co_u64_u32 v[9:10], null, s38, v11, 0
	v_mul_lo_u32 v14, s38, v12
	s_delay_alu instid0(VALU_DEP_2) | instskip(NEXT) | instid1(VALU_DEP_2)
	v_sub_co_u32 v5, vcc_lo, v5, v9
	v_add3_u32 v10, v10, v14, v13
	s_delay_alu instid0(VALU_DEP_1) | instskip(SKIP_2) | instid1(VALU_DEP_2)
	v_sub_nc_u32_e32 v13, v7, v10
	s_wait_alu 0xfffd
	v_sub_co_ci_u32_e64 v7, null, v7, v10, vcc_lo
	v_subrev_co_ci_u32_e64 v9, null, s39, v13, vcc_lo
	v_add_co_u32 v13, s2, v11, 2
	s_wait_alu 0xf1ff
	v_add_co_ci_u32_e64 v14, null, 0, v12, s2
	v_sub_co_u32 v15, s2, v5, s38
	s_wait_alu 0xf1ff
	v_subrev_co_ci_u32_e64 v9, null, 0, v9, s2
	s_delay_alu instid0(VALU_DEP_2) | instskip(SKIP_2) | instid1(VALU_DEP_3)
	v_cmp_le_u32_e32 vcc_lo, s38, v15
	s_wait_alu 0xfffd
	v_cndmask_b32_e64 v10, 0, -1, vcc_lo
	v_cmp_le_u32_e32 vcc_lo, s39, v9
	s_wait_alu 0xfffd
	v_cndmask_b32_e64 v15, 0, -1, vcc_lo
	;; [unrolled: 3-line block ×4, first 2 shown]
	v_cmp_eq_u32_e32 vcc_lo, s39, v9
	s_wait_alu 0xfffd
	v_cndmask_b32_e32 v9, v15, v10, vcc_lo
	v_add_co_u32 v10, vcc_lo, v11, 1
	s_wait_alu 0xfffd
	v_add_co_ci_u32_e64 v15, null, 0, v12, vcc_lo
	v_cmp_eq_u32_e32 vcc_lo, s39, v7
	s_wait_alu 0xfffd
	v_cndmask_b32_e32 v5, v16, v5, vcc_lo
	v_cmp_ne_u32_e32 vcc_lo, 0, v9
	s_delay_alu instid0(VALU_DEP_2) | instskip(SKIP_4) | instid1(VALU_DEP_2)
	v_cmp_ne_u32_e64 s2, 0, v5
	s_wait_alu 0xfffd
	v_cndmask_b32_e32 v5, v10, v13, vcc_lo
	v_cndmask_b32_e32 v7, v15, v14, vcc_lo
	s_wait_alu 0xf1ff
	v_cndmask_b32_e64 v5, v11, v5, s2
	s_delay_alu instid0(VALU_DEP_2) | instskip(NEXT) | instid1(VALU_DEP_2)
	v_cndmask_b32_e64 v7, v12, v7, s2
	v_xor_b32_e32 v5, v5, v3
	s_delay_alu instid0(VALU_DEP_2) | instskip(NEXT) | instid1(VALU_DEP_2)
	v_xor_b32_e32 v7, v7, v3
	v_sub_co_u32 v10, vcc_lo, v5, v3
	s_wait_alu 0xfffd
	s_delay_alu instid0(VALU_DEP_2)
	v_sub_co_ci_u32_e64 v11, null, v7, v3, vcc_lo
.LBB77_22:                              ;   in Loop: Header=BB77_20 Depth=2
	s_wait_alu 0xfffe
	s_and_not1_saveexec_b32 s2, s19
	s_cbranch_execz .LBB77_24
; %bb.23:                               ;   in Loop: Header=BB77_20 Depth=2
	v_cvt_f32_u32_e32 v3, s30
	s_sub_co_i32 s19, 0, s30
	v_mov_b32_e32 v11, v2
	s_delay_alu instid0(VALU_DEP_2) | instskip(NEXT) | instid1(TRANS32_DEP_1)
	v_rcp_iflag_f32_e32 v3, v3
	v_mul_f32_e32 v3, 0x4f7ffffe, v3
	s_delay_alu instid0(VALU_DEP_1) | instskip(SKIP_1) | instid1(VALU_DEP_1)
	v_cvt_u32_f32_e32 v3, v3
	s_wait_alu 0xfffe
	v_mul_lo_u32 v5, s19, v3
	s_delay_alu instid0(VALU_DEP_1) | instskip(NEXT) | instid1(VALU_DEP_1)
	v_mul_hi_u32 v5, v3, v5
	v_add_nc_u32_e32 v3, v3, v5
	s_delay_alu instid0(VALU_DEP_1) | instskip(NEXT) | instid1(VALU_DEP_1)
	v_mul_hi_u32 v3, v8, v3
	v_mul_lo_u32 v5, v3, s30
	v_add_nc_u32_e32 v7, 1, v3
	s_delay_alu instid0(VALU_DEP_2) | instskip(NEXT) | instid1(VALU_DEP_1)
	v_sub_nc_u32_e32 v5, v8, v5
	v_cmp_le_u32_e32 vcc_lo, s30, v5
	v_subrev_nc_u32_e32 v9, s30, v5
	s_wait_alu 0xfffd
	v_cndmask_b32_e32 v3, v3, v7, vcc_lo
	s_delay_alu instid0(VALU_DEP_1) | instskip(NEXT) | instid1(VALU_DEP_3)
	v_add_nc_u32_e32 v7, 1, v3
	v_cndmask_b32_e32 v5, v5, v9, vcc_lo
	s_delay_alu instid0(VALU_DEP_1) | instskip(SKIP_1) | instid1(VALU_DEP_3)
	v_cmp_le_u32_e32 vcc_lo, s30, v5
	s_wait_alu 0xfffd
	v_cndmask_b32_e32 v10, v3, v7, vcc_lo
.LBB77_24:                              ;   in Loop: Header=BB77_20 Depth=2
	s_wait_alu 0xfffe
	s_or_b32 exec_lo, exec_lo, s2
	s_add_co_i32 s34, s22, -1
	s_mov_b32 s35, s23
	s_add_nc_u64 s[42:43], s[0:1], s[42:43]
	s_wait_alu 0xfffe
	s_lshl_b64 s[40:41], s[34:35], 2
                                        ; implicit-def: $vgpr12_vgpr13
	s_mov_b32 s2, exec_lo
	s_wait_alu 0xfffe
	s_add_nc_u64 s[38:39], s[12:13], s[40:41]
	s_clause 0x2
	s_load_b32 s34, s[38:39], 0x8
	s_load_b32 s19, s[36:37], 0x6c
	s_load_b32 s29, s[42:43], 0x6c
	s_wait_kmcnt 0x0
	s_ashr_i32 s35, s34, 31
	s_wait_alu 0xfffe
	v_or_b32_e32 v3, s35, v11
	s_delay_alu instid0(VALU_DEP_1)
	v_cmpx_ne_u64_e32 0, v[2:3]
	s_xor_b32 s31, exec_lo, s2
	s_cbranch_execz .LBB77_26
; %bb.25:                               ;   in Loop: Header=BB77_20 Depth=2
	s_ashr_i32 s36, s35, 31
	s_mov_b32 s55, s23
	s_wait_alu 0xfffe
	s_mov_b32 s37, s36
	s_mov_b32 s59, s23
	s_wait_alu 0xfffe
	s_add_nc_u64 s[42:43], s[34:35], s[36:37]
	v_ashrrev_i32_e32 v3, 31, v11
	s_wait_alu 0xfffe
	s_xor_b64 s[42:43], s[42:43], s[36:37]
	s_wait_alu 0xfffe
	s_cvt_f32_u32 s2, s42
	s_cvt_f32_u32 s35, s43
	s_sub_nc_u64 s[46:47], 0, s[42:43]
	v_add_co_u32 v5, vcc_lo, v10, v3
	s_wait_alu 0xfffe
	s_fmamk_f32 s2, s35, 0x4f800000, s2
	s_wait_alu 0xfffd
	v_add_co_ci_u32_e64 v7, null, v11, v3, vcc_lo
	v_xor_b32_e32 v5, v5, v3
	s_wait_alu 0xfffe
	v_s_rcp_f32 s2, s2
	s_delay_alu instid0(VALU_DEP_2) | instskip(SKIP_1) | instid1(TRANS32_DEP_1)
	v_xor_b32_e32 v7, v7, v3
	v_xor_b32_e32 v3, s36, v3
	s_mul_f32 s2, s2, 0x5f7ffffc
	s_wait_alu 0xfffe
	s_delay_alu instid0(SALU_CYCLE_2) | instskip(SKIP_1) | instid1(SALU_CYCLE_2)
	s_mul_f32 s35, s2, 0x2f800000
	s_wait_alu 0xfffe
	s_trunc_f32 s35, s35
	s_wait_alu 0xfffe
	s_delay_alu instid0(SALU_CYCLE_2) | instskip(SKIP_2) | instid1(SALU_CYCLE_1)
	s_fmamk_f32 s2, s35, 0xcf800000, s2
	s_cvt_u32_f32 s45, s35
	s_wait_alu 0xfffe
	s_cvt_u32_f32 s44, s2
	s_wait_alu 0xfffe
	s_delay_alu instid0(SALU_CYCLE_2) | instskip(NEXT) | instid1(SALU_CYCLE_1)
	s_mul_u64 s[56:57], s[46:47], s[44:45]
	s_mul_hi_u32 s61, s44, s57
	s_mul_i32 s60, s44, s57
	s_mul_hi_u32 s54, s44, s56
	s_mul_i32 s35, s45, s56
	s_add_nc_u64 s[54:55], s[54:55], s[60:61]
	s_mul_hi_u32 s2, s45, s56
	s_mul_hi_u32 s37, s45, s57
	s_wait_alu 0xfffe
	s_add_co_u32 s35, s54, s35
	s_add_co_ci_u32 s58, s55, s2
	s_mul_i32 s56, s45, s57
	s_add_co_ci_u32 s57, s37, 0
	s_delay_alu instid0(SALU_CYCLE_1)
	s_add_nc_u64 s[54:55], s[58:59], s[56:57]
	s_mov_b32 s57, s23
	s_add_co_u32 s44, s44, s54
	s_cselect_b32 s2, -1, 0
	s_wait_alu 0xfffe
	s_cmp_lg_u32 s2, 0
	s_add_co_ci_u32 s45, s45, s55
	s_mov_b32 s55, s23
	s_wait_alu 0xfffe
	s_mul_u64 s[46:47], s[46:47], s[44:45]
	s_wait_alu 0xfffe
	s_mul_hi_u32 s59, s44, s47
	s_mul_i32 s58, s44, s47
	s_mul_hi_u32 s56, s44, s46
	s_mul_i32 s35, s45, s46
	s_add_nc_u64 s[56:57], s[56:57], s[58:59]
	s_mul_hi_u32 s2, s45, s46
	s_mul_hi_u32 s37, s45, s47
	s_wait_alu 0xfffe
	s_add_co_u32 s35, s56, s35
	s_add_co_ci_u32 s54, s57, s2
	s_mul_i32 s46, s45, s47
	s_add_co_ci_u32 s47, s37, 0
	s_wait_alu 0xfffe
	s_add_nc_u64 s[46:47], s[54:55], s[46:47]
	s_wait_alu 0xfffe
	s_add_co_u32 s2, s44, s46
	s_cselect_b32 s35, -1, 0
	s_wait_alu 0xfffe
	v_mul_hi_u32 v9, v5, s2
	s_cmp_lg_u32 s35, 0
	v_mad_co_u64_u32 v[13:14], null, v7, s2, 0
	s_add_co_ci_u32 s35, s45, s47
	s_wait_alu 0xfffe
	v_mad_co_u64_u32 v[11:12], null, v5, s35, 0
	v_mad_co_u64_u32 v[15:16], null, v7, s35, 0
	s_delay_alu instid0(VALU_DEP_2) | instskip(SKIP_1) | instid1(VALU_DEP_3)
	v_add_co_u32 v9, vcc_lo, v9, v11
	s_wait_alu 0xfffd
	v_add_co_ci_u32_e64 v11, null, 0, v12, vcc_lo
	s_delay_alu instid0(VALU_DEP_2) | instskip(SKIP_1) | instid1(VALU_DEP_2)
	v_add_co_u32 v9, vcc_lo, v9, v13
	s_wait_alu 0xfffd
	v_add_co_ci_u32_e32 v9, vcc_lo, v11, v14, vcc_lo
	s_wait_alu 0xfffd
	v_add_co_ci_u32_e32 v11, vcc_lo, 0, v16, vcc_lo
	s_delay_alu instid0(VALU_DEP_2) | instskip(SKIP_1) | instid1(VALU_DEP_2)
	v_add_co_u32 v9, vcc_lo, v9, v15
	s_wait_alu 0xfffd
	v_add_co_ci_u32_e64 v13, null, 0, v11, vcc_lo
	s_delay_alu instid0(VALU_DEP_2) | instskip(SKIP_1) | instid1(VALU_DEP_3)
	v_mul_lo_u32 v14, s43, v9
	v_mad_co_u64_u32 v[11:12], null, s42, v9, 0
	v_mul_lo_u32 v15, s42, v13
	s_delay_alu instid0(VALU_DEP_2) | instskip(NEXT) | instid1(VALU_DEP_2)
	v_sub_co_u32 v5, vcc_lo, v5, v11
	v_add3_u32 v12, v12, v15, v14
	s_delay_alu instid0(VALU_DEP_1) | instskip(SKIP_2) | instid1(VALU_DEP_2)
	v_sub_nc_u32_e32 v14, v7, v12
	s_wait_alu 0xfffd
	v_sub_co_ci_u32_e64 v7, null, v7, v12, vcc_lo
	v_subrev_co_ci_u32_e64 v11, null, s43, v14, vcc_lo
	v_add_co_u32 v14, s2, v9, 2
	s_wait_alu 0xf1ff
	v_add_co_ci_u32_e64 v15, null, 0, v13, s2
	v_sub_co_u32 v16, s2, v5, s42
	s_wait_alu 0xf1ff
	v_subrev_co_ci_u32_e64 v11, null, 0, v11, s2
	s_delay_alu instid0(VALU_DEP_2) | instskip(SKIP_2) | instid1(VALU_DEP_3)
	v_cmp_le_u32_e32 vcc_lo, s42, v16
	s_wait_alu 0xfffd
	v_cndmask_b32_e64 v12, 0, -1, vcc_lo
	v_cmp_le_u32_e32 vcc_lo, s43, v11
	s_wait_alu 0xfffd
	v_cndmask_b32_e64 v16, 0, -1, vcc_lo
	v_cmp_le_u32_e32 vcc_lo, s42, v5
	s_wait_alu 0xfffd
	v_cndmask_b32_e64 v5, 0, -1, vcc_lo
	v_cmp_le_u32_e32 vcc_lo, s43, v7
	s_wait_alu 0xfffd
	v_cndmask_b32_e64 v17, 0, -1, vcc_lo
	v_cmp_eq_u32_e32 vcc_lo, s43, v11
	s_wait_alu 0xfffd
	v_cndmask_b32_e32 v11, v16, v12, vcc_lo
	v_add_co_u32 v12, vcc_lo, v9, 1
	s_wait_alu 0xfffd
	v_add_co_ci_u32_e64 v16, null, 0, v13, vcc_lo
	v_cmp_eq_u32_e32 vcc_lo, s43, v7
	s_wait_alu 0xfffd
	v_cndmask_b32_e32 v5, v17, v5, vcc_lo
	v_cmp_ne_u32_e32 vcc_lo, 0, v11
	s_delay_alu instid0(VALU_DEP_2) | instskip(SKIP_4) | instid1(VALU_DEP_2)
	v_cmp_ne_u32_e64 s2, 0, v5
	s_wait_alu 0xfffd
	v_cndmask_b32_e32 v5, v12, v14, vcc_lo
	v_cndmask_b32_e32 v7, v16, v15, vcc_lo
	s_wait_alu 0xf1ff
	v_cndmask_b32_e64 v5, v9, v5, s2
	s_delay_alu instid0(VALU_DEP_2) | instskip(NEXT) | instid1(VALU_DEP_2)
	v_cndmask_b32_e64 v7, v13, v7, s2
	v_xor_b32_e32 v5, v5, v3
	s_delay_alu instid0(VALU_DEP_2) | instskip(NEXT) | instid1(VALU_DEP_2)
	v_xor_b32_e32 v7, v7, v3
	v_sub_co_u32 v12, vcc_lo, v5, v3
	s_wait_alu 0xfffd
	s_delay_alu instid0(VALU_DEP_2)
	v_sub_co_ci_u32_e64 v13, null, v7, v3, vcc_lo
.LBB77_26:                              ;   in Loop: Header=BB77_20 Depth=2
	s_wait_alu 0xfffe
	s_and_not1_saveexec_b32 s2, s31
	s_cbranch_execz .LBB77_28
; %bb.27:                               ;   in Loop: Header=BB77_20 Depth=2
	v_cvt_f32_u32_e32 v3, s34
	s_sub_co_i32 s31, 0, s34
	v_mov_b32_e32 v13, v2
	s_delay_alu instid0(VALU_DEP_2) | instskip(NEXT) | instid1(TRANS32_DEP_1)
	v_rcp_iflag_f32_e32 v3, v3
	v_mul_f32_e32 v3, 0x4f7ffffe, v3
	s_delay_alu instid0(VALU_DEP_1) | instskip(SKIP_1) | instid1(VALU_DEP_1)
	v_cvt_u32_f32_e32 v3, v3
	s_wait_alu 0xfffe
	v_mul_lo_u32 v5, s31, v3
	s_delay_alu instid0(VALU_DEP_1) | instskip(NEXT) | instid1(VALU_DEP_1)
	v_mul_hi_u32 v5, v3, v5
	v_add_nc_u32_e32 v3, v3, v5
	s_delay_alu instid0(VALU_DEP_1) | instskip(NEXT) | instid1(VALU_DEP_1)
	v_mul_hi_u32 v3, v10, v3
	v_mul_lo_u32 v5, v3, s34
	v_add_nc_u32_e32 v7, 1, v3
	s_delay_alu instid0(VALU_DEP_2) | instskip(NEXT) | instid1(VALU_DEP_1)
	v_sub_nc_u32_e32 v5, v10, v5
	v_cmp_le_u32_e32 vcc_lo, s34, v5
	v_subrev_nc_u32_e32 v9, s34, v5
	s_wait_alu 0xfffd
	v_cndmask_b32_e32 v3, v3, v7, vcc_lo
	s_delay_alu instid0(VALU_DEP_1) | instskip(NEXT) | instid1(VALU_DEP_3)
	v_add_nc_u32_e32 v7, 1, v3
	v_cndmask_b32_e32 v5, v5, v9, vcc_lo
	s_delay_alu instid0(VALU_DEP_1) | instskip(SKIP_1) | instid1(VALU_DEP_3)
	v_cmp_le_u32_e32 vcc_lo, s34, v5
	s_wait_alu 0xfffd
	v_cndmask_b32_e32 v12, v3, v7, vcc_lo
.LBB77_28:                              ;   in Loop: Header=BB77_20 Depth=2
	s_wait_alu 0xfffe
	s_or_b32 exec_lo, exec_lo, s2
	s_add_co_i32 s36, s22, -2
	s_mov_b32 s37, s23
	s_add_nc_u64 s[40:41], s[0:1], s[40:41]
	s_wait_alu 0xfffe
	s_lshl_b64 s[46:47], s[36:37], 2
                                        ; implicit-def: $vgpr14_vgpr15
	s_mov_b32 s2, exec_lo
	s_wait_alu 0xfffe
	s_add_nc_u64 s[44:45], s[12:13], s[46:47]
	s_clause 0x2
	s_load_b32 s36, s[44:45], 0x8
	s_load_b32 s31, s[38:39], 0x6c
	;; [unrolled: 1-line block ×3, first 2 shown]
	s_wait_kmcnt 0x0
	s_ashr_i32 s37, s36, 31
	s_wait_alu 0xfffe
	v_or_b32_e32 v3, s37, v13
	s_delay_alu instid0(VALU_DEP_1)
	v_cmpx_ne_u64_e32 0, v[2:3]
	s_xor_b32 s42, exec_lo, s2
	s_cbranch_execz .LBB77_30
; %bb.29:                               ;   in Loop: Header=BB77_20 Depth=2
	s_ashr_i32 s38, s37, 31
	s_mov_b32 s59, s23
	s_wait_alu 0xfffe
	s_mov_b32 s39, s38
	s_mov_b32 s63, s23
	s_wait_alu 0xfffe
	s_add_nc_u64 s[40:41], s[36:37], s[38:39]
	v_ashrrev_i32_e32 v3, 31, v13
	s_wait_alu 0xfffe
	s_xor_b64 s[40:41], s[40:41], s[38:39]
	s_wait_alu 0xfffe
	s_cvt_f32_u32 s2, s40
	s_cvt_f32_u32 s37, s41
	s_sub_nc_u64 s[56:57], 0, s[40:41]
	v_add_co_u32 v5, vcc_lo, v12, v3
	s_wait_alu 0xfffe
	s_fmamk_f32 s2, s37, 0x4f800000, s2
	s_wait_alu 0xfffd
	v_add_co_ci_u32_e64 v7, null, v13, v3, vcc_lo
	v_xor_b32_e32 v5, v5, v3
	s_wait_alu 0xfffe
	v_s_rcp_f32 s2, s2
	s_delay_alu instid0(VALU_DEP_2) | instskip(SKIP_1) | instid1(TRANS32_DEP_1)
	v_xor_b32_e32 v7, v7, v3
	v_xor_b32_e32 v3, s38, v3
	s_mul_f32 s2, s2, 0x5f7ffffc
	s_wait_alu 0xfffe
	s_delay_alu instid0(SALU_CYCLE_2) | instskip(SKIP_1) | instid1(SALU_CYCLE_2)
	s_mul_f32 s37, s2, 0x2f800000
	s_wait_alu 0xfffe
	s_trunc_f32 s37, s37
	s_wait_alu 0xfffe
	s_delay_alu instid0(SALU_CYCLE_2) | instskip(SKIP_2) | instid1(SALU_CYCLE_1)
	s_fmamk_f32 s2, s37, 0xcf800000, s2
	s_cvt_u32_f32 s55, s37
	s_wait_alu 0xfffe
	s_cvt_u32_f32 s54, s2
	s_delay_alu instid0(SALU_CYCLE_3) | instskip(NEXT) | instid1(SALU_CYCLE_1)
	s_mul_u64 s[60:61], s[56:57], s[54:55]
	s_mul_hi_u32 s65, s54, s61
	s_mul_i32 s64, s54, s61
	s_mul_hi_u32 s58, s54, s60
	s_mul_i32 s37, s55, s60
	s_add_nc_u64 s[58:59], s[58:59], s[64:65]
	s_mul_hi_u32 s2, s55, s60
	s_mul_hi_u32 s39, s55, s61
	s_wait_alu 0xfffe
	s_add_co_u32 s37, s58, s37
	s_add_co_ci_u32 s62, s59, s2
	s_mul_i32 s60, s55, s61
	s_add_co_ci_u32 s61, s39, 0
	s_delay_alu instid0(SALU_CYCLE_1)
	s_add_nc_u64 s[58:59], s[62:63], s[60:61]
	s_mov_b32 s61, s23
	s_add_co_u32 s54, s54, s58
	s_cselect_b32 s2, -1, 0
	s_wait_alu 0xfffe
	s_cmp_lg_u32 s2, 0
	s_add_co_ci_u32 s55, s55, s59
	s_mov_b32 s59, s23
	s_mul_u64 s[56:57], s[56:57], s[54:55]
	s_delay_alu instid0(SALU_CYCLE_1)
	s_mul_hi_u32 s63, s54, s57
	s_mul_i32 s62, s54, s57
	s_mul_hi_u32 s60, s54, s56
	s_mul_i32 s37, s55, s56
	s_add_nc_u64 s[60:61], s[60:61], s[62:63]
	s_mul_hi_u32 s2, s55, s56
	s_mul_hi_u32 s39, s55, s57
	s_wait_alu 0xfffe
	s_add_co_u32 s37, s60, s37
	s_add_co_ci_u32 s58, s61, s2
	s_mul_i32 s56, s55, s57
	s_add_co_ci_u32 s57, s39, 0
	s_delay_alu instid0(SALU_CYCLE_1) | instskip(NEXT) | instid1(SALU_CYCLE_1)
	s_add_nc_u64 s[56:57], s[58:59], s[56:57]
	s_add_co_u32 s2, s54, s56
	s_cselect_b32 s37, -1, 0
	s_wait_alu 0xfffe
	v_mul_hi_u32 v9, v5, s2
	s_cmp_lg_u32 s37, 0
	v_mad_co_u64_u32 v[15:16], null, v7, s2, 0
	s_add_co_ci_u32 s37, s55, s57
	s_wait_alu 0xfffe
	v_mad_co_u64_u32 v[13:14], null, v5, s37, 0
	v_mad_co_u64_u32 v[22:23], null, v7, s37, 0
	s_delay_alu instid0(VALU_DEP_2) | instskip(SKIP_1) | instid1(VALU_DEP_3)
	v_add_co_u32 v9, vcc_lo, v9, v13
	s_wait_alu 0xfffd
	v_add_co_ci_u32_e64 v11, null, 0, v14, vcc_lo
	s_delay_alu instid0(VALU_DEP_2) | instskip(SKIP_1) | instid1(VALU_DEP_2)
	v_add_co_u32 v9, vcc_lo, v9, v15
	s_wait_alu 0xfffd
	v_add_co_ci_u32_e32 v9, vcc_lo, v11, v16, vcc_lo
	s_wait_alu 0xfffd
	v_add_co_ci_u32_e32 v11, vcc_lo, 0, v23, vcc_lo
	s_delay_alu instid0(VALU_DEP_2) | instskip(SKIP_1) | instid1(VALU_DEP_2)
	v_add_co_u32 v9, vcc_lo, v9, v22
	s_wait_alu 0xfffd
	v_add_co_ci_u32_e64 v11, null, 0, v11, vcc_lo
	s_delay_alu instid0(VALU_DEP_2) | instskip(SKIP_1) | instid1(VALU_DEP_3)
	v_mul_lo_u32 v15, s41, v9
	v_mad_co_u64_u32 v[13:14], null, s40, v9, 0
	v_mul_lo_u32 v16, s40, v11
	s_delay_alu instid0(VALU_DEP_2) | instskip(NEXT) | instid1(VALU_DEP_2)
	v_sub_co_u32 v5, vcc_lo, v5, v13
	v_add3_u32 v14, v14, v16, v15
	s_delay_alu instid0(VALU_DEP_1) | instskip(SKIP_2) | instid1(VALU_DEP_2)
	v_sub_nc_u32_e32 v15, v7, v14
	s_wait_alu 0xfffd
	v_sub_co_ci_u32_e64 v7, null, v7, v14, vcc_lo
	v_subrev_co_ci_u32_e64 v13, null, s41, v15, vcc_lo
	v_add_co_u32 v15, s2, v9, 2
	s_wait_alu 0xf1ff
	v_add_co_ci_u32_e64 v16, null, 0, v11, s2
	v_sub_co_u32 v17, s2, v5, s40
	s_wait_alu 0xf1ff
	v_subrev_co_ci_u32_e64 v13, null, 0, v13, s2
	s_delay_alu instid0(VALU_DEP_2) | instskip(SKIP_2) | instid1(VALU_DEP_3)
	v_cmp_le_u32_e32 vcc_lo, s40, v17
	s_wait_alu 0xfffd
	v_cndmask_b32_e64 v14, 0, -1, vcc_lo
	v_cmp_le_u32_e32 vcc_lo, s41, v13
	s_wait_alu 0xfffd
	v_cndmask_b32_e64 v17, 0, -1, vcc_lo
	;; [unrolled: 3-line block ×4, first 2 shown]
	v_cmp_eq_u32_e32 vcc_lo, s41, v13
	s_wait_alu 0xfffd
	v_cndmask_b32_e32 v13, v17, v14, vcc_lo
	v_add_co_u32 v14, vcc_lo, v9, 1
	s_wait_alu 0xfffd
	v_add_co_ci_u32_e64 v17, null, 0, v11, vcc_lo
	v_cmp_eq_u32_e32 vcc_lo, s41, v7
	s_wait_alu 0xfffd
	v_cndmask_b32_e32 v5, v22, v5, vcc_lo
	v_cmp_ne_u32_e32 vcc_lo, 0, v13
	s_delay_alu instid0(VALU_DEP_2) | instskip(SKIP_4) | instid1(VALU_DEP_2)
	v_cmp_ne_u32_e64 s2, 0, v5
	s_wait_alu 0xfffd
	v_cndmask_b32_e32 v5, v14, v15, vcc_lo
	v_cndmask_b32_e32 v7, v17, v16, vcc_lo
	s_wait_alu 0xf1ff
	v_cndmask_b32_e64 v5, v9, v5, s2
	s_delay_alu instid0(VALU_DEP_2) | instskip(NEXT) | instid1(VALU_DEP_2)
	v_cndmask_b32_e64 v7, v11, v7, s2
	v_xor_b32_e32 v5, v5, v3
	s_delay_alu instid0(VALU_DEP_2) | instskip(NEXT) | instid1(VALU_DEP_2)
	v_xor_b32_e32 v7, v7, v3
	v_sub_co_u32 v14, vcc_lo, v5, v3
	s_wait_alu 0xfffd
	s_delay_alu instid0(VALU_DEP_2)
	v_sub_co_ci_u32_e64 v15, null, v7, v3, vcc_lo
.LBB77_30:                              ;   in Loop: Header=BB77_20 Depth=2
	s_wait_alu 0xfffe
	s_and_not1_saveexec_b32 s2, s42
	s_cbranch_execz .LBB77_32
; %bb.31:                               ;   in Loop: Header=BB77_20 Depth=2
	v_cvt_f32_u32_e32 v3, s36
	s_sub_co_i32 s37, 0, s36
	v_mov_b32_e32 v15, v2
	s_delay_alu instid0(VALU_DEP_2) | instskip(NEXT) | instid1(TRANS32_DEP_1)
	v_rcp_iflag_f32_e32 v3, v3
	v_mul_f32_e32 v3, 0x4f7ffffe, v3
	s_delay_alu instid0(VALU_DEP_1) | instskip(SKIP_1) | instid1(VALU_DEP_1)
	v_cvt_u32_f32_e32 v3, v3
	s_wait_alu 0xfffe
	v_mul_lo_u32 v5, s37, v3
	s_delay_alu instid0(VALU_DEP_1) | instskip(NEXT) | instid1(VALU_DEP_1)
	v_mul_hi_u32 v5, v3, v5
	v_add_nc_u32_e32 v3, v3, v5
	s_delay_alu instid0(VALU_DEP_1) | instskip(NEXT) | instid1(VALU_DEP_1)
	v_mul_hi_u32 v3, v12, v3
	v_mul_lo_u32 v5, v3, s36
	v_add_nc_u32_e32 v7, 1, v3
	s_delay_alu instid0(VALU_DEP_2) | instskip(NEXT) | instid1(VALU_DEP_1)
	v_sub_nc_u32_e32 v5, v12, v5
	v_cmp_le_u32_e32 vcc_lo, s36, v5
	v_subrev_nc_u32_e32 v9, s36, v5
	s_wait_alu 0xfffd
	v_cndmask_b32_e32 v3, v3, v7, vcc_lo
	s_delay_alu instid0(VALU_DEP_1) | instskip(NEXT) | instid1(VALU_DEP_3)
	v_add_nc_u32_e32 v7, 1, v3
	v_cndmask_b32_e32 v5, v5, v9, vcc_lo
	s_delay_alu instid0(VALU_DEP_1) | instskip(SKIP_1) | instid1(VALU_DEP_3)
	v_cmp_le_u32_e32 vcc_lo, s36, v5
	s_wait_alu 0xfffd
	v_cndmask_b32_e32 v14, v3, v7, vcc_lo
.LBB77_32:                              ;   in Loop: Header=BB77_20 Depth=2
	s_wait_alu 0xfffe
	s_or_b32 exec_lo, exec_lo, s2
	s_add_co_i32 s38, s22, -3
	s_mov_b32 s39, s23
	s_add_nc_u64 s[46:47], s[0:1], s[46:47]
	s_wait_alu 0xfffe
	s_lshl_b64 s[42:43], s[38:39], 2
                                        ; implicit-def: $vgpr16_vgpr17
	s_mov_b32 s2, exec_lo
	s_wait_alu 0xfffe
	s_add_nc_u64 s[40:41], s[12:13], s[42:43]
	s_clause 0x2
	s_load_b32 s38, s[40:41], 0x8
	s_load_b32 s37, s[44:45], 0x6c
	;; [unrolled: 1-line block ×3, first 2 shown]
	s_wait_kmcnt 0x0
	s_ashr_i32 s39, s38, 31
	s_wait_alu 0xfffe
	v_or_b32_e32 v3, s39, v15
	s_delay_alu instid0(VALU_DEP_1)
	v_cmpx_ne_u64_e32 0, v[2:3]
	s_xor_b32 s54, exec_lo, s2
	s_cbranch_execz .LBB77_34
; %bb.33:                               ;   in Loop: Header=BB77_20 Depth=2
	s_ashr_i32 s44, s39, 31
	s_mov_b32 s61, s23
	s_wait_alu 0xfffe
	s_mov_b32 s45, s44
	s_mov_b32 s65, s23
	s_wait_alu 0xfffe
	s_add_nc_u64 s[46:47], s[38:39], s[44:45]
	v_ashrrev_i32_e32 v3, 31, v15
	s_wait_alu 0xfffe
	s_xor_b64 s[46:47], s[46:47], s[44:45]
	s_wait_alu 0xfffe
	s_cvt_f32_u32 s2, s46
	s_cvt_f32_u32 s39, s47
	s_sub_nc_u64 s[58:59], 0, s[46:47]
	v_add_co_u32 v5, vcc_lo, v14, v3
	s_wait_alu 0xfffe
	s_fmamk_f32 s2, s39, 0x4f800000, s2
	s_wait_alu 0xfffd
	v_add_co_ci_u32_e64 v7, null, v15, v3, vcc_lo
	v_xor_b32_e32 v5, v5, v3
	s_wait_alu 0xfffe
	v_s_rcp_f32 s2, s2
	s_delay_alu instid0(VALU_DEP_2) | instskip(SKIP_1) | instid1(TRANS32_DEP_1)
	v_xor_b32_e32 v7, v7, v3
	v_xor_b32_e32 v3, s44, v3
	s_mul_f32 s2, s2, 0x5f7ffffc
	s_wait_alu 0xfffe
	s_delay_alu instid0(SALU_CYCLE_2) | instskip(SKIP_1) | instid1(SALU_CYCLE_2)
	s_mul_f32 s39, s2, 0x2f800000
	s_wait_alu 0xfffe
	s_trunc_f32 s39, s39
	s_wait_alu 0xfffe
	s_delay_alu instid0(SALU_CYCLE_2) | instskip(SKIP_2) | instid1(SALU_CYCLE_1)
	s_fmamk_f32 s2, s39, 0xcf800000, s2
	s_cvt_u32_f32 s57, s39
	s_wait_alu 0xfffe
	s_cvt_u32_f32 s56, s2
	s_delay_alu instid0(SALU_CYCLE_3) | instskip(NEXT) | instid1(SALU_CYCLE_1)
	s_mul_u64 s[62:63], s[58:59], s[56:57]
	s_mul_hi_u32 s67, s56, s63
	s_mul_i32 s66, s56, s63
	s_mul_hi_u32 s60, s56, s62
	s_mul_i32 s39, s57, s62
	s_add_nc_u64 s[60:61], s[60:61], s[66:67]
	s_mul_hi_u32 s2, s57, s62
	s_mul_hi_u32 s45, s57, s63
	s_wait_alu 0xfffe
	s_add_co_u32 s39, s60, s39
	s_add_co_ci_u32 s64, s61, s2
	s_mul_i32 s62, s57, s63
	s_add_co_ci_u32 s63, s45, 0
	s_delay_alu instid0(SALU_CYCLE_1)
	s_add_nc_u64 s[60:61], s[64:65], s[62:63]
	s_mov_b32 s63, s23
	s_add_co_u32 s56, s56, s60
	s_cselect_b32 s2, -1, 0
	s_wait_alu 0xfffe
	s_cmp_lg_u32 s2, 0
	s_add_co_ci_u32 s57, s57, s61
	s_mov_b32 s61, s23
	s_mul_u64 s[58:59], s[58:59], s[56:57]
	s_delay_alu instid0(SALU_CYCLE_1)
	s_mul_hi_u32 s65, s56, s59
	s_mul_i32 s64, s56, s59
	s_mul_hi_u32 s62, s56, s58
	s_mul_i32 s39, s57, s58
	s_add_nc_u64 s[62:63], s[62:63], s[64:65]
	s_mul_hi_u32 s2, s57, s58
	s_mul_hi_u32 s45, s57, s59
	s_wait_alu 0xfffe
	s_add_co_u32 s39, s62, s39
	s_add_co_ci_u32 s60, s63, s2
	s_mul_i32 s58, s57, s59
	s_add_co_ci_u32 s59, s45, 0
	s_delay_alu instid0(SALU_CYCLE_1) | instskip(NEXT) | instid1(SALU_CYCLE_1)
	s_add_nc_u64 s[58:59], s[60:61], s[58:59]
	s_add_co_u32 s2, s56, s58
	s_cselect_b32 s39, -1, 0
	s_wait_alu 0xfffe
	v_mul_hi_u32 v9, v5, s2
	s_cmp_lg_u32 s39, 0
	v_mad_co_u64_u32 v[22:23], null, v7, s2, 0
	s_add_co_ci_u32 s39, s57, s59
	s_wait_alu 0xfffe
	v_mad_co_u64_u32 v[15:16], null, v5, s39, 0
	v_mad_co_u64_u32 v[24:25], null, v7, s39, 0
	s_delay_alu instid0(VALU_DEP_2) | instskip(SKIP_1) | instid1(VALU_DEP_3)
	v_add_co_u32 v9, vcc_lo, v9, v15
	s_wait_alu 0xfffd
	v_add_co_ci_u32_e64 v11, null, 0, v16, vcc_lo
	s_delay_alu instid0(VALU_DEP_2) | instskip(SKIP_1) | instid1(VALU_DEP_2)
	v_add_co_u32 v9, vcc_lo, v9, v22
	s_wait_alu 0xfffd
	v_add_co_ci_u32_e32 v9, vcc_lo, v11, v23, vcc_lo
	s_wait_alu 0xfffd
	v_add_co_ci_u32_e32 v11, vcc_lo, 0, v25, vcc_lo
	s_delay_alu instid0(VALU_DEP_2) | instskip(SKIP_1) | instid1(VALU_DEP_2)
	v_add_co_u32 v9, vcc_lo, v9, v24
	s_wait_alu 0xfffd
	v_add_co_ci_u32_e64 v11, null, 0, v11, vcc_lo
	s_delay_alu instid0(VALU_DEP_2) | instskip(SKIP_1) | instid1(VALU_DEP_3)
	v_mul_lo_u32 v13, s47, v9
	v_mad_co_u64_u32 v[15:16], null, s46, v9, 0
	v_mul_lo_u32 v17, s46, v11
	s_delay_alu instid0(VALU_DEP_2) | instskip(NEXT) | instid1(VALU_DEP_2)
	v_sub_co_u32 v5, vcc_lo, v5, v15
	v_add3_u32 v13, v16, v17, v13
	s_delay_alu instid0(VALU_DEP_1) | instskip(SKIP_2) | instid1(VALU_DEP_2)
	v_sub_nc_u32_e32 v16, v7, v13
	s_wait_alu 0xfffd
	v_sub_co_ci_u32_e64 v7, null, v7, v13, vcc_lo
	v_subrev_co_ci_u32_e64 v15, null, s47, v16, vcc_lo
	v_add_co_u32 v16, s2, v9, 2
	s_wait_alu 0xf1ff
	v_add_co_ci_u32_e64 v17, null, 0, v11, s2
	v_sub_co_u32 v22, s2, v5, s46
	s_wait_alu 0xf1ff
	v_subrev_co_ci_u32_e64 v15, null, 0, v15, s2
	s_delay_alu instid0(VALU_DEP_2) | instskip(SKIP_2) | instid1(VALU_DEP_3)
	v_cmp_le_u32_e32 vcc_lo, s46, v22
	s_wait_alu 0xfffd
	v_cndmask_b32_e64 v13, 0, -1, vcc_lo
	v_cmp_le_u32_e32 vcc_lo, s47, v15
	s_wait_alu 0xfffd
	v_cndmask_b32_e64 v22, 0, -1, vcc_lo
	;; [unrolled: 3-line block ×4, first 2 shown]
	v_cmp_eq_u32_e32 vcc_lo, s47, v15
	s_wait_alu 0xfffd
	v_cndmask_b32_e32 v13, v22, v13, vcc_lo
	v_add_co_u32 v15, vcc_lo, v9, 1
	s_wait_alu 0xfffd
	v_add_co_ci_u32_e64 v22, null, 0, v11, vcc_lo
	v_cmp_eq_u32_e32 vcc_lo, s47, v7
	s_wait_alu 0xfffd
	v_cndmask_b32_e32 v5, v23, v5, vcc_lo
	v_cmp_ne_u32_e32 vcc_lo, 0, v13
	s_delay_alu instid0(VALU_DEP_2) | instskip(SKIP_4) | instid1(VALU_DEP_2)
	v_cmp_ne_u32_e64 s2, 0, v5
	s_wait_alu 0xfffd
	v_cndmask_b32_e32 v5, v15, v16, vcc_lo
	v_cndmask_b32_e32 v7, v22, v17, vcc_lo
	s_wait_alu 0xf1ff
	v_cndmask_b32_e64 v5, v9, v5, s2
	s_delay_alu instid0(VALU_DEP_2) | instskip(NEXT) | instid1(VALU_DEP_2)
	v_cndmask_b32_e64 v7, v11, v7, s2
	v_xor_b32_e32 v5, v5, v3
	s_delay_alu instid0(VALU_DEP_2) | instskip(NEXT) | instid1(VALU_DEP_2)
	v_xor_b32_e32 v7, v7, v3
	v_sub_co_u32 v16, vcc_lo, v5, v3
	s_wait_alu 0xfffd
	s_delay_alu instid0(VALU_DEP_2)
	v_sub_co_ci_u32_e64 v17, null, v7, v3, vcc_lo
.LBB77_34:                              ;   in Loop: Header=BB77_20 Depth=2
	s_and_not1_saveexec_b32 s2, s54
	s_cbranch_execz .LBB77_36
; %bb.35:                               ;   in Loop: Header=BB77_20 Depth=2
	v_cvt_f32_u32_e32 v3, s38
	s_sub_co_i32 s39, 0, s38
	v_mov_b32_e32 v17, v2
	s_delay_alu instid0(VALU_DEP_2) | instskip(NEXT) | instid1(TRANS32_DEP_1)
	v_rcp_iflag_f32_e32 v3, v3
	v_mul_f32_e32 v3, 0x4f7ffffe, v3
	s_delay_alu instid0(VALU_DEP_1) | instskip(SKIP_1) | instid1(VALU_DEP_1)
	v_cvt_u32_f32_e32 v3, v3
	s_wait_alu 0xfffe
	v_mul_lo_u32 v5, s39, v3
	s_delay_alu instid0(VALU_DEP_1) | instskip(NEXT) | instid1(VALU_DEP_1)
	v_mul_hi_u32 v5, v3, v5
	v_add_nc_u32_e32 v3, v3, v5
	s_delay_alu instid0(VALU_DEP_1) | instskip(NEXT) | instid1(VALU_DEP_1)
	v_mul_hi_u32 v3, v14, v3
	v_mul_lo_u32 v5, v3, s38
	v_add_nc_u32_e32 v7, 1, v3
	s_delay_alu instid0(VALU_DEP_2) | instskip(NEXT) | instid1(VALU_DEP_1)
	v_sub_nc_u32_e32 v5, v14, v5
	v_cmp_le_u32_e32 vcc_lo, s38, v5
	v_subrev_nc_u32_e32 v9, s38, v5
	s_wait_alu 0xfffd
	v_cndmask_b32_e32 v3, v3, v7, vcc_lo
	s_delay_alu instid0(VALU_DEP_1) | instskip(NEXT) | instid1(VALU_DEP_3)
	v_add_nc_u32_e32 v7, 1, v3
	v_cndmask_b32_e32 v5, v5, v9, vcc_lo
	s_delay_alu instid0(VALU_DEP_1) | instskip(SKIP_1) | instid1(VALU_DEP_3)
	v_cmp_le_u32_e32 vcc_lo, s38, v5
	s_wait_alu 0xfffd
	v_cndmask_b32_e32 v16, v3, v7, vcc_lo
.LBB77_36:                              ;   in Loop: Header=BB77_20 Depth=2
	s_wait_alu 0xfffe
	s_or_b32 exec_lo, exec_lo, s2
	s_add_nc_u64 s[42:43], s[0:1], s[42:43]
	v_mul_lo_u32 v3, v10, s30
	s_clause 0x1
	s_load_b32 s2, s[40:41], 0x6c
	s_load_b32 s30, s[42:43], 0x6c
	v_mul_lo_u32 v5, v12, s34
	v_mul_lo_u32 v7, v14, s36
	;; [unrolled: 1-line block ×3, first 2 shown]
	s_add_co_i32 s22, s22, -4
	s_wait_alu 0xfffe
	s_cmp_eq_u32 s22, -1
	v_sub_nc_u32_e32 v3, v8, v3
	s_delay_alu instid0(VALU_DEP_4) | instskip(NEXT) | instid1(VALU_DEP_4)
	v_sub_nc_u32_e32 v5, v10, v5
	v_sub_nc_u32_e32 v7, v12, v7
	s_delay_alu instid0(VALU_DEP_4) | instskip(NEXT) | instid1(VALU_DEP_4)
	v_sub_nc_u32_e32 v8, v14, v9
	v_mul_lo_u32 v9, s19, v3
	v_mul_lo_u32 v3, s29, v3
	;; [unrolled: 1-line block ×6, first 2 shown]
	s_wait_kmcnt 0x0
	v_mul_lo_u32 v12, s2, v8
	v_mul_lo_u32 v8, s30, v8
	v_add3_u32 v6, v9, v6, v10
	v_add3_u32 v3, v3, v4, v5
	s_delay_alu instid0(VALU_DEP_2) | instskip(NEXT) | instid1(VALU_DEP_2)
	v_add3_u32 v6, v11, v6, v12
	v_add3_u32 v4, v7, v3, v8
	s_cbranch_scc1 .LBB77_38
; %bb.37:                               ;   in Loop: Header=BB77_20 Depth=2
	v_dual_mov_b32 v8, v16 :: v_dual_mov_b32 v9, v17
	s_branch .LBB77_20
.LBB77_38:                              ;   in Loop: Header=BB77_3 Depth=1
	v_sub_nc_u32_e32 v5, v20, v21
	s_delay_alu instid0(VALU_DEP_1) | instskip(NEXT) | instid1(VALU_DEP_1)
	v_add_nc_u32_e32 v7, 2, v5
	v_ashrrev_i32_e32 v8, 31, v7
	s_delay_alu instid0(VALU_DEP_1)
	v_cmp_le_i64_e32 vcc_lo, s[4:5], v[7:8]
	v_dual_mov_b32 v7, 0 :: v_dual_mov_b32 v8, 0
	s_and_saveexec_b32 s2, vcc_lo
	s_cbranch_execz .LBB77_44
; %bb.39:                               ;   in Loop: Header=BB77_3 Depth=1
	v_mov_b32_e32 v3, 0
	v_mov_b32_e32 v9, 0
	s_mov_b32 s19, exec_lo
	v_cmpx_gt_i32_e64 s3, v20
	s_cbranch_execz .LBB77_43
; %bb.40:                               ;   in Loop: Header=BB77_3 Depth=1
	v_ashrrev_i32_e32 v7, 31, v6
	v_dual_mov_b32 v9, 0 :: v_dual_add_nc_u32 v8, 1, v20
	s_mov_b32 s22, exec_lo
	s_delay_alu instid0(VALU_DEP_2) | instskip(NEXT) | instid1(VALU_DEP_1)
	v_lshlrev_b64_e32 v[6:7], 2, v[6:7]
	v_add_co_u32 v6, vcc_lo, s10, v6
	s_wait_alu 0xfffd
	s_delay_alu instid0(VALU_DEP_2)
	v_add_co_ci_u32_e64 v7, null, s11, v7, vcc_lo
	global_load_b32 v3, v[6:7], off
	v_cmpx_gt_i32_e64 s3, v8
	s_wait_alu 0xfffe
	s_xor_b32 s22, exec_lo, s22
	s_cbranch_execz .LBB77_42
; %bb.41:                               ;   in Loop: Header=BB77_3 Depth=1
	s_lshl_b64 s[30:31], s[24:25], 2
	s_wait_alu 0xfffe
	v_add_co_u32 v6, vcc_lo, v6, s30
	s_wait_alu 0xfffd
	v_add_co_ci_u32_e64 v7, null, s31, v7, vcc_lo
	global_load_b32 v9, v[6:7], off
.LBB77_42:                              ;   in Loop: Header=BB77_3 Depth=1
	s_wait_alu 0xfffe
	s_or_b32 exec_lo, exec_lo, s22
.LBB77_43:                              ;   in Loop: Header=BB77_3 Depth=1
	s_wait_alu 0xfffe
	s_or_b32 exec_lo, exec_lo, s19
	v_ashrrev_i32_e32 v6, 31, v5
	v_add_nc_u32_e32 v10, 1, v5
	s_delay_alu instid0(VALU_DEP_2) | instskip(NEXT) | instid1(VALU_DEP_2)
	v_cmp_le_i64_e32 vcc_lo, s[4:5], v[5:6]
	v_ashrrev_i32_e32 v11, 31, v10
	s_wait_loadcnt 0x0
	s_wait_alu 0xfffd
	v_cndmask_b32_e32 v8, 0, v3, vcc_lo
	s_delay_alu instid0(VALU_DEP_2)
	v_cmp_le_i64_e32 vcc_lo, s[4:5], v[10:11]
	s_wait_alu 0xfffd
	v_cndmask_b32_e32 v7, 0, v9, vcc_lo
.LBB77_44:                              ;   in Loop: Header=BB77_3 Depth=1
	s_wait_alu 0xfffe
	s_or_b32 exec_lo, exec_lo, s2
	s_delay_alu instid0(SALU_CYCLE_1)
	s_mov_b32 s2, exec_lo
	v_cmpx_gt_i32_e64 s3, v20
	s_cbranch_execz .LBB77_2
; %bb.45:                               ;   in Loop: Header=BB77_3 Depth=1
	v_ashrrev_i32_e32 v5, 31, v4
	s_mov_b32 s19, exec_lo
	s_delay_alu instid0(VALU_DEP_1) | instskip(SKIP_1) | instid1(VALU_DEP_2)
	v_lshlrev_b64_e32 v[3:4], 2, v[4:5]
	v_add_nc_u32_e32 v5, 1, v20
	v_add_co_u32 v3, vcc_lo, s14, v3
	s_wait_alu 0xfffd
	s_delay_alu instid0(VALU_DEP_3)
	v_add_co_ci_u32_e64 v4, null, s15, v4, vcc_lo
	global_store_b32 v[3:4], v8, off
	v_cmpx_gt_i32_e64 s3, v5
	s_wait_alu 0xfffe
	s_xor_b32 s19, exec_lo, s19
	s_cbranch_execz .LBB77_2
; %bb.46:                               ;   in Loop: Header=BB77_3 Depth=1
	s_lshl_b64 s[30:31], s[26:27], 2
	s_wait_alu 0xfffe
	v_add_co_u32 v3, vcc_lo, v3, s30
	s_wait_alu 0xfffd
	v_add_co_ci_u32_e64 v4, null, s31, v4, vcc_lo
	global_store_b32 v[3:4], v7, off
	s_branch .LBB77_2
.LBB77_47:
	s_endpgm
	.section	.rodata,"a",@progbits
	.p2align	6, 0x0
	.amdhsa_kernel _ZN2at6native16triu_tril_kernelIfiLb1ELi2ELb0EEEvNS_4cuda6detail10TensorInfoIT_T0_EENS4_IKS5_S6_EEllS6_
		.amdhsa_group_segment_fixed_size 0
		.amdhsa_private_segment_fixed_size 0
		.amdhsa_kernarg_size 712
		.amdhsa_user_sgpr_count 2
		.amdhsa_user_sgpr_dispatch_ptr 0
		.amdhsa_user_sgpr_queue_ptr 0
		.amdhsa_user_sgpr_kernarg_segment_ptr 1
		.amdhsa_user_sgpr_dispatch_id 0
		.amdhsa_user_sgpr_private_segment_size 0
		.amdhsa_wavefront_size32 1
		.amdhsa_uses_dynamic_stack 0
		.amdhsa_enable_private_segment 0
		.amdhsa_system_sgpr_workgroup_id_x 1
		.amdhsa_system_sgpr_workgroup_id_y 0
		.amdhsa_system_sgpr_workgroup_id_z 0
		.amdhsa_system_sgpr_workgroup_info 0
		.amdhsa_system_vgpr_workitem_id 0
		.amdhsa_next_free_vgpr 26
		.amdhsa_next_free_sgpr 68
		.amdhsa_reserve_vcc 1
		.amdhsa_float_round_mode_32 0
		.amdhsa_float_round_mode_16_64 0
		.amdhsa_float_denorm_mode_32 3
		.amdhsa_float_denorm_mode_16_64 3
		.amdhsa_fp16_overflow 0
		.amdhsa_workgroup_processor_mode 1
		.amdhsa_memory_ordered 1
		.amdhsa_forward_progress 1
		.amdhsa_inst_pref_size 65
		.amdhsa_round_robin_scheduling 0
		.amdhsa_exception_fp_ieee_invalid_op 0
		.amdhsa_exception_fp_denorm_src 0
		.amdhsa_exception_fp_ieee_div_zero 0
		.amdhsa_exception_fp_ieee_overflow 0
		.amdhsa_exception_fp_ieee_underflow 0
		.amdhsa_exception_fp_ieee_inexact 0
		.amdhsa_exception_int_div_zero 0
	.end_amdhsa_kernel
	.section	.text._ZN2at6native16triu_tril_kernelIfiLb1ELi2ELb0EEEvNS_4cuda6detail10TensorInfoIT_T0_EENS4_IKS5_S6_EEllS6_,"axG",@progbits,_ZN2at6native16triu_tril_kernelIfiLb1ELi2ELb0EEEvNS_4cuda6detail10TensorInfoIT_T0_EENS4_IKS5_S6_EEllS6_,comdat
.Lfunc_end77:
	.size	_ZN2at6native16triu_tril_kernelIfiLb1ELi2ELb0EEEvNS_4cuda6detail10TensorInfoIT_T0_EENS4_IKS5_S6_EEllS6_, .Lfunc_end77-_ZN2at6native16triu_tril_kernelIfiLb1ELi2ELb0EEEvNS_4cuda6detail10TensorInfoIT_T0_EENS4_IKS5_S6_EEllS6_
                                        ; -- End function
	.set _ZN2at6native16triu_tril_kernelIfiLb1ELi2ELb0EEEvNS_4cuda6detail10TensorInfoIT_T0_EENS4_IKS5_S6_EEllS6_.num_vgpr, 26
	.set _ZN2at6native16triu_tril_kernelIfiLb1ELi2ELb0EEEvNS_4cuda6detail10TensorInfoIT_T0_EENS4_IKS5_S6_EEllS6_.num_agpr, 0
	.set _ZN2at6native16triu_tril_kernelIfiLb1ELi2ELb0EEEvNS_4cuda6detail10TensorInfoIT_T0_EENS4_IKS5_S6_EEllS6_.numbered_sgpr, 68
	.set _ZN2at6native16triu_tril_kernelIfiLb1ELi2ELb0EEEvNS_4cuda6detail10TensorInfoIT_T0_EENS4_IKS5_S6_EEllS6_.num_named_barrier, 0
	.set _ZN2at6native16triu_tril_kernelIfiLb1ELi2ELb0EEEvNS_4cuda6detail10TensorInfoIT_T0_EENS4_IKS5_S6_EEllS6_.private_seg_size, 0
	.set _ZN2at6native16triu_tril_kernelIfiLb1ELi2ELb0EEEvNS_4cuda6detail10TensorInfoIT_T0_EENS4_IKS5_S6_EEllS6_.uses_vcc, 1
	.set _ZN2at6native16triu_tril_kernelIfiLb1ELi2ELb0EEEvNS_4cuda6detail10TensorInfoIT_T0_EENS4_IKS5_S6_EEllS6_.uses_flat_scratch, 0
	.set _ZN2at6native16triu_tril_kernelIfiLb1ELi2ELb0EEEvNS_4cuda6detail10TensorInfoIT_T0_EENS4_IKS5_S6_EEllS6_.has_dyn_sized_stack, 0
	.set _ZN2at6native16triu_tril_kernelIfiLb1ELi2ELb0EEEvNS_4cuda6detail10TensorInfoIT_T0_EENS4_IKS5_S6_EEllS6_.has_recursion, 0
	.set _ZN2at6native16triu_tril_kernelIfiLb1ELi2ELb0EEEvNS_4cuda6detail10TensorInfoIT_T0_EENS4_IKS5_S6_EEllS6_.has_indirect_call, 0
	.section	.AMDGPU.csdata,"",@progbits
; Kernel info:
; codeLenInByte = 8272
; TotalNumSgprs: 70
; NumVgprs: 26
; ScratchSize: 0
; MemoryBound: 0
; FloatMode: 240
; IeeeMode: 1
; LDSByteSize: 0 bytes/workgroup (compile time only)
; SGPRBlocks: 0
; VGPRBlocks: 3
; NumSGPRsForWavesPerEU: 70
; NumVGPRsForWavesPerEU: 26
; Occupancy: 16
; WaveLimiterHint : 1
; COMPUTE_PGM_RSRC2:SCRATCH_EN: 0
; COMPUTE_PGM_RSRC2:USER_SGPR: 2
; COMPUTE_PGM_RSRC2:TRAP_HANDLER: 0
; COMPUTE_PGM_RSRC2:TGID_X_EN: 1
; COMPUTE_PGM_RSRC2:TGID_Y_EN: 0
; COMPUTE_PGM_RSRC2:TGID_Z_EN: 0
; COMPUTE_PGM_RSRC2:TIDIG_COMP_CNT: 0
	.section	.text._ZN2at6native16triu_tril_kernelIflLb1ELi2ELb1EEEvNS_4cuda6detail10TensorInfoIT_T0_EENS4_IKS5_S6_EEllS6_,"axG",@progbits,_ZN2at6native16triu_tril_kernelIflLb1ELi2ELb1EEEvNS_4cuda6detail10TensorInfoIT_T0_EENS4_IKS5_S6_EEllS6_,comdat
	.protected	_ZN2at6native16triu_tril_kernelIflLb1ELi2ELb1EEEvNS_4cuda6detail10TensorInfoIT_T0_EENS4_IKS5_S6_EEllS6_ ; -- Begin function _ZN2at6native16triu_tril_kernelIflLb1ELi2ELb1EEEvNS_4cuda6detail10TensorInfoIT_T0_EENS4_IKS5_S6_EEllS6_
	.globl	_ZN2at6native16triu_tril_kernelIflLb1ELi2ELb1EEEvNS_4cuda6detail10TensorInfoIT_T0_EENS4_IKS5_S6_EEllS6_
	.p2align	8
	.type	_ZN2at6native16triu_tril_kernelIflLb1ELi2ELb1EEEvNS_4cuda6detail10TensorInfoIT_T0_EENS4_IKS5_S6_EEllS6_,@function
_ZN2at6native16triu_tril_kernelIflLb1ELi2ELb1EEEvNS_4cuda6detail10TensorInfoIT_T0_EENS4_IKS5_S6_EEllS6_: ; @_ZN2at6native16triu_tril_kernelIflLb1ELi2ELb1EEEvNS_4cuda6detail10TensorInfoIT_T0_EENS4_IKS5_S6_EEllS6_
; %bb.0:
	s_clause 0x1
	s_load_b32 s2, s[0:1], 0x364
	s_load_b128 s[4:7], s[0:1], 0x340
	v_mov_b32_e32 v2, 0
	s_mov_b32 s3, exec_lo
	s_delay_alu instid0(VALU_DEP_1)
	v_mov_b32_e32 v1, v2
	s_wait_kmcnt 0x0
	s_and_b32 s2, s2, 0xffff
	s_delay_alu instid0(VALU_DEP_1) | instid1(SALU_CYCLE_1)
	v_mad_co_u64_u32 v[0:1], null, s2, ttmp9, v[0:1]
	s_delay_alu instid0(VALU_DEP_1) | instskip(NEXT) | instid1(VALU_DEP_1)
	v_lshlrev_b64_e32 v[0:1], 1, v[0:1]
	v_cmpx_gt_i64_e64 s[6:7], v[0:1]
	s_cbranch_execz .LBB78_41
; %bb.1:
	s_load_b32 s22, s[0:1], 0x338
	s_add_nc_u64 s[12:13], s[0:1], 0x358
	s_clause 0x1
	s_load_b64 s[8:9], s[0:1], 0x350
	s_load_b64 s[10:11], s[0:1], 0x0
	s_add_nc_u64 s[28:29], s[0:1], 0x1a0
	s_load_b32 s3, s[12:13], 0x0
	s_movk_i32 s18, 0xffe0
	s_add_nc_u64 s[16:17], s[0:1], 0xb8
	s_mov_b32 s19, -1
	s_add_nc_u64 s[34:35], s[0:1], 0x190
	s_mov_b32 s65, 0
	s_wait_kmcnt 0x0
	s_add_co_i32 s14, s22, -2
	v_cvt_f32_u32_e32 v3, s8
	s_ashr_i32 s15, s14, 31
	s_add_co_i32 s20, s22, -3
	s_lshl_b64 s[12:13], s[14:15], 3
	s_ashr_i32 s23, s22, 31
	s_add_nc_u64 s[12:13], s[28:29], s[12:13]
	v_rcp_iflag_f32_e32 v3, v3
	s_load_b64 s[12:13], s[12:13], 0x8
	s_mul_i32 s24, s3, s2
	s_and_b32 s25, s20, 3
	s_lshl_b64 s[2:3], s[22:23], 3
	s_ashr_i32 s21, s20, 31
	s_and_b32 s14, s14, 3
	s_lshl_b32 s62, s24, 1
	s_cmp_lg_u32 s25, 3
	v_cmp_gt_i64_e64 s33, s[22:23], 2
	s_cselect_b32 s63, -1, 0
	s_cmp_gt_u32 s20, 2
	s_wait_alu 0xfffe
	s_add_nc_u64 s[22:23], s[0:1], s[2:3]
	s_add_nc_u64 s[24:25], s[28:29], s[2:3]
	s_cselect_b32 s64, -1, 0
	s_lshl_b64 s[2:3], s[20:21], 3
	s_mov_b32 s15, 0
	s_wait_alu 0xfffe
	s_add_nc_u64 s[30:31], s[0:1], s[2:3]
	s_add_nc_u64 s[2:3], s[28:29], s[2:3]
	s_mov_b64 s[26:27], s[14:15]
	s_add_nc_u64 s[28:29], s[30:31], 0xd0
	s_wait_kmcnt 0x0
	v_cvt_f32_u32_e32 v4, s12
	s_wait_alu 0xfffe
	s_add_nc_u64 s[30:31], s[2:3], 8
	s_ashr_i32 s36, s9, 31
	s_delay_alu instid0(VALU_DEP_1) | instskip(NEXT) | instid1(TRANS32_DEP_1)
	v_rcp_iflag_f32_e32 v4, v4
	v_dual_mul_f32 v3, 0x4f7ffffe, v3 :: v_dual_mul_f32 v4, 0x4f7ffffe, v4
	s_delay_alu instid0(VALU_DEP_1) | instskip(NEXT) | instid1(VALU_DEP_2)
	v_cvt_u32_f32_e32 v18, v3
	v_cvt_u32_f32_e32 v19, v4
	s_branch .LBB78_3
.LBB78_2:                               ;   in Loop: Header=BB78_3 Depth=1
	s_wait_alu 0xfffe
	s_or_b32 exec_lo, exec_lo, s37
	v_add_co_u32 v0, vcc_lo, v0, s62
	s_wait_alu 0xfffd
	v_add_co_ci_u32_e64 v1, null, 0, v1, vcc_lo
	s_delay_alu instid0(VALU_DEP_1) | instskip(SKIP_1) | instid1(SALU_CYCLE_1)
	v_cmp_le_i64_e32 vcc_lo, s[6:7], v[0:1]
	s_or_b32 s65, vcc_lo, s65
	s_and_not1_b32 exec_lo, exec_lo, s65
	s_cbranch_execz .LBB78_41
.LBB78_3:                               ; =>This Loop Header: Depth=1
                                        ;     Child Loop BB78_17 Depth 2
                                        ;     Child Loop BB78_22 Depth 2
	v_or_b32_e32 v3, s9, v1
                                        ; implicit-def: $vgpr6_vgpr7
	s_mov_b32 s0, exec_lo
	s_delay_alu instid0(VALU_DEP_1)
	v_cmpx_ne_u64_e32 0, v[2:3]
	s_wait_alu 0xfffe
	s_xor_b32 s1, exec_lo, s0
	s_cbranch_execz .LBB78_5
; %bb.4:                                ;   in Loop: Header=BB78_3 Depth=1
	s_mov_b32 s37, s36
	v_ashrrev_i32_e32 v9, 31, v1
	s_wait_alu 0xfffe
	s_add_nc_u64 s[2:3], s[8:9], s[36:37]
	s_wait_alu 0xfffe
	s_xor_b64 s[2:3], s[2:3], s[36:37]
	v_add_co_u32 v3, vcc_lo, v0, v9
	s_wait_alu 0xfffe
	s_cvt_f32_u32 s0, s2
	s_cvt_f32_u32 s14, s3
	s_sub_nc_u64 s[40:41], 0, s[2:3]
	s_wait_alu 0xfffd
	v_add_co_ci_u32_e64 v4, null, v1, v9, vcc_lo
	s_wait_alu 0xfffe
	s_fmamk_f32 s0, s14, 0x4f800000, s0
	v_xor_b32_e32 v10, v3, v9
	s_delay_alu instid0(VALU_DEP_2) | instskip(SKIP_2) | instid1(TRANS32_DEP_1)
	v_xor_b32_e32 v11, v4, v9
	s_wait_alu 0xfffe
	v_s_rcp_f32 s0, s0
	s_mul_f32 s0, s0, 0x5f7ffffc
	s_wait_alu 0xfffe
	s_delay_alu instid0(SALU_CYCLE_2) | instskip(SKIP_1) | instid1(SALU_CYCLE_2)
	s_mul_f32 s14, s0, 0x2f800000
	s_wait_alu 0xfffe
	s_trunc_f32 s14, s14
	s_wait_alu 0xfffe
	s_delay_alu instid0(SALU_CYCLE_2) | instskip(SKIP_2) | instid1(SALU_CYCLE_1)
	s_fmamk_f32 s0, s14, 0xcf800000, s0
	s_cvt_u32_f32 s39, s14
	s_wait_alu 0xfffe
	s_cvt_u32_f32 s38, s0
	s_wait_alu 0xfffe
	s_delay_alu instid0(SALU_CYCLE_2) | instskip(NEXT) | instid1(SALU_CYCLE_1)
	s_mul_u64 s[42:43], s[40:41], s[38:39]
	s_mul_hi_u32 s45, s38, s43
	s_mul_i32 s44, s38, s43
	s_mul_hi_u32 s14, s38, s42
	s_mul_i32 s37, s39, s42
	s_wait_alu 0xfffe
	s_add_nc_u64 s[44:45], s[14:15], s[44:45]
	s_mul_hi_u32 s0, s39, s42
	s_mul_hi_u32 s46, s39, s43
	s_wait_alu 0xfffe
	s_add_co_u32 s14, s44, s37
	s_add_co_ci_u32 s14, s45, s0
	s_mul_i32 s42, s39, s43
	s_add_co_ci_u32 s43, s46, 0
	s_wait_alu 0xfffe
	s_add_nc_u64 s[42:43], s[14:15], s[42:43]
	s_delay_alu instid0(SALU_CYCLE_1)
	s_add_co_u32 s38, s38, s42
	s_cselect_b32 s0, -1, 0
	s_wait_alu 0xfffe
	s_cmp_lg_u32 s0, 0
	s_add_co_ci_u32 s39, s39, s43
	s_wait_alu 0xfffe
	s_mul_u64 s[40:41], s[40:41], s[38:39]
	s_delay_alu instid0(SALU_CYCLE_1)
	s_mul_hi_u32 s43, s38, s41
	s_mul_i32 s42, s38, s41
	s_mul_hi_u32 s14, s38, s40
	s_mul_i32 s37, s39, s40
	s_wait_alu 0xfffe
	s_add_nc_u64 s[42:43], s[14:15], s[42:43]
	s_mul_hi_u32 s0, s39, s40
	s_mul_hi_u32 s44, s39, s41
	s_add_co_u32 s14, s42, s37
	s_wait_alu 0xfffe
	s_add_co_ci_u32 s14, s43, s0
	s_mul_i32 s40, s39, s41
	s_add_co_ci_u32 s41, s44, 0
	s_wait_alu 0xfffe
	s_add_nc_u64 s[40:41], s[14:15], s[40:41]
	s_delay_alu instid0(SALU_CYCLE_1)
	s_add_co_u32 s0, s38, s40
	s_cselect_b32 s14, -1, 0
	s_wait_alu 0xfffe
	v_mul_hi_u32 v12, v10, s0
	s_cmp_lg_u32 s14, 0
	v_mad_co_u64_u32 v[5:6], null, v11, s0, 0
	s_add_co_ci_u32 s14, s39, s41
	s_wait_alu 0xfffe
	v_mad_co_u64_u32 v[3:4], null, v10, s14, 0
	v_mad_co_u64_u32 v[7:8], null, v11, s14, 0
	s_delay_alu instid0(VALU_DEP_2) | instskip(SKIP_1) | instid1(VALU_DEP_3)
	v_add_co_u32 v3, vcc_lo, v12, v3
	s_wait_alu 0xfffd
	v_add_co_ci_u32_e64 v4, null, 0, v4, vcc_lo
	s_delay_alu instid0(VALU_DEP_2) | instskip(SKIP_1) | instid1(VALU_DEP_2)
	v_add_co_u32 v3, vcc_lo, v3, v5
	s_wait_alu 0xfffd
	v_add_co_ci_u32_e32 v3, vcc_lo, v4, v6, vcc_lo
	s_wait_alu 0xfffd
	v_add_co_ci_u32_e32 v4, vcc_lo, 0, v8, vcc_lo
	s_delay_alu instid0(VALU_DEP_2) | instskip(SKIP_1) | instid1(VALU_DEP_2)
	v_add_co_u32 v5, vcc_lo, v3, v7
	s_wait_alu 0xfffd
	v_add_co_ci_u32_e64 v6, null, 0, v4, vcc_lo
	s_delay_alu instid0(VALU_DEP_2) | instskip(SKIP_1) | instid1(VALU_DEP_3)
	v_mul_lo_u32 v7, s3, v5
	v_mad_co_u64_u32 v[3:4], null, s2, v5, 0
	v_mul_lo_u32 v8, s2, v6
	s_delay_alu instid0(VALU_DEP_2) | instskip(NEXT) | instid1(VALU_DEP_2)
	v_sub_co_u32 v3, vcc_lo, v10, v3
	v_add3_u32 v4, v4, v8, v7
	v_add_co_u32 v8, s0, v5, 2
	s_wait_alu 0xf1ff
	v_add_co_ci_u32_e64 v10, null, 0, v6, s0
	s_delay_alu instid0(VALU_DEP_3) | instskip(SKIP_3) | instid1(VALU_DEP_3)
	v_sub_nc_u32_e32 v7, v11, v4
	v_sub_co_u32 v12, s0, v3, s2
	s_wait_alu 0xfffd
	v_sub_co_ci_u32_e64 v4, null, v11, v4, vcc_lo
	v_subrev_co_ci_u32_e64 v7, null, s3, v7, vcc_lo
	s_delay_alu instid0(VALU_DEP_3) | instskip(SKIP_1) | instid1(VALU_DEP_2)
	v_cmp_le_u32_e32 vcc_lo, s2, v12
	s_wait_alu 0xf1ff
	v_subrev_co_ci_u32_e64 v7, null, 0, v7, s0
	s_wait_alu 0xfffd
	v_cndmask_b32_e64 v11, 0, -1, vcc_lo
	s_delay_alu instid0(VALU_DEP_2)
	v_cmp_le_u32_e32 vcc_lo, s3, v7
	s_wait_alu 0xfffd
	v_cndmask_b32_e64 v12, 0, -1, vcc_lo
	v_cmp_le_u32_e32 vcc_lo, s2, v3
	s_wait_alu 0xfffd
	v_cndmask_b32_e64 v3, 0, -1, vcc_lo
	;; [unrolled: 3-line block ×3, first 2 shown]
	v_cmp_eq_u32_e32 vcc_lo, s3, v7
	s_wait_alu 0xfffd
	v_cndmask_b32_e32 v7, v12, v11, vcc_lo
	v_add_co_u32 v11, vcc_lo, v5, 1
	s_wait_alu 0xfffd
	v_add_co_ci_u32_e64 v12, null, 0, v6, vcc_lo
	v_cmp_eq_u32_e32 vcc_lo, s3, v4
	s_wait_alu 0xfffd
	v_cndmask_b32_e32 v3, v13, v3, vcc_lo
	v_cmp_ne_u32_e32 vcc_lo, 0, v7
	v_xor_b32_e32 v7, s36, v9
	s_wait_alu 0xfffd
	v_cndmask_b32_e32 v4, v12, v10, vcc_lo
	v_cmp_ne_u32_e64 s0, 0, v3
	v_cndmask_b32_e32 v3, v11, v8, vcc_lo
	s_wait_alu 0xf1ff
	s_delay_alu instid0(VALU_DEP_2) | instskip(NEXT) | instid1(VALU_DEP_2)
	v_cndmask_b32_e64 v4, v6, v4, s0
	v_cndmask_b32_e64 v3, v5, v3, s0
	s_delay_alu instid0(VALU_DEP_2) | instskip(NEXT) | instid1(VALU_DEP_2)
	v_xor_b32_e32 v4, v4, v7
	v_xor_b32_e32 v3, v3, v7
	s_delay_alu instid0(VALU_DEP_1) | instskip(SKIP_1) | instid1(VALU_DEP_3)
	v_sub_co_u32 v6, vcc_lo, v3, v7
	s_wait_alu 0xfffd
	v_sub_co_ci_u32_e64 v7, null, v4, v7, vcc_lo
.LBB78_5:                               ;   in Loop: Header=BB78_3 Depth=1
	s_wait_alu 0xfffe
	s_and_not1_saveexec_b32 s0, s1
	s_cbranch_execz .LBB78_7
; %bb.6:                                ;   in Loop: Header=BB78_3 Depth=1
	s_sub_co_i32 s1, 0, s8
	v_mov_b32_e32 v7, v2
	s_wait_alu 0xfffe
	v_mul_lo_u32 v3, s1, v18
	s_delay_alu instid0(VALU_DEP_1) | instskip(NEXT) | instid1(VALU_DEP_1)
	v_mul_hi_u32 v3, v18, v3
	v_add_nc_u32_e32 v3, v18, v3
	s_delay_alu instid0(VALU_DEP_1) | instskip(NEXT) | instid1(VALU_DEP_1)
	v_mul_hi_u32 v3, v0, v3
	v_mul_lo_u32 v4, v3, s8
	v_add_nc_u32_e32 v5, 1, v3
	s_delay_alu instid0(VALU_DEP_2) | instskip(NEXT) | instid1(VALU_DEP_1)
	v_sub_nc_u32_e32 v4, v0, v4
	v_subrev_nc_u32_e32 v6, s8, v4
	v_cmp_le_u32_e32 vcc_lo, s8, v4
	s_wait_alu 0xfffd
	s_delay_alu instid0(VALU_DEP_2) | instskip(NEXT) | instid1(VALU_DEP_1)
	v_dual_cndmask_b32 v4, v4, v6 :: v_dual_cndmask_b32 v3, v3, v5
	v_cmp_le_u32_e32 vcc_lo, s8, v4
	s_delay_alu instid0(VALU_DEP_2) | instskip(SKIP_1) | instid1(VALU_DEP_1)
	v_add_nc_u32_e32 v5, 1, v3
	s_wait_alu 0xfffd
	v_cndmask_b32_e32 v6, v3, v5, vcc_lo
.LBB78_7:                               ;   in Loop: Header=BB78_3 Depth=1
	s_wait_alu 0xfffe
	s_or_b32 exec_lo, exec_lo, s0
	v_or_b32_e32 v3, s13, v7
                                        ; implicit-def: $vgpr8_vgpr9
	s_mov_b32 s0, exec_lo
	s_delay_alu instid0(VALU_DEP_1)
	v_cmpx_ne_u64_e32 0, v[2:3]
	s_wait_alu 0xfffe
	s_xor_b32 s1, exec_lo, s0
	s_cbranch_execz .LBB78_9
; %bb.8:                                ;   in Loop: Header=BB78_3 Depth=1
	s_ashr_i32 s2, s13, 31
	v_ashrrev_i32_e32 v5, 31, v7
	s_wait_alu 0xfffe
	s_mov_b32 s3, s2
	s_wait_alu 0xfffe
	s_add_nc_u64 s[38:39], s[12:13], s[2:3]
	v_add_co_u32 v3, vcc_lo, v6, v5
	s_wait_alu 0xfffe
	s_xor_b64 s[38:39], s[38:39], s[2:3]
	s_wait_alu 0xfffd
	v_add_co_ci_u32_e64 v4, null, v7, v5, vcc_lo
	s_wait_alu 0xfffe
	s_cvt_f32_u32 s0, s38
	s_cvt_f32_u32 s3, s39
	s_sub_nc_u64 s[42:43], 0, s[38:39]
	v_xor_b32_e32 v12, v3, v5
	v_xor_b32_e32 v13, v4, v5
	s_wait_alu 0xfffe
	s_fmamk_f32 s0, s3, 0x4f800000, s0
	v_xor_b32_e32 v5, s2, v5
	s_wait_alu 0xfffe
	s_delay_alu instid0(SALU_CYCLE_1) | instskip(NEXT) | instid1(TRANS32_DEP_1)
	v_s_rcp_f32 s0, s0
	s_mul_f32 s0, s0, 0x5f7ffffc
	s_wait_alu 0xfffe
	s_delay_alu instid0(SALU_CYCLE_2) | instskip(SKIP_1) | instid1(SALU_CYCLE_2)
	s_mul_f32 s3, s0, 0x2f800000
	s_wait_alu 0xfffe
	s_trunc_f32 s3, s3
	s_wait_alu 0xfffe
	s_delay_alu instid0(SALU_CYCLE_2) | instskip(SKIP_2) | instid1(SALU_CYCLE_1)
	s_fmamk_f32 s0, s3, 0xcf800000, s0
	s_cvt_u32_f32 s41, s3
	s_wait_alu 0xfffe
	s_cvt_u32_f32 s40, s0
	s_delay_alu instid0(SALU_CYCLE_3)
	s_mul_u64 s[44:45], s[42:43], s[40:41]
	s_wait_alu 0xfffe
	s_mul_hi_u32 s47, s40, s45
	s_mul_i32 s46, s40, s45
	s_mul_hi_u32 s14, s40, s44
	s_mul_i32 s3, s41, s44
	s_wait_alu 0xfffe
	s_add_nc_u64 s[46:47], s[14:15], s[46:47]
	s_mul_hi_u32 s0, s41, s44
	s_mul_hi_u32 s37, s41, s45
	s_wait_alu 0xfffe
	s_add_co_u32 s3, s46, s3
	s_add_co_ci_u32 s14, s47, s0
	s_mul_i32 s44, s41, s45
	s_add_co_ci_u32 s45, s37, 0
	s_wait_alu 0xfffe
	s_add_nc_u64 s[44:45], s[14:15], s[44:45]
	s_wait_alu 0xfffe
	s_add_co_u32 s40, s40, s44
	s_cselect_b32 s0, -1, 0
	s_wait_alu 0xfffe
	s_cmp_lg_u32 s0, 0
	s_add_co_ci_u32 s41, s41, s45
	s_delay_alu instid0(SALU_CYCLE_1) | instskip(NEXT) | instid1(SALU_CYCLE_1)
	s_mul_u64 s[42:43], s[42:43], s[40:41]
	s_mul_hi_u32 s45, s40, s43
	s_mul_i32 s44, s40, s43
	s_mul_hi_u32 s14, s40, s42
	s_mul_i32 s3, s41, s42
	s_wait_alu 0xfffe
	s_add_nc_u64 s[44:45], s[14:15], s[44:45]
	s_mul_hi_u32 s0, s41, s42
	s_mul_hi_u32 s37, s41, s43
	s_wait_alu 0xfffe
	s_add_co_u32 s3, s44, s3
	s_add_co_ci_u32 s14, s45, s0
	s_mul_i32 s42, s41, s43
	s_add_co_ci_u32 s43, s37, 0
	s_wait_alu 0xfffe
	s_add_nc_u64 s[42:43], s[14:15], s[42:43]
	s_delay_alu instid0(SALU_CYCLE_1)
	s_add_co_u32 s0, s40, s42
	s_cselect_b32 s3, -1, 0
	s_wait_alu 0xfffe
	v_mul_hi_u32 v14, v12, s0
	s_cmp_lg_u32 s3, 0
	v_mad_co_u64_u32 v[8:9], null, v13, s0, 0
	s_add_co_ci_u32 s3, s41, s43
	s_wait_alu 0xfffe
	v_mad_co_u64_u32 v[3:4], null, v12, s3, 0
	v_mad_co_u64_u32 v[10:11], null, v13, s3, 0
	s_delay_alu instid0(VALU_DEP_2) | instskip(SKIP_1) | instid1(VALU_DEP_3)
	v_add_co_u32 v3, vcc_lo, v14, v3
	s_wait_alu 0xfffd
	v_add_co_ci_u32_e64 v4, null, 0, v4, vcc_lo
	s_delay_alu instid0(VALU_DEP_2) | instskip(SKIP_1) | instid1(VALU_DEP_2)
	v_add_co_u32 v3, vcc_lo, v3, v8
	s_wait_alu 0xfffd
	v_add_co_ci_u32_e32 v3, vcc_lo, v4, v9, vcc_lo
	s_wait_alu 0xfffd
	v_add_co_ci_u32_e32 v4, vcc_lo, 0, v11, vcc_lo
	s_delay_alu instid0(VALU_DEP_2) | instskip(SKIP_1) | instid1(VALU_DEP_2)
	v_add_co_u32 v8, vcc_lo, v3, v10
	s_wait_alu 0xfffd
	v_add_co_ci_u32_e64 v9, null, 0, v4, vcc_lo
	s_delay_alu instid0(VALU_DEP_2) | instskip(SKIP_1) | instid1(VALU_DEP_3)
	v_mul_lo_u32 v10, s39, v8
	v_mad_co_u64_u32 v[3:4], null, s38, v8, 0
	v_mul_lo_u32 v11, s38, v9
	s_delay_alu instid0(VALU_DEP_2) | instskip(NEXT) | instid1(VALU_DEP_2)
	v_sub_co_u32 v3, vcc_lo, v12, v3
	v_add3_u32 v4, v4, v11, v10
	v_add_co_u32 v11, s0, v8, 2
	s_wait_alu 0xf1ff
	v_add_co_ci_u32_e64 v12, null, 0, v9, s0
	s_delay_alu instid0(VALU_DEP_3) | instskip(SKIP_3) | instid1(VALU_DEP_3)
	v_sub_nc_u32_e32 v10, v13, v4
	v_sub_co_u32 v14, s0, v3, s38
	s_wait_alu 0xfffd
	v_sub_co_ci_u32_e64 v4, null, v13, v4, vcc_lo
	v_subrev_co_ci_u32_e64 v10, null, s39, v10, vcc_lo
	s_delay_alu instid0(VALU_DEP_3) | instskip(SKIP_1) | instid1(VALU_DEP_2)
	v_cmp_le_u32_e32 vcc_lo, s38, v14
	s_wait_alu 0xf1ff
	v_subrev_co_ci_u32_e64 v10, null, 0, v10, s0
	s_wait_alu 0xfffd
	v_cndmask_b32_e64 v13, 0, -1, vcc_lo
	s_delay_alu instid0(VALU_DEP_2)
	v_cmp_le_u32_e32 vcc_lo, s39, v10
	s_wait_alu 0xfffd
	v_cndmask_b32_e64 v14, 0, -1, vcc_lo
	v_cmp_le_u32_e32 vcc_lo, s38, v3
	s_wait_alu 0xfffd
	v_cndmask_b32_e64 v3, 0, -1, vcc_lo
	;; [unrolled: 3-line block ×3, first 2 shown]
	v_cmp_eq_u32_e32 vcc_lo, s39, v10
	s_wait_alu 0xfffd
	v_cndmask_b32_e32 v10, v14, v13, vcc_lo
	v_add_co_u32 v13, vcc_lo, v8, 1
	s_wait_alu 0xfffd
	v_add_co_ci_u32_e64 v14, null, 0, v9, vcc_lo
	v_cmp_eq_u32_e32 vcc_lo, s39, v4
	s_wait_alu 0xfffd
	v_cndmask_b32_e32 v3, v15, v3, vcc_lo
	v_cmp_ne_u32_e32 vcc_lo, 0, v10
	s_delay_alu instid0(VALU_DEP_2) | instskip(SKIP_3) | instid1(VALU_DEP_1)
	v_cmp_ne_u32_e64 s0, 0, v3
	s_wait_alu 0xfffd
	v_dual_cndmask_b32 v4, v14, v12 :: v_dual_cndmask_b32 v3, v13, v11
	s_wait_alu 0xf1ff
	v_cndmask_b32_e64 v4, v9, v4, s0
	s_delay_alu instid0(VALU_DEP_2) | instskip(NEXT) | instid1(VALU_DEP_2)
	v_cndmask_b32_e64 v3, v8, v3, s0
	v_xor_b32_e32 v4, v4, v5
	s_delay_alu instid0(VALU_DEP_2) | instskip(NEXT) | instid1(VALU_DEP_1)
	v_xor_b32_e32 v3, v3, v5
	v_sub_co_u32 v8, vcc_lo, v3, v5
	s_wait_alu 0xfffd
	s_delay_alu instid0(VALU_DEP_3)
	v_sub_co_ci_u32_e64 v9, null, v4, v5, vcc_lo
.LBB78_9:                               ;   in Loop: Header=BB78_3 Depth=1
	s_wait_alu 0xfffe
	s_and_not1_saveexec_b32 s0, s1
	s_cbranch_execz .LBB78_11
; %bb.10:                               ;   in Loop: Header=BB78_3 Depth=1
	s_sub_co_i32 s1, 0, s12
	v_mov_b32_e32 v9, v2
	s_wait_alu 0xfffe
	v_mul_lo_u32 v3, s1, v19
	s_delay_alu instid0(VALU_DEP_1) | instskip(NEXT) | instid1(VALU_DEP_1)
	v_mul_hi_u32 v3, v19, v3
	v_add_nc_u32_e32 v3, v19, v3
	s_delay_alu instid0(VALU_DEP_1) | instskip(NEXT) | instid1(VALU_DEP_1)
	v_mul_hi_u32 v3, v6, v3
	v_mul_lo_u32 v4, v3, s12
	v_add_nc_u32_e32 v5, 1, v3
	s_delay_alu instid0(VALU_DEP_2) | instskip(NEXT) | instid1(VALU_DEP_1)
	v_sub_nc_u32_e32 v4, v6, v4
	v_subrev_nc_u32_e32 v8, s12, v4
	v_cmp_le_u32_e32 vcc_lo, s12, v4
	s_wait_alu 0xfffd
	s_delay_alu instid0(VALU_DEP_2) | instskip(NEXT) | instid1(VALU_DEP_1)
	v_dual_cndmask_b32 v4, v4, v8 :: v_dual_cndmask_b32 v3, v3, v5
	v_cmp_le_u32_e32 vcc_lo, s12, v4
	s_delay_alu instid0(VALU_DEP_2) | instskip(SKIP_1) | instid1(VALU_DEP_1)
	v_add_nc_u32_e32 v5, 1, v3
	s_wait_alu 0xfffd
	v_cndmask_b32_e32 v8, v3, v5, vcc_lo
.LBB78_11:                              ;   in Loop: Header=BB78_3 Depth=1
	s_wait_alu 0xfffe
	s_or_b32 exec_lo, exec_lo, s0
	v_mul_lo_u32 v5, v7, s8
	v_mul_lo_u32 v12, v6, s9
	v_mad_co_u64_u32 v[3:4], null, v6, s8, 0
	v_mul_lo_u32 v13, v9, s12
	v_mul_lo_u32 v14, v8, s13
	v_mad_co_u64_u32 v[10:11], null, v8, s12, 0
	s_mov_b32 s37, exec_lo
	v_add3_u32 v5, v4, v12, v5
	v_sub_co_u32 v4, vcc_lo, v0, v3
	v_add3_u32 v11, v11, v14, v13
	s_wait_alu 0xfffd
	s_delay_alu instid0(VALU_DEP_3) | instskip(SKIP_3) | instid1(VALU_DEP_2)
	v_sub_co_ci_u32_e64 v5, null, v1, v5, vcc_lo
	v_sub_co_u32 v20, vcc_lo, v6, v10
	s_wait_alu 0xfffd
	v_sub_co_ci_u32_e64 v21, null, v7, v11, vcc_lo
	v_sub_co_u32 v6, vcc_lo, v4, v20
	s_wait_alu 0xfffd
	s_delay_alu instid0(VALU_DEP_2) | instskip(NEXT) | instid1(VALU_DEP_1)
	v_sub_co_ci_u32_e64 v7, null, v5, v21, vcc_lo
	v_cmpx_gt_i64_e64 s[4:5], v[6:7]
	s_cbranch_execz .LBB78_2
; %bb.12:                               ;   in Loop: Header=BB78_3 Depth=1
	s_load_b128 s[0:3], s[22:23], 0xc0
	s_and_not1_b32 vcc_lo, exec_lo, s33
	s_wait_kmcnt 0x0
	v_mul_lo_u32 v3, s3, v4
	v_mul_lo_u32 v10, s2, v5
	v_mad_co_u64_u32 v[6:7], null, s2, v4, 0
	s_delay_alu instid0(VALU_DEP_1) | instskip(SKIP_2) | instid1(VALU_DEP_3)
	v_add3_u32 v7, v7, v10, v3
	v_mul_lo_u32 v3, s0, v21
	v_mul_lo_u32 v10, s1, v20
	v_mad_co_u64_u32 v[6:7], null, s0, v20, v[6:7]
	s_delay_alu instid0(VALU_DEP_1)
	v_add3_u32 v7, v10, v7, v3
	s_wait_alu 0xfffe
	s_cbranch_vccnz .LBB78_38
; %bb.13:                               ;   in Loop: Header=BB78_3 Depth=1
	s_mov_b64 s[38:39], s[26:27]
	s_mov_b64 s[40:41], s[30:31]
	s_and_not1_b32 vcc_lo, exec_lo, s63
	s_mov_b64 s[44:45], s[28:29]
	s_mov_b64 s[42:43], s[20:21]
	s_wait_alu 0xfffe
	s_cbranch_vccz .LBB78_17
.LBB78_14:                              ;   in Loop: Header=BB78_3 Depth=1
	s_and_not1_b32 vcc_lo, exec_lo, s64
	s_wait_alu 0xfffe
	s_cbranch_vccnz .LBB78_38
; %bb.15:                               ;   in Loop: Header=BB78_3 Depth=1
	s_lshl_b64 s[0:1], s[42:43], 3
	s_add_nc_u64 s[42:43], s[42:43], 1
	s_wait_alu 0xfffe
	s_add_nc_u64 s[38:39], s[16:17], s[0:1]
	s_add_nc_u64 s[40:41], s[34:35], s[0:1]
	s_branch .LBB78_22
.LBB78_16:                              ;   in Loop: Header=BB78_17 Depth=2
	s_wait_alu 0xfffe
	s_or_b32 exec_lo, exec_lo, s0
	s_load_b64 s[0:1], s[44:45], 0x0
	v_mul_lo_u32 v3, v11, s46
	v_mul_lo_u32 v14, v10, s47
	v_mad_co_u64_u32 v[12:13], null, v10, s46, 0
	s_add_nc_u64 s[38:39], s[38:39], -1
	s_add_nc_u64 s[42:43], s[42:43], -1
	;; [unrolled: 1-line block ×3, first 2 shown]
	s_wait_alu 0xfffe
	s_cmp_lg_u64 s[38:39], 0
	s_add_nc_u64 s[40:41], s[40:41], -8
	v_add3_u32 v3, v13, v14, v3
	v_sub_co_u32 v8, vcc_lo, v8, v12
	s_wait_alu 0xfffd
	s_delay_alu instid0(VALU_DEP_2) | instskip(SKIP_1) | instid1(VALU_DEP_2)
	v_sub_co_ci_u32_e64 v3, null, v9, v3, vcc_lo
	s_wait_kmcnt 0x0
	v_mul_lo_u32 v9, s1, v8
	s_delay_alu instid0(VALU_DEP_2) | instskip(SKIP_1) | instid1(VALU_DEP_1)
	v_mul_lo_u32 v3, s0, v3
	v_mad_co_u64_u32 v[6:7], null, s0, v8, v[6:7]
	v_add3_u32 v7, v9, v7, v3
	v_dual_mov_b32 v8, v10 :: v_dual_mov_b32 v9, v11
	s_cbranch_scc0 .LBB78_14
.LBB78_17:                              ;   Parent Loop BB78_3 Depth=1
                                        ; =>  This Inner Loop Header: Depth=2
	s_load_b64 s[46:47], s[40:41], 0x0
                                        ; implicit-def: $vgpr10_vgpr11
	s_mov_b32 s0, exec_lo
	s_wait_kmcnt 0x0
	v_or_b32_e32 v3, s47, v9
	s_delay_alu instid0(VALU_DEP_1)
	v_cmpx_ne_u64_e32 0, v[2:3]
	s_wait_alu 0xfffe
	s_xor_b32 s1, exec_lo, s0
	s_cbranch_execz .LBB78_19
; %bb.18:                               ;   in Loop: Header=BB78_17 Depth=2
	s_ashr_i32 s48, s47, 31
	v_ashrrev_i32_e32 v3, 31, v9
	s_wait_alu 0xfffe
	s_mov_b32 s49, s48
	s_wait_alu 0xfffe
	s_add_nc_u64 s[50:51], s[46:47], s[48:49]
	v_add_co_u32 v10, vcc_lo, v8, v3
	s_wait_alu 0xfffe
	s_xor_b64 s[50:51], s[50:51], s[48:49]
	s_wait_alu 0xfffd
	v_add_co_ci_u32_e64 v11, null, v9, v3, vcc_lo
	s_wait_alu 0xfffe
	s_cvt_f32_u32 s0, s50
	s_cvt_f32_u32 s14, s51
	s_sub_nc_u64 s[54:55], 0, s[50:51]
	v_xor_b32_e32 v16, v10, v3
	v_xor_b32_e32 v17, v11, v3
	s_wait_alu 0xfffe
	s_fmamk_f32 s0, s14, 0x4f800000, s0
	v_xor_b32_e32 v3, s48, v3
	s_wait_alu 0xfffe
	s_delay_alu instid0(SALU_CYCLE_1) | instskip(NEXT) | instid1(TRANS32_DEP_1)
	v_s_rcp_f32 s0, s0
	s_mul_f32 s0, s0, 0x5f7ffffc
	s_wait_alu 0xfffe
	s_delay_alu instid0(SALU_CYCLE_2) | instskip(SKIP_1) | instid1(SALU_CYCLE_2)
	s_mul_f32 s14, s0, 0x2f800000
	s_wait_alu 0xfffe
	s_trunc_f32 s14, s14
	s_wait_alu 0xfffe
	s_delay_alu instid0(SALU_CYCLE_2) | instskip(SKIP_2) | instid1(SALU_CYCLE_1)
	s_fmamk_f32 s0, s14, 0xcf800000, s0
	s_cvt_u32_f32 s53, s14
	s_wait_alu 0xfffe
	s_cvt_u32_f32 s52, s0
	s_wait_alu 0xfffe
	s_delay_alu instid0(SALU_CYCLE_2)
	s_mul_u64 s[56:57], s[54:55], s[52:53]
	s_wait_alu 0xfffe
	s_mul_hi_u32 s59, s52, s57
	s_mul_i32 s58, s52, s57
	s_mul_hi_u32 s14, s52, s56
	s_mul_i32 s49, s53, s56
	s_wait_alu 0xfffe
	s_add_nc_u64 s[58:59], s[14:15], s[58:59]
	s_mul_hi_u32 s0, s53, s56
	s_mul_hi_u32 s60, s53, s57
	s_wait_alu 0xfffe
	s_add_co_u32 s14, s58, s49
	s_add_co_ci_u32 s14, s59, s0
	s_mul_i32 s56, s53, s57
	s_add_co_ci_u32 s57, s60, 0
	s_wait_alu 0xfffe
	s_add_nc_u64 s[56:57], s[14:15], s[56:57]
	s_wait_alu 0xfffe
	s_add_co_u32 s52, s52, s56
	s_cselect_b32 s0, -1, 0
	s_wait_alu 0xfffe
	s_cmp_lg_u32 s0, 0
	s_add_co_ci_u32 s53, s53, s57
	s_wait_alu 0xfffe
	s_mul_u64 s[54:55], s[54:55], s[52:53]
	s_wait_alu 0xfffe
	s_mul_hi_u32 s57, s52, s55
	s_mul_i32 s56, s52, s55
	s_mul_hi_u32 s14, s52, s54
	s_mul_i32 s49, s53, s54
	s_wait_alu 0xfffe
	s_add_nc_u64 s[56:57], s[14:15], s[56:57]
	s_mul_hi_u32 s0, s53, s54
	s_mul_hi_u32 s58, s53, s55
	s_wait_alu 0xfffe
	s_add_co_u32 s14, s56, s49
	s_add_co_ci_u32 s14, s57, s0
	s_mul_i32 s54, s53, s55
	s_add_co_ci_u32 s55, s58, 0
	s_wait_alu 0xfffe
	s_add_nc_u64 s[54:55], s[14:15], s[54:55]
	s_wait_alu 0xfffe
	s_add_co_u32 s0, s52, s54
	s_cselect_b32 s14, -1, 0
	s_wait_alu 0xfffe
	v_mul_hi_u32 v22, v16, s0
	s_cmp_lg_u32 s14, 0
	v_mad_co_u64_u32 v[12:13], null, v17, s0, 0
	s_add_co_ci_u32 s14, s53, s55
	s_wait_alu 0xfffe
	v_mad_co_u64_u32 v[10:11], null, v16, s14, 0
	v_mad_co_u64_u32 v[14:15], null, v17, s14, 0
	s_delay_alu instid0(VALU_DEP_2) | instskip(SKIP_1) | instid1(VALU_DEP_3)
	v_add_co_u32 v10, vcc_lo, v22, v10
	s_wait_alu 0xfffd
	v_add_co_ci_u32_e64 v11, null, 0, v11, vcc_lo
	s_delay_alu instid0(VALU_DEP_2) | instskip(SKIP_1) | instid1(VALU_DEP_2)
	v_add_co_u32 v10, vcc_lo, v10, v12
	s_wait_alu 0xfffd
	v_add_co_ci_u32_e32 v10, vcc_lo, v11, v13, vcc_lo
	s_wait_alu 0xfffd
	v_add_co_ci_u32_e32 v11, vcc_lo, 0, v15, vcc_lo
	s_delay_alu instid0(VALU_DEP_2) | instskip(SKIP_1) | instid1(VALU_DEP_2)
	v_add_co_u32 v12, vcc_lo, v10, v14
	s_wait_alu 0xfffd
	v_add_co_ci_u32_e64 v13, null, 0, v11, vcc_lo
	s_delay_alu instid0(VALU_DEP_2) | instskip(SKIP_1) | instid1(VALU_DEP_3)
	v_mul_lo_u32 v14, s51, v12
	v_mad_co_u64_u32 v[10:11], null, s50, v12, 0
	v_mul_lo_u32 v15, s50, v13
	s_delay_alu instid0(VALU_DEP_2) | instskip(NEXT) | instid1(VALU_DEP_2)
	v_sub_co_u32 v10, vcc_lo, v16, v10
	v_add3_u32 v11, v11, v15, v14
	v_add_co_u32 v15, s0, v12, 2
	s_wait_alu 0xf1ff
	v_add_co_ci_u32_e64 v16, null, 0, v13, s0
	s_delay_alu instid0(VALU_DEP_3) | instskip(SKIP_3) | instid1(VALU_DEP_3)
	v_sub_nc_u32_e32 v14, v17, v11
	v_sub_co_u32 v22, s0, v10, s50
	s_wait_alu 0xfffd
	v_sub_co_ci_u32_e64 v11, null, v17, v11, vcc_lo
	v_subrev_co_ci_u32_e64 v14, null, s51, v14, vcc_lo
	s_delay_alu instid0(VALU_DEP_3) | instskip(SKIP_1) | instid1(VALU_DEP_2)
	v_cmp_le_u32_e32 vcc_lo, s50, v22
	s_wait_alu 0xf1ff
	v_subrev_co_ci_u32_e64 v14, null, 0, v14, s0
	s_wait_alu 0xfffd
	v_cndmask_b32_e64 v17, 0, -1, vcc_lo
	s_delay_alu instid0(VALU_DEP_2)
	v_cmp_le_u32_e32 vcc_lo, s51, v14
	s_wait_alu 0xfffd
	v_cndmask_b32_e64 v22, 0, -1, vcc_lo
	v_cmp_le_u32_e32 vcc_lo, s50, v10
	s_wait_alu 0xfffd
	v_cndmask_b32_e64 v10, 0, -1, vcc_lo
	;; [unrolled: 3-line block ×3, first 2 shown]
	v_cmp_eq_u32_e32 vcc_lo, s51, v14
	s_wait_alu 0xfffd
	v_cndmask_b32_e32 v14, v22, v17, vcc_lo
	v_add_co_u32 v17, vcc_lo, v12, 1
	s_wait_alu 0xfffd
	v_add_co_ci_u32_e64 v22, null, 0, v13, vcc_lo
	v_cmp_eq_u32_e32 vcc_lo, s51, v11
	s_wait_alu 0xfffd
	v_cndmask_b32_e32 v10, v23, v10, vcc_lo
	v_cmp_ne_u32_e32 vcc_lo, 0, v14
	s_wait_alu 0xfffd
	v_cndmask_b32_e32 v11, v22, v16, vcc_lo
	s_delay_alu instid0(VALU_DEP_3) | instskip(SKIP_2) | instid1(VALU_DEP_2)
	v_cmp_ne_u32_e64 s0, 0, v10
	v_cndmask_b32_e32 v10, v17, v15, vcc_lo
	s_wait_alu 0xf1ff
	v_cndmask_b32_e64 v11, v13, v11, s0
	s_delay_alu instid0(VALU_DEP_2) | instskip(NEXT) | instid1(VALU_DEP_2)
	v_cndmask_b32_e64 v10, v12, v10, s0
	v_xor_b32_e32 v11, v11, v3
	s_delay_alu instid0(VALU_DEP_2) | instskip(NEXT) | instid1(VALU_DEP_1)
	v_xor_b32_e32 v10, v10, v3
	v_sub_co_u32 v10, vcc_lo, v10, v3
	s_wait_alu 0xfffd
	s_delay_alu instid0(VALU_DEP_3)
	v_sub_co_ci_u32_e64 v11, null, v11, v3, vcc_lo
.LBB78_19:                              ;   in Loop: Header=BB78_17 Depth=2
	s_wait_alu 0xfffe
	s_and_not1_saveexec_b32 s0, s1
	s_cbranch_execz .LBB78_16
; %bb.20:                               ;   in Loop: Header=BB78_17 Depth=2
	v_cvt_f32_u32_e32 v3, s46
	s_sub_co_i32 s1, 0, s46
	s_delay_alu instid0(VALU_DEP_1) | instskip(NEXT) | instid1(TRANS32_DEP_1)
	v_rcp_iflag_f32_e32 v3, v3
	v_mul_f32_e32 v3, 0x4f7ffffe, v3
	s_delay_alu instid0(VALU_DEP_1) | instskip(SKIP_1) | instid1(VALU_DEP_1)
	v_cvt_u32_f32_e32 v3, v3
	s_wait_alu 0xfffe
	v_mul_lo_u32 v10, s1, v3
	s_delay_alu instid0(VALU_DEP_1) | instskip(NEXT) | instid1(VALU_DEP_1)
	v_mul_hi_u32 v10, v3, v10
	v_add_nc_u32_e32 v3, v3, v10
	s_delay_alu instid0(VALU_DEP_1) | instskip(NEXT) | instid1(VALU_DEP_1)
	v_mul_hi_u32 v3, v8, v3
	v_mul_lo_u32 v10, v3, s46
	v_add_nc_u32_e32 v11, 1, v3
	s_delay_alu instid0(VALU_DEP_2) | instskip(NEXT) | instid1(VALU_DEP_1)
	v_sub_nc_u32_e32 v10, v8, v10
	v_subrev_nc_u32_e32 v12, s46, v10
	v_cmp_le_u32_e32 vcc_lo, s46, v10
	s_wait_alu 0xfffd
	s_delay_alu instid0(VALU_DEP_2) | instskip(NEXT) | instid1(VALU_DEP_1)
	v_dual_cndmask_b32 v10, v10, v12 :: v_dual_cndmask_b32 v3, v3, v11
	v_cmp_le_u32_e32 vcc_lo, s46, v10
	s_delay_alu instid0(VALU_DEP_2) | instskip(SKIP_1) | instid1(VALU_DEP_1)
	v_add_nc_u32_e32 v11, 1, v3
	s_wait_alu 0xfffd
	v_dual_cndmask_b32 v10, v3, v11 :: v_dual_mov_b32 v11, v2
	s_branch .LBB78_16
.LBB78_21:                              ;   in Loop: Header=BB78_22 Depth=2
	s_wait_alu 0xfffe
	s_or_b32 exec_lo, exec_lo, s0
	v_mul_lo_u32 v3, v11, s44
	v_mul_lo_u32 v26, v10, s45
	v_mad_co_u64_u32 v[22:23], null, v10, s44, 0
	v_mul_lo_u32 v27, v13, s48
	v_mul_lo_u32 v28, v12, s49
	v_mad_co_u64_u32 v[24:25], null, v12, s48, 0
	s_load_b64 s[0:1], s[38:39], 0x0
	s_add_nc_u64 s[42:43], s[42:43], -4
	v_add3_u32 v3, v23, v26, v3
	v_sub_co_u32 v8, vcc_lo, v8, v22
	v_mul_lo_u32 v22, v15, s52
	v_add3_u32 v23, v25, v28, v27
	s_wait_alu 0xfffd
	v_sub_co_ci_u32_e64 v3, null, v9, v3, vcc_lo
	v_mul_lo_u32 v25, s47, v8
	v_mad_co_u64_u32 v[6:7], null, s46, v8, v[6:7]
	s_delay_alu instid0(VALU_DEP_3)
	v_mul_lo_u32 v3, s46, v3
	v_mul_lo_u32 v26, v14, s53
	v_mad_co_u64_u32 v[8:9], null, v14, s52, 0
	v_sub_co_u32 v10, vcc_lo, v10, v24
	s_wait_alu 0xfffd
	v_sub_co_ci_u32_e64 v11, null, v11, v23, vcc_lo
	v_add3_u32 v7, v25, v7, v3
	s_add_nc_u64 s[38:39], s[38:39], s[18:19]
	s_delay_alu instid0(VALU_DEP_4)
	v_add3_u32 v3, v9, v26, v22
	v_mul_lo_u32 v22, s51, v10
	v_mul_lo_u32 v11, s50, v11
	v_mad_co_u64_u32 v[6:7], null, s50, v10, v[6:7]
	v_sub_co_u32 v10, vcc_lo, v12, v8
	s_wait_alu 0xfffd
	v_sub_co_ci_u32_e64 v3, null, v13, v3, vcc_lo
	v_mul_lo_u32 v12, v17, s56
	v_mul_lo_u32 v13, v16, s57
	v_mad_co_u64_u32 v[8:9], null, v16, s56, 0
	v_add3_u32 v7, v22, v7, v11
	v_mul_lo_u32 v3, s54, v3
	s_cmp_eq_u64 s[42:43], 0
	s_add_nc_u64 s[40:41], s[40:41], s[18:19]
	s_delay_alu instid0(VALU_DEP_2) | instskip(SKIP_4) | instid1(VALU_DEP_2)
	v_mad_co_u64_u32 v[6:7], null, s54, v10, v[6:7]
	v_mul_lo_u32 v10, s55, v10
	v_add3_u32 v9, v9, v13, v12
	v_sub_co_u32 v8, vcc_lo, v14, v8
	s_wait_alu 0xfffd
	v_sub_co_ci_u32_e64 v9, null, v15, v9, vcc_lo
	s_delay_alu instid0(VALU_DEP_4) | instskip(SKIP_1) | instid1(VALU_DEP_2)
	v_add3_u32 v7, v10, v7, v3
	s_wait_kmcnt 0x0
	v_mul_lo_u32 v3, s0, v9
	v_mul_lo_u32 v9, s1, v8
	s_delay_alu instid0(VALU_DEP_3) | instskip(NEXT) | instid1(VALU_DEP_1)
	v_mad_co_u64_u32 v[6:7], null, s0, v8, v[6:7]
	v_add3_u32 v7, v9, v7, v3
	v_dual_mov_b32 v8, v16 :: v_dual_mov_b32 v9, v17
	s_cbranch_scc1 .LBB78_38
.LBB78_22:                              ;   Parent Loop BB78_3 Depth=1
                                        ; =>  This Inner Loop Header: Depth=2
	s_load_b64 s[44:45], s[40:41], 0x18
                                        ; implicit-def: $vgpr10_vgpr11
	s_mov_b32 s0, exec_lo
	s_wait_kmcnt 0x0
	v_or_b32_e32 v3, s45, v9
	s_delay_alu instid0(VALU_DEP_1)
	v_cmpx_ne_u64_e32 0, v[2:3]
	s_wait_alu 0xfffe
	s_xor_b32 s1, exec_lo, s0
	s_cbranch_execz .LBB78_24
; %bb.23:                               ;   in Loop: Header=BB78_22 Depth=2
	s_ashr_i32 s46, s45, 31
	v_ashrrev_i32_e32 v3, 31, v9
	s_wait_alu 0xfffe
	s_mov_b32 s47, s46
	s_wait_alu 0xfffe
	s_add_nc_u64 s[48:49], s[44:45], s[46:47]
	v_add_co_u32 v10, vcc_lo, v8, v3
	s_wait_alu 0xfffe
	s_xor_b64 s[48:49], s[48:49], s[46:47]
	s_wait_alu 0xfffd
	v_add_co_ci_u32_e64 v11, null, v9, v3, vcc_lo
	s_wait_alu 0xfffe
	s_cvt_f32_u32 s0, s48
	s_cvt_f32_u32 s14, s49
	s_sub_nc_u64 s[52:53], 0, s[48:49]
	v_xor_b32_e32 v16, v10, v3
	v_xor_b32_e32 v17, v11, v3
	s_wait_alu 0xfffe
	s_fmamk_f32 s0, s14, 0x4f800000, s0
	v_xor_b32_e32 v3, s46, v3
	s_wait_alu 0xfffe
	s_delay_alu instid0(SALU_CYCLE_1) | instskip(NEXT) | instid1(TRANS32_DEP_1)
	v_s_rcp_f32 s0, s0
	s_mul_f32 s0, s0, 0x5f7ffffc
	s_wait_alu 0xfffe
	s_delay_alu instid0(SALU_CYCLE_2) | instskip(SKIP_1) | instid1(SALU_CYCLE_2)
	s_mul_f32 s14, s0, 0x2f800000
	s_wait_alu 0xfffe
	s_trunc_f32 s14, s14
	s_wait_alu 0xfffe
	s_delay_alu instid0(SALU_CYCLE_2) | instskip(SKIP_2) | instid1(SALU_CYCLE_1)
	s_fmamk_f32 s0, s14, 0xcf800000, s0
	s_cvt_u32_f32 s51, s14
	s_wait_alu 0xfffe
	s_cvt_u32_f32 s50, s0
	s_wait_alu 0xfffe
	s_delay_alu instid0(SALU_CYCLE_2)
	s_mul_u64 s[54:55], s[52:53], s[50:51]
	s_wait_alu 0xfffe
	s_mul_hi_u32 s57, s50, s55
	s_mul_i32 s56, s50, s55
	s_mul_hi_u32 s14, s50, s54
	s_mul_i32 s47, s51, s54
	s_wait_alu 0xfffe
	s_add_nc_u64 s[56:57], s[14:15], s[56:57]
	s_mul_hi_u32 s0, s51, s54
	s_mul_hi_u32 s58, s51, s55
	s_wait_alu 0xfffe
	s_add_co_u32 s14, s56, s47
	s_add_co_ci_u32 s14, s57, s0
	s_mul_i32 s54, s51, s55
	s_add_co_ci_u32 s55, s58, 0
	s_wait_alu 0xfffe
	s_add_nc_u64 s[54:55], s[14:15], s[54:55]
	s_wait_alu 0xfffe
	s_add_co_u32 s50, s50, s54
	s_cselect_b32 s0, -1, 0
	s_wait_alu 0xfffe
	s_cmp_lg_u32 s0, 0
	s_add_co_ci_u32 s51, s51, s55
	s_wait_alu 0xfffe
	s_mul_u64 s[52:53], s[52:53], s[50:51]
	s_wait_alu 0xfffe
	s_mul_hi_u32 s55, s50, s53
	s_mul_i32 s54, s50, s53
	s_mul_hi_u32 s14, s50, s52
	s_mul_i32 s47, s51, s52
	s_wait_alu 0xfffe
	s_add_nc_u64 s[54:55], s[14:15], s[54:55]
	s_mul_hi_u32 s0, s51, s52
	s_mul_hi_u32 s56, s51, s53
	s_wait_alu 0xfffe
	s_add_co_u32 s14, s54, s47
	s_add_co_ci_u32 s14, s55, s0
	s_mul_i32 s52, s51, s53
	s_add_co_ci_u32 s53, s56, 0
	s_wait_alu 0xfffe
	s_add_nc_u64 s[52:53], s[14:15], s[52:53]
	s_wait_alu 0xfffe
	s_add_co_u32 s0, s50, s52
	s_cselect_b32 s14, -1, 0
	s_wait_alu 0xfffe
	v_mul_hi_u32 v22, v16, s0
	s_cmp_lg_u32 s14, 0
	v_mad_co_u64_u32 v[12:13], null, v17, s0, 0
	s_add_co_ci_u32 s14, s51, s53
	s_wait_alu 0xfffe
	v_mad_co_u64_u32 v[10:11], null, v16, s14, 0
	v_mad_co_u64_u32 v[14:15], null, v17, s14, 0
	s_delay_alu instid0(VALU_DEP_2) | instskip(SKIP_1) | instid1(VALU_DEP_3)
	v_add_co_u32 v10, vcc_lo, v22, v10
	s_wait_alu 0xfffd
	v_add_co_ci_u32_e64 v11, null, 0, v11, vcc_lo
	s_delay_alu instid0(VALU_DEP_2) | instskip(SKIP_1) | instid1(VALU_DEP_2)
	v_add_co_u32 v10, vcc_lo, v10, v12
	s_wait_alu 0xfffd
	v_add_co_ci_u32_e32 v10, vcc_lo, v11, v13, vcc_lo
	s_wait_alu 0xfffd
	v_add_co_ci_u32_e32 v11, vcc_lo, 0, v15, vcc_lo
	s_delay_alu instid0(VALU_DEP_2) | instskip(SKIP_1) | instid1(VALU_DEP_2)
	v_add_co_u32 v12, vcc_lo, v10, v14
	s_wait_alu 0xfffd
	v_add_co_ci_u32_e64 v13, null, 0, v11, vcc_lo
	s_delay_alu instid0(VALU_DEP_2) | instskip(SKIP_1) | instid1(VALU_DEP_3)
	v_mul_lo_u32 v14, s49, v12
	v_mad_co_u64_u32 v[10:11], null, s48, v12, 0
	v_mul_lo_u32 v15, s48, v13
	s_delay_alu instid0(VALU_DEP_2) | instskip(NEXT) | instid1(VALU_DEP_2)
	v_sub_co_u32 v10, vcc_lo, v16, v10
	v_add3_u32 v11, v11, v15, v14
	v_add_co_u32 v15, s0, v12, 2
	s_wait_alu 0xf1ff
	v_add_co_ci_u32_e64 v16, null, 0, v13, s0
	s_delay_alu instid0(VALU_DEP_3) | instskip(SKIP_3) | instid1(VALU_DEP_3)
	v_sub_nc_u32_e32 v14, v17, v11
	v_sub_co_u32 v22, s0, v10, s48
	s_wait_alu 0xfffd
	v_sub_co_ci_u32_e64 v11, null, v17, v11, vcc_lo
	v_subrev_co_ci_u32_e64 v14, null, s49, v14, vcc_lo
	s_delay_alu instid0(VALU_DEP_3) | instskip(SKIP_1) | instid1(VALU_DEP_2)
	v_cmp_le_u32_e32 vcc_lo, s48, v22
	s_wait_alu 0xf1ff
	v_subrev_co_ci_u32_e64 v14, null, 0, v14, s0
	s_wait_alu 0xfffd
	v_cndmask_b32_e64 v17, 0, -1, vcc_lo
	s_delay_alu instid0(VALU_DEP_2)
	v_cmp_le_u32_e32 vcc_lo, s49, v14
	s_wait_alu 0xfffd
	v_cndmask_b32_e64 v22, 0, -1, vcc_lo
	v_cmp_le_u32_e32 vcc_lo, s48, v10
	s_wait_alu 0xfffd
	v_cndmask_b32_e64 v10, 0, -1, vcc_lo
	v_cmp_le_u32_e32 vcc_lo, s49, v11
	s_wait_alu 0xfffd
	v_cndmask_b32_e64 v23, 0, -1, vcc_lo
	v_cmp_eq_u32_e32 vcc_lo, s49, v14
	s_wait_alu 0xfffd
	v_cndmask_b32_e32 v14, v22, v17, vcc_lo
	v_add_co_u32 v17, vcc_lo, v12, 1
	s_wait_alu 0xfffd
	v_add_co_ci_u32_e64 v22, null, 0, v13, vcc_lo
	v_cmp_eq_u32_e32 vcc_lo, s49, v11
	s_wait_alu 0xfffd
	v_cndmask_b32_e32 v10, v23, v10, vcc_lo
	v_cmp_ne_u32_e32 vcc_lo, 0, v14
	s_wait_alu 0xfffd
	v_cndmask_b32_e32 v11, v22, v16, vcc_lo
	s_delay_alu instid0(VALU_DEP_3) | instskip(SKIP_2) | instid1(VALU_DEP_2)
	v_cmp_ne_u32_e64 s0, 0, v10
	v_cndmask_b32_e32 v10, v17, v15, vcc_lo
	s_wait_alu 0xf1ff
	v_cndmask_b32_e64 v11, v13, v11, s0
	s_delay_alu instid0(VALU_DEP_2) | instskip(NEXT) | instid1(VALU_DEP_2)
	v_cndmask_b32_e64 v10, v12, v10, s0
	v_xor_b32_e32 v11, v11, v3
	s_delay_alu instid0(VALU_DEP_2) | instskip(NEXT) | instid1(VALU_DEP_1)
	v_xor_b32_e32 v10, v10, v3
	v_sub_co_u32 v10, vcc_lo, v10, v3
	s_wait_alu 0xfffd
	s_delay_alu instid0(VALU_DEP_3)
	v_sub_co_ci_u32_e64 v11, null, v11, v3, vcc_lo
.LBB78_24:                              ;   in Loop: Header=BB78_22 Depth=2
	s_wait_alu 0xfffe
	s_and_not1_saveexec_b32 s0, s1
	s_cbranch_execz .LBB78_26
; %bb.25:                               ;   in Loop: Header=BB78_22 Depth=2
	v_cvt_f32_u32_e32 v3, s44
	s_sub_co_i32 s1, 0, s44
	s_delay_alu instid0(VALU_DEP_1) | instskip(NEXT) | instid1(TRANS32_DEP_1)
	v_rcp_iflag_f32_e32 v3, v3
	v_mul_f32_e32 v3, 0x4f7ffffe, v3
	s_delay_alu instid0(VALU_DEP_1) | instskip(SKIP_1) | instid1(VALU_DEP_1)
	v_cvt_u32_f32_e32 v3, v3
	s_wait_alu 0xfffe
	v_mul_lo_u32 v10, s1, v3
	s_delay_alu instid0(VALU_DEP_1) | instskip(NEXT) | instid1(VALU_DEP_1)
	v_mul_hi_u32 v10, v3, v10
	v_add_nc_u32_e32 v3, v3, v10
	s_delay_alu instid0(VALU_DEP_1) | instskip(NEXT) | instid1(VALU_DEP_1)
	v_mul_hi_u32 v3, v8, v3
	v_mul_lo_u32 v10, v3, s44
	v_add_nc_u32_e32 v11, 1, v3
	s_delay_alu instid0(VALU_DEP_2) | instskip(NEXT) | instid1(VALU_DEP_1)
	v_sub_nc_u32_e32 v10, v8, v10
	v_subrev_nc_u32_e32 v12, s44, v10
	v_cmp_le_u32_e32 vcc_lo, s44, v10
	s_wait_alu 0xfffd
	s_delay_alu instid0(VALU_DEP_2) | instskip(NEXT) | instid1(VALU_DEP_1)
	v_dual_cndmask_b32 v10, v10, v12 :: v_dual_cndmask_b32 v3, v3, v11
	v_cmp_le_u32_e32 vcc_lo, s44, v10
	s_delay_alu instid0(VALU_DEP_2) | instskip(SKIP_1) | instid1(VALU_DEP_1)
	v_add_nc_u32_e32 v11, 1, v3
	s_wait_alu 0xfffd
	v_dual_cndmask_b32 v10, v3, v11 :: v_dual_mov_b32 v11, v2
.LBB78_26:                              ;   in Loop: Header=BB78_22 Depth=2
	s_wait_alu 0xfffe
	s_or_b32 exec_lo, exec_lo, s0
	s_load_b64 s[48:49], s[40:41], 0x10
	s_load_b64 s[46:47], s[38:39], 0x18
                                        ; implicit-def: $vgpr12_vgpr13
	s_mov_b32 s0, exec_lo
	s_wait_kmcnt 0x0
	v_or_b32_e32 v3, s49, v11
	s_delay_alu instid0(VALU_DEP_1)
	v_cmpx_ne_u64_e32 0, v[2:3]
	s_wait_alu 0xfffe
	s_xor_b32 s1, exec_lo, s0
	s_cbranch_execz .LBB78_28
; %bb.27:                               ;   in Loop: Header=BB78_22 Depth=2
	s_ashr_i32 s50, s49, 31
	v_ashrrev_i32_e32 v3, 31, v11
	s_wait_alu 0xfffe
	s_mov_b32 s51, s50
	s_wait_alu 0xfffe
	s_add_nc_u64 s[52:53], s[48:49], s[50:51]
	v_add_co_u32 v12, vcc_lo, v10, v3
	s_wait_alu 0xfffe
	s_xor_b64 s[52:53], s[52:53], s[50:51]
	s_wait_alu 0xfffd
	v_add_co_ci_u32_e64 v13, null, v11, v3, vcc_lo
	s_wait_alu 0xfffe
	s_cvt_f32_u32 s0, s52
	s_cvt_f32_u32 s14, s53
	s_sub_nc_u64 s[56:57], 0, s[52:53]
	v_xor_b32_e32 v22, v12, v3
	v_xor_b32_e32 v23, v13, v3
	s_wait_alu 0xfffe
	s_fmamk_f32 s0, s14, 0x4f800000, s0
	v_xor_b32_e32 v3, s50, v3
	s_wait_alu 0xfffe
	s_delay_alu instid0(SALU_CYCLE_1) | instskip(NEXT) | instid1(TRANS32_DEP_1)
	v_s_rcp_f32 s0, s0
	s_mul_f32 s0, s0, 0x5f7ffffc
	s_wait_alu 0xfffe
	s_delay_alu instid0(SALU_CYCLE_2) | instskip(SKIP_1) | instid1(SALU_CYCLE_2)
	s_mul_f32 s14, s0, 0x2f800000
	s_wait_alu 0xfffe
	s_trunc_f32 s14, s14
	s_wait_alu 0xfffe
	s_delay_alu instid0(SALU_CYCLE_2) | instskip(SKIP_2) | instid1(SALU_CYCLE_1)
	s_fmamk_f32 s0, s14, 0xcf800000, s0
	s_cvt_u32_f32 s55, s14
	s_wait_alu 0xfffe
	s_cvt_u32_f32 s54, s0
	s_wait_alu 0xfffe
	s_delay_alu instid0(SALU_CYCLE_2)
	s_mul_u64 s[58:59], s[56:57], s[54:55]
	s_wait_alu 0xfffe
	s_mul_hi_u32 s61, s54, s59
	s_mul_i32 s60, s54, s59
	s_mul_hi_u32 s14, s54, s58
	s_mul_i32 s51, s55, s58
	s_wait_alu 0xfffe
	s_add_nc_u64 s[60:61], s[14:15], s[60:61]
	s_mul_hi_u32 s0, s55, s58
	s_mul_hi_u32 s66, s55, s59
	s_wait_alu 0xfffe
	s_add_co_u32 s14, s60, s51
	s_add_co_ci_u32 s14, s61, s0
	s_mul_i32 s58, s55, s59
	s_add_co_ci_u32 s59, s66, 0
	s_wait_alu 0xfffe
	s_add_nc_u64 s[58:59], s[14:15], s[58:59]
	s_wait_alu 0xfffe
	s_add_co_u32 s54, s54, s58
	s_cselect_b32 s0, -1, 0
	s_wait_alu 0xfffe
	s_cmp_lg_u32 s0, 0
	s_add_co_ci_u32 s55, s55, s59
	s_wait_alu 0xfffe
	s_mul_u64 s[56:57], s[56:57], s[54:55]
	s_wait_alu 0xfffe
	s_mul_hi_u32 s59, s54, s57
	s_mul_i32 s58, s54, s57
	s_mul_hi_u32 s14, s54, s56
	s_mul_i32 s51, s55, s56
	s_wait_alu 0xfffe
	s_add_nc_u64 s[58:59], s[14:15], s[58:59]
	s_mul_hi_u32 s0, s55, s56
	s_mul_hi_u32 s60, s55, s57
	s_wait_alu 0xfffe
	s_add_co_u32 s14, s58, s51
	s_add_co_ci_u32 s14, s59, s0
	s_mul_i32 s56, s55, s57
	s_add_co_ci_u32 s57, s60, 0
	s_wait_alu 0xfffe
	s_add_nc_u64 s[56:57], s[14:15], s[56:57]
	s_wait_alu 0xfffe
	s_add_co_u32 s0, s54, s56
	s_cselect_b32 s14, -1, 0
	s_wait_alu 0xfffe
	v_mul_hi_u32 v24, v22, s0
	s_cmp_lg_u32 s14, 0
	v_mad_co_u64_u32 v[14:15], null, v23, s0, 0
	s_add_co_ci_u32 s14, s55, s57
	s_wait_alu 0xfffe
	v_mad_co_u64_u32 v[12:13], null, v22, s14, 0
	v_mad_co_u64_u32 v[16:17], null, v23, s14, 0
	s_delay_alu instid0(VALU_DEP_2) | instskip(SKIP_1) | instid1(VALU_DEP_3)
	v_add_co_u32 v12, vcc_lo, v24, v12
	s_wait_alu 0xfffd
	v_add_co_ci_u32_e64 v13, null, 0, v13, vcc_lo
	s_delay_alu instid0(VALU_DEP_2) | instskip(SKIP_1) | instid1(VALU_DEP_2)
	v_add_co_u32 v12, vcc_lo, v12, v14
	s_wait_alu 0xfffd
	v_add_co_ci_u32_e32 v12, vcc_lo, v13, v15, vcc_lo
	s_wait_alu 0xfffd
	v_add_co_ci_u32_e32 v13, vcc_lo, 0, v17, vcc_lo
	s_delay_alu instid0(VALU_DEP_2) | instskip(SKIP_1) | instid1(VALU_DEP_2)
	v_add_co_u32 v14, vcc_lo, v12, v16
	s_wait_alu 0xfffd
	v_add_co_ci_u32_e64 v15, null, 0, v13, vcc_lo
	s_delay_alu instid0(VALU_DEP_2) | instskip(SKIP_1) | instid1(VALU_DEP_3)
	v_mul_lo_u32 v16, s53, v14
	v_mad_co_u64_u32 v[12:13], null, s52, v14, 0
	v_mul_lo_u32 v17, s52, v15
	s_delay_alu instid0(VALU_DEP_2) | instskip(NEXT) | instid1(VALU_DEP_2)
	v_sub_co_u32 v12, vcc_lo, v22, v12
	v_add3_u32 v13, v13, v17, v16
	v_add_co_u32 v17, s0, v14, 2
	s_wait_alu 0xf1ff
	v_add_co_ci_u32_e64 v22, null, 0, v15, s0
	s_delay_alu instid0(VALU_DEP_3) | instskip(SKIP_3) | instid1(VALU_DEP_3)
	v_sub_nc_u32_e32 v16, v23, v13
	v_sub_co_u32 v24, s0, v12, s52
	s_wait_alu 0xfffd
	v_sub_co_ci_u32_e64 v13, null, v23, v13, vcc_lo
	v_subrev_co_ci_u32_e64 v16, null, s53, v16, vcc_lo
	s_delay_alu instid0(VALU_DEP_3) | instskip(SKIP_1) | instid1(VALU_DEP_2)
	v_cmp_le_u32_e32 vcc_lo, s52, v24
	s_wait_alu 0xf1ff
	v_subrev_co_ci_u32_e64 v16, null, 0, v16, s0
	s_wait_alu 0xfffd
	v_cndmask_b32_e64 v23, 0, -1, vcc_lo
	s_delay_alu instid0(VALU_DEP_2)
	v_cmp_le_u32_e32 vcc_lo, s53, v16
	s_wait_alu 0xfffd
	v_cndmask_b32_e64 v24, 0, -1, vcc_lo
	v_cmp_le_u32_e32 vcc_lo, s52, v12
	s_wait_alu 0xfffd
	v_cndmask_b32_e64 v12, 0, -1, vcc_lo
	;; [unrolled: 3-line block ×3, first 2 shown]
	v_cmp_eq_u32_e32 vcc_lo, s53, v16
	s_wait_alu 0xfffd
	v_cndmask_b32_e32 v16, v24, v23, vcc_lo
	v_add_co_u32 v23, vcc_lo, v14, 1
	s_wait_alu 0xfffd
	v_add_co_ci_u32_e64 v24, null, 0, v15, vcc_lo
	v_cmp_eq_u32_e32 vcc_lo, s53, v13
	s_wait_alu 0xfffd
	v_cndmask_b32_e32 v12, v25, v12, vcc_lo
	v_cmp_ne_u32_e32 vcc_lo, 0, v16
	s_wait_alu 0xfffd
	v_cndmask_b32_e32 v13, v24, v22, vcc_lo
	s_delay_alu instid0(VALU_DEP_3) | instskip(SKIP_2) | instid1(VALU_DEP_2)
	v_cmp_ne_u32_e64 s0, 0, v12
	v_cndmask_b32_e32 v12, v23, v17, vcc_lo
	s_wait_alu 0xf1ff
	v_cndmask_b32_e64 v13, v15, v13, s0
	s_delay_alu instid0(VALU_DEP_2) | instskip(NEXT) | instid1(VALU_DEP_2)
	v_cndmask_b32_e64 v12, v14, v12, s0
	v_xor_b32_e32 v13, v13, v3
	s_delay_alu instid0(VALU_DEP_2) | instskip(NEXT) | instid1(VALU_DEP_1)
	v_xor_b32_e32 v12, v12, v3
	v_sub_co_u32 v12, vcc_lo, v12, v3
	s_wait_alu 0xfffd
	s_delay_alu instid0(VALU_DEP_3)
	v_sub_co_ci_u32_e64 v13, null, v13, v3, vcc_lo
.LBB78_28:                              ;   in Loop: Header=BB78_22 Depth=2
	s_wait_alu 0xfffe
	s_and_not1_saveexec_b32 s0, s1
	s_cbranch_execz .LBB78_30
; %bb.29:                               ;   in Loop: Header=BB78_22 Depth=2
	v_cvt_f32_u32_e32 v3, s48
	s_sub_co_i32 s1, 0, s48
	s_delay_alu instid0(VALU_DEP_1) | instskip(NEXT) | instid1(TRANS32_DEP_1)
	v_rcp_iflag_f32_e32 v3, v3
	v_mul_f32_e32 v3, 0x4f7ffffe, v3
	s_delay_alu instid0(VALU_DEP_1) | instskip(SKIP_1) | instid1(VALU_DEP_1)
	v_cvt_u32_f32_e32 v3, v3
	s_wait_alu 0xfffe
	v_mul_lo_u32 v12, s1, v3
	s_delay_alu instid0(VALU_DEP_1) | instskip(NEXT) | instid1(VALU_DEP_1)
	v_mul_hi_u32 v12, v3, v12
	v_add_nc_u32_e32 v3, v3, v12
	s_delay_alu instid0(VALU_DEP_1) | instskip(NEXT) | instid1(VALU_DEP_1)
	v_mul_hi_u32 v3, v10, v3
	v_mul_lo_u32 v12, v3, s48
	v_add_nc_u32_e32 v13, 1, v3
	s_delay_alu instid0(VALU_DEP_2) | instskip(NEXT) | instid1(VALU_DEP_1)
	v_sub_nc_u32_e32 v12, v10, v12
	v_subrev_nc_u32_e32 v14, s48, v12
	v_cmp_le_u32_e32 vcc_lo, s48, v12
	s_wait_alu 0xfffd
	s_delay_alu instid0(VALU_DEP_2) | instskip(NEXT) | instid1(VALU_DEP_1)
	v_dual_cndmask_b32 v12, v12, v14 :: v_dual_cndmask_b32 v3, v3, v13
	v_cmp_le_u32_e32 vcc_lo, s48, v12
	s_delay_alu instid0(VALU_DEP_2) | instskip(SKIP_1) | instid1(VALU_DEP_1)
	v_add_nc_u32_e32 v13, 1, v3
	s_wait_alu 0xfffd
	v_dual_cndmask_b32 v12, v3, v13 :: v_dual_mov_b32 v13, v2
.LBB78_30:                              ;   in Loop: Header=BB78_22 Depth=2
	s_wait_alu 0xfffe
	s_or_b32 exec_lo, exec_lo, s0
	s_load_b64 s[52:53], s[40:41], 0x8
	s_load_b64 s[50:51], s[38:39], 0x10
                                        ; implicit-def: $vgpr14_vgpr15
	s_mov_b32 s0, exec_lo
	s_wait_kmcnt 0x0
	v_or_b32_e32 v3, s53, v13
	s_delay_alu instid0(VALU_DEP_1)
	v_cmpx_ne_u64_e32 0, v[2:3]
	s_wait_alu 0xfffe
	s_xor_b32 s1, exec_lo, s0
	s_cbranch_execz .LBB78_32
; %bb.31:                               ;   in Loop: Header=BB78_22 Depth=2
	s_ashr_i32 s54, s53, 31
	v_ashrrev_i32_e32 v3, 31, v13
	s_wait_alu 0xfffe
	s_mov_b32 s55, s54
	s_wait_alu 0xfffe
	s_add_nc_u64 s[56:57], s[52:53], s[54:55]
	v_add_co_u32 v14, vcc_lo, v12, v3
	s_wait_alu 0xfffe
	s_xor_b64 s[56:57], s[56:57], s[54:55]
	s_wait_alu 0xfffd
	v_add_co_ci_u32_e64 v15, null, v13, v3, vcc_lo
	s_wait_alu 0xfffe
	s_cvt_f32_u32 s0, s56
	s_cvt_f32_u32 s14, s57
	s_sub_nc_u64 s[60:61], 0, s[56:57]
	v_xor_b32_e32 v24, v14, v3
	v_xor_b32_e32 v25, v15, v3
	s_wait_alu 0xfffe
	s_fmamk_f32 s0, s14, 0x4f800000, s0
	v_xor_b32_e32 v3, s54, v3
	s_wait_alu 0xfffe
	s_delay_alu instid0(SALU_CYCLE_1) | instskip(NEXT) | instid1(TRANS32_DEP_1)
	v_s_rcp_f32 s0, s0
	s_mul_f32 s0, s0, 0x5f7ffffc
	s_wait_alu 0xfffe
	s_delay_alu instid0(SALU_CYCLE_2) | instskip(SKIP_1) | instid1(SALU_CYCLE_2)
	s_mul_f32 s14, s0, 0x2f800000
	s_wait_alu 0xfffe
	s_trunc_f32 s14, s14
	s_wait_alu 0xfffe
	s_delay_alu instid0(SALU_CYCLE_2) | instskip(SKIP_2) | instid1(SALU_CYCLE_1)
	s_fmamk_f32 s0, s14, 0xcf800000, s0
	s_cvt_u32_f32 s59, s14
	s_wait_alu 0xfffe
	s_cvt_u32_f32 s58, s0
	s_wait_alu 0xfffe
	s_delay_alu instid0(SALU_CYCLE_2) | instskip(NEXT) | instid1(SALU_CYCLE_1)
	s_mul_u64 s[66:67], s[60:61], s[58:59]
	s_mul_hi_u32 s69, s58, s67
	s_mul_i32 s68, s58, s67
	s_mul_hi_u32 s14, s58, s66
	s_mul_i32 s55, s59, s66
	s_wait_alu 0xfffe
	s_add_nc_u64 s[68:69], s[14:15], s[68:69]
	s_mul_hi_u32 s0, s59, s66
	s_mul_hi_u32 s70, s59, s67
	s_add_co_u32 s14, s68, s55
	s_wait_alu 0xfffe
	s_add_co_ci_u32 s14, s69, s0
	s_mul_i32 s66, s59, s67
	s_add_co_ci_u32 s67, s70, 0
	s_wait_alu 0xfffe
	s_add_nc_u64 s[66:67], s[14:15], s[66:67]
	s_delay_alu instid0(SALU_CYCLE_1)
	s_add_co_u32 s58, s58, s66
	s_cselect_b32 s0, -1, 0
	s_wait_alu 0xfffe
	s_cmp_lg_u32 s0, 0
	s_add_co_ci_u32 s59, s59, s67
	s_wait_alu 0xfffe
	s_mul_u64 s[60:61], s[60:61], s[58:59]
	s_wait_alu 0xfffe
	s_mul_hi_u32 s67, s58, s61
	s_mul_i32 s66, s58, s61
	s_mul_hi_u32 s14, s58, s60
	s_mul_i32 s55, s59, s60
	s_wait_alu 0xfffe
	s_add_nc_u64 s[66:67], s[14:15], s[66:67]
	s_mul_hi_u32 s0, s59, s60
	s_mul_hi_u32 s68, s59, s61
	s_add_co_u32 s14, s66, s55
	s_wait_alu 0xfffe
	s_add_co_ci_u32 s14, s67, s0
	s_mul_i32 s60, s59, s61
	s_add_co_ci_u32 s61, s68, 0
	s_wait_alu 0xfffe
	s_add_nc_u64 s[60:61], s[14:15], s[60:61]
	s_wait_alu 0xfffe
	s_add_co_u32 s0, s58, s60
	s_cselect_b32 s14, -1, 0
	s_wait_alu 0xfffe
	v_mul_hi_u32 v26, v24, s0
	s_cmp_lg_u32 s14, 0
	v_mad_co_u64_u32 v[16:17], null, v25, s0, 0
	s_add_co_ci_u32 s14, s59, s61
	s_wait_alu 0xfffe
	v_mad_co_u64_u32 v[14:15], null, v24, s14, 0
	v_mad_co_u64_u32 v[22:23], null, v25, s14, 0
	s_delay_alu instid0(VALU_DEP_2) | instskip(SKIP_1) | instid1(VALU_DEP_3)
	v_add_co_u32 v14, vcc_lo, v26, v14
	s_wait_alu 0xfffd
	v_add_co_ci_u32_e64 v15, null, 0, v15, vcc_lo
	s_delay_alu instid0(VALU_DEP_2) | instskip(SKIP_1) | instid1(VALU_DEP_2)
	v_add_co_u32 v14, vcc_lo, v14, v16
	s_wait_alu 0xfffd
	v_add_co_ci_u32_e32 v14, vcc_lo, v15, v17, vcc_lo
	s_wait_alu 0xfffd
	v_add_co_ci_u32_e32 v15, vcc_lo, 0, v23, vcc_lo
	s_delay_alu instid0(VALU_DEP_2) | instskip(SKIP_1) | instid1(VALU_DEP_2)
	v_add_co_u32 v16, vcc_lo, v14, v22
	s_wait_alu 0xfffd
	v_add_co_ci_u32_e64 v17, null, 0, v15, vcc_lo
	s_delay_alu instid0(VALU_DEP_2) | instskip(SKIP_1) | instid1(VALU_DEP_3)
	v_mul_lo_u32 v22, s57, v16
	v_mad_co_u64_u32 v[14:15], null, s56, v16, 0
	v_mul_lo_u32 v23, s56, v17
	s_delay_alu instid0(VALU_DEP_2) | instskip(NEXT) | instid1(VALU_DEP_2)
	v_sub_co_u32 v14, vcc_lo, v24, v14
	v_add3_u32 v15, v15, v23, v22
	v_add_co_u32 v23, s0, v16, 2
	s_wait_alu 0xf1ff
	v_add_co_ci_u32_e64 v24, null, 0, v17, s0
	s_delay_alu instid0(VALU_DEP_3) | instskip(SKIP_3) | instid1(VALU_DEP_3)
	v_sub_nc_u32_e32 v22, v25, v15
	v_sub_co_u32 v26, s0, v14, s56
	s_wait_alu 0xfffd
	v_sub_co_ci_u32_e64 v15, null, v25, v15, vcc_lo
	v_subrev_co_ci_u32_e64 v22, null, s57, v22, vcc_lo
	s_delay_alu instid0(VALU_DEP_3) | instskip(SKIP_1) | instid1(VALU_DEP_2)
	v_cmp_le_u32_e32 vcc_lo, s56, v26
	s_wait_alu 0xf1ff
	v_subrev_co_ci_u32_e64 v22, null, 0, v22, s0
	s_wait_alu 0xfffd
	v_cndmask_b32_e64 v25, 0, -1, vcc_lo
	s_delay_alu instid0(VALU_DEP_2)
	v_cmp_le_u32_e32 vcc_lo, s57, v22
	s_wait_alu 0xfffd
	v_cndmask_b32_e64 v26, 0, -1, vcc_lo
	v_cmp_le_u32_e32 vcc_lo, s56, v14
	s_wait_alu 0xfffd
	v_cndmask_b32_e64 v14, 0, -1, vcc_lo
	;; [unrolled: 3-line block ×3, first 2 shown]
	v_cmp_eq_u32_e32 vcc_lo, s57, v22
	s_wait_alu 0xfffd
	v_cndmask_b32_e32 v22, v26, v25, vcc_lo
	v_add_co_u32 v25, vcc_lo, v16, 1
	s_wait_alu 0xfffd
	v_add_co_ci_u32_e64 v26, null, 0, v17, vcc_lo
	v_cmp_eq_u32_e32 vcc_lo, s57, v15
	s_wait_alu 0xfffd
	v_cndmask_b32_e32 v14, v27, v14, vcc_lo
	v_cmp_ne_u32_e32 vcc_lo, 0, v22
	s_wait_alu 0xfffd
	v_cndmask_b32_e32 v15, v26, v24, vcc_lo
	s_delay_alu instid0(VALU_DEP_3) | instskip(SKIP_2) | instid1(VALU_DEP_2)
	v_cmp_ne_u32_e64 s0, 0, v14
	v_cndmask_b32_e32 v14, v25, v23, vcc_lo
	s_wait_alu 0xf1ff
	v_cndmask_b32_e64 v15, v17, v15, s0
	s_delay_alu instid0(VALU_DEP_2) | instskip(NEXT) | instid1(VALU_DEP_2)
	v_cndmask_b32_e64 v14, v16, v14, s0
	v_xor_b32_e32 v15, v15, v3
	s_delay_alu instid0(VALU_DEP_2) | instskip(NEXT) | instid1(VALU_DEP_1)
	v_xor_b32_e32 v14, v14, v3
	v_sub_co_u32 v14, vcc_lo, v14, v3
	s_wait_alu 0xfffd
	s_delay_alu instid0(VALU_DEP_3)
	v_sub_co_ci_u32_e64 v15, null, v15, v3, vcc_lo
.LBB78_32:                              ;   in Loop: Header=BB78_22 Depth=2
	s_wait_alu 0xfffe
	s_and_not1_saveexec_b32 s0, s1
	s_cbranch_execz .LBB78_34
; %bb.33:                               ;   in Loop: Header=BB78_22 Depth=2
	v_cvt_f32_u32_e32 v3, s52
	s_sub_co_i32 s1, 0, s52
	s_delay_alu instid0(VALU_DEP_1) | instskip(NEXT) | instid1(TRANS32_DEP_1)
	v_rcp_iflag_f32_e32 v3, v3
	v_mul_f32_e32 v3, 0x4f7ffffe, v3
	s_delay_alu instid0(VALU_DEP_1) | instskip(SKIP_1) | instid1(VALU_DEP_1)
	v_cvt_u32_f32_e32 v3, v3
	s_wait_alu 0xfffe
	v_mul_lo_u32 v14, s1, v3
	s_delay_alu instid0(VALU_DEP_1) | instskip(NEXT) | instid1(VALU_DEP_1)
	v_mul_hi_u32 v14, v3, v14
	v_add_nc_u32_e32 v3, v3, v14
	s_delay_alu instid0(VALU_DEP_1) | instskip(NEXT) | instid1(VALU_DEP_1)
	v_mul_hi_u32 v3, v12, v3
	v_mul_lo_u32 v14, v3, s52
	v_add_nc_u32_e32 v15, 1, v3
	s_delay_alu instid0(VALU_DEP_2) | instskip(NEXT) | instid1(VALU_DEP_1)
	v_sub_nc_u32_e32 v14, v12, v14
	v_subrev_nc_u32_e32 v16, s52, v14
	v_cmp_le_u32_e32 vcc_lo, s52, v14
	s_wait_alu 0xfffd
	s_delay_alu instid0(VALU_DEP_2) | instskip(NEXT) | instid1(VALU_DEP_1)
	v_dual_cndmask_b32 v14, v14, v16 :: v_dual_cndmask_b32 v3, v3, v15
	v_cmp_le_u32_e32 vcc_lo, s52, v14
	s_delay_alu instid0(VALU_DEP_2) | instskip(SKIP_1) | instid1(VALU_DEP_1)
	v_add_nc_u32_e32 v15, 1, v3
	s_wait_alu 0xfffd
	v_dual_cndmask_b32 v14, v3, v15 :: v_dual_mov_b32 v15, v2
.LBB78_34:                              ;   in Loop: Header=BB78_22 Depth=2
	s_wait_alu 0xfffe
	s_or_b32 exec_lo, exec_lo, s0
	s_load_b64 s[56:57], s[40:41], 0x0
	s_load_b64 s[54:55], s[38:39], 0x8
                                        ; implicit-def: $vgpr16_vgpr17
	s_mov_b32 s0, exec_lo
	s_wait_kmcnt 0x0
	v_or_b32_e32 v3, s57, v15
	s_delay_alu instid0(VALU_DEP_1)
	v_cmpx_ne_u64_e32 0, v[2:3]
	s_wait_alu 0xfffe
	s_xor_b32 s1, exec_lo, s0
	s_cbranch_execz .LBB78_36
; %bb.35:                               ;   in Loop: Header=BB78_22 Depth=2
	s_ashr_i32 s58, s57, 31
	v_ashrrev_i32_e32 v3, 31, v15
	s_wait_alu 0xfffe
	s_mov_b32 s59, s58
	s_wait_alu 0xfffe
	s_add_nc_u64 s[60:61], s[56:57], s[58:59]
	v_add_co_u32 v16, vcc_lo, v14, v3
	s_wait_alu 0xfffe
	s_xor_b64 s[60:61], s[60:61], s[58:59]
	s_wait_alu 0xfffd
	v_add_co_ci_u32_e64 v17, null, v15, v3, vcc_lo
	s_wait_alu 0xfffe
	s_cvt_f32_u32 s0, s60
	s_cvt_f32_u32 s14, s61
	s_sub_nc_u64 s[68:69], 0, s[60:61]
	v_xor_b32_e32 v26, v16, v3
	v_xor_b32_e32 v27, v17, v3
	s_wait_alu 0xfffe
	s_fmamk_f32 s0, s14, 0x4f800000, s0
	v_xor_b32_e32 v3, s58, v3
	s_wait_alu 0xfffe
	s_delay_alu instid0(SALU_CYCLE_1) | instskip(NEXT) | instid1(TRANS32_DEP_1)
	v_s_rcp_f32 s0, s0
	s_mul_f32 s0, s0, 0x5f7ffffc
	s_wait_alu 0xfffe
	s_delay_alu instid0(SALU_CYCLE_2) | instskip(SKIP_1) | instid1(SALU_CYCLE_2)
	s_mul_f32 s14, s0, 0x2f800000
	s_wait_alu 0xfffe
	s_trunc_f32 s14, s14
	s_wait_alu 0xfffe
	s_delay_alu instid0(SALU_CYCLE_2) | instskip(SKIP_2) | instid1(SALU_CYCLE_1)
	s_fmamk_f32 s0, s14, 0xcf800000, s0
	s_cvt_u32_f32 s67, s14
	s_wait_alu 0xfffe
	s_cvt_u32_f32 s66, s0
	s_delay_alu instid0(SALU_CYCLE_3) | instskip(NEXT) | instid1(SALU_CYCLE_1)
	s_mul_u64 s[70:71], s[68:69], s[66:67]
	s_mul_hi_u32 s73, s66, s71
	s_mul_i32 s72, s66, s71
	s_mul_hi_u32 s14, s66, s70
	s_mul_i32 s59, s67, s70
	s_wait_alu 0xfffe
	s_add_nc_u64 s[72:73], s[14:15], s[72:73]
	s_mul_hi_u32 s0, s67, s70
	s_mul_hi_u32 s74, s67, s71
	s_add_co_u32 s14, s72, s59
	s_wait_alu 0xfffe
	s_add_co_ci_u32 s14, s73, s0
	s_mul_i32 s70, s67, s71
	s_add_co_ci_u32 s71, s74, 0
	s_wait_alu 0xfffe
	s_add_nc_u64 s[70:71], s[14:15], s[70:71]
	s_delay_alu instid0(SALU_CYCLE_1) | instskip(SKIP_4) | instid1(SALU_CYCLE_1)
	s_add_co_u32 s66, s66, s70
	s_cselect_b32 s0, -1, 0
	s_wait_alu 0xfffe
	s_cmp_lg_u32 s0, 0
	s_add_co_ci_u32 s67, s67, s71
	s_mul_u64 s[68:69], s[68:69], s[66:67]
	s_delay_alu instid0(SALU_CYCLE_1)
	s_mul_hi_u32 s71, s66, s69
	s_mul_i32 s70, s66, s69
	s_mul_hi_u32 s14, s66, s68
	s_mul_i32 s59, s67, s68
	s_wait_alu 0xfffe
	s_add_nc_u64 s[70:71], s[14:15], s[70:71]
	s_mul_hi_u32 s0, s67, s68
	s_mul_hi_u32 s72, s67, s69
	s_add_co_u32 s14, s70, s59
	s_wait_alu 0xfffe
	s_add_co_ci_u32 s14, s71, s0
	s_mul_i32 s68, s67, s69
	s_add_co_ci_u32 s69, s72, 0
	s_wait_alu 0xfffe
	s_add_nc_u64 s[68:69], s[14:15], s[68:69]
	s_delay_alu instid0(SALU_CYCLE_1)
	s_add_co_u32 s0, s66, s68
	s_cselect_b32 s14, -1, 0
	s_wait_alu 0xfffe
	v_mul_hi_u32 v28, v26, s0
	s_cmp_lg_u32 s14, 0
	v_mad_co_u64_u32 v[22:23], null, v27, s0, 0
	s_add_co_ci_u32 s14, s67, s69
	s_wait_alu 0xfffe
	v_mad_co_u64_u32 v[16:17], null, v26, s14, 0
	v_mad_co_u64_u32 v[24:25], null, v27, s14, 0
	s_delay_alu instid0(VALU_DEP_2) | instskip(SKIP_1) | instid1(VALU_DEP_3)
	v_add_co_u32 v16, vcc_lo, v28, v16
	s_wait_alu 0xfffd
	v_add_co_ci_u32_e64 v17, null, 0, v17, vcc_lo
	s_delay_alu instid0(VALU_DEP_2) | instskip(SKIP_1) | instid1(VALU_DEP_2)
	v_add_co_u32 v16, vcc_lo, v16, v22
	s_wait_alu 0xfffd
	v_add_co_ci_u32_e32 v16, vcc_lo, v17, v23, vcc_lo
	s_wait_alu 0xfffd
	v_add_co_ci_u32_e32 v17, vcc_lo, 0, v25, vcc_lo
	s_delay_alu instid0(VALU_DEP_2) | instskip(SKIP_1) | instid1(VALU_DEP_2)
	v_add_co_u32 v22, vcc_lo, v16, v24
	s_wait_alu 0xfffd
	v_add_co_ci_u32_e64 v23, null, 0, v17, vcc_lo
	s_delay_alu instid0(VALU_DEP_2) | instskip(SKIP_1) | instid1(VALU_DEP_3)
	v_mul_lo_u32 v24, s61, v22
	v_mad_co_u64_u32 v[16:17], null, s60, v22, 0
	v_mul_lo_u32 v25, s60, v23
	s_delay_alu instid0(VALU_DEP_2) | instskip(NEXT) | instid1(VALU_DEP_2)
	v_sub_co_u32 v16, vcc_lo, v26, v16
	v_add3_u32 v17, v17, v25, v24
	v_add_co_u32 v25, s0, v22, 2
	s_wait_alu 0xf1ff
	v_add_co_ci_u32_e64 v26, null, 0, v23, s0
	s_delay_alu instid0(VALU_DEP_3) | instskip(SKIP_3) | instid1(VALU_DEP_3)
	v_sub_nc_u32_e32 v24, v27, v17
	v_sub_co_u32 v28, s0, v16, s60
	s_wait_alu 0xfffd
	v_sub_co_ci_u32_e64 v17, null, v27, v17, vcc_lo
	v_subrev_co_ci_u32_e64 v24, null, s61, v24, vcc_lo
	s_delay_alu instid0(VALU_DEP_3) | instskip(SKIP_1) | instid1(VALU_DEP_2)
	v_cmp_le_u32_e32 vcc_lo, s60, v28
	s_wait_alu 0xf1ff
	v_subrev_co_ci_u32_e64 v24, null, 0, v24, s0
	s_wait_alu 0xfffd
	v_cndmask_b32_e64 v27, 0, -1, vcc_lo
	s_delay_alu instid0(VALU_DEP_2)
	v_cmp_le_u32_e32 vcc_lo, s61, v24
	s_wait_alu 0xfffd
	v_cndmask_b32_e64 v28, 0, -1, vcc_lo
	v_cmp_le_u32_e32 vcc_lo, s60, v16
	s_wait_alu 0xfffd
	v_cndmask_b32_e64 v16, 0, -1, vcc_lo
	;; [unrolled: 3-line block ×3, first 2 shown]
	v_cmp_eq_u32_e32 vcc_lo, s61, v24
	s_wait_alu 0xfffd
	v_cndmask_b32_e32 v24, v28, v27, vcc_lo
	v_add_co_u32 v27, vcc_lo, v22, 1
	s_wait_alu 0xfffd
	v_add_co_ci_u32_e64 v28, null, 0, v23, vcc_lo
	v_cmp_eq_u32_e32 vcc_lo, s61, v17
	s_wait_alu 0xfffd
	v_cndmask_b32_e32 v16, v29, v16, vcc_lo
	v_cmp_ne_u32_e32 vcc_lo, 0, v24
	s_wait_alu 0xfffd
	v_cndmask_b32_e32 v17, v28, v26, vcc_lo
	s_delay_alu instid0(VALU_DEP_3) | instskip(SKIP_2) | instid1(VALU_DEP_2)
	v_cmp_ne_u32_e64 s0, 0, v16
	v_cndmask_b32_e32 v16, v27, v25, vcc_lo
	s_wait_alu 0xf1ff
	v_cndmask_b32_e64 v17, v23, v17, s0
	s_delay_alu instid0(VALU_DEP_2) | instskip(NEXT) | instid1(VALU_DEP_2)
	v_cndmask_b32_e64 v16, v22, v16, s0
	v_xor_b32_e32 v17, v17, v3
	s_delay_alu instid0(VALU_DEP_2) | instskip(NEXT) | instid1(VALU_DEP_1)
	v_xor_b32_e32 v16, v16, v3
	v_sub_co_u32 v16, vcc_lo, v16, v3
	s_wait_alu 0xfffd
	s_delay_alu instid0(VALU_DEP_3)
	v_sub_co_ci_u32_e64 v17, null, v17, v3, vcc_lo
.LBB78_36:                              ;   in Loop: Header=BB78_22 Depth=2
	s_wait_alu 0xfffe
	s_and_not1_saveexec_b32 s0, s1
	s_cbranch_execz .LBB78_21
; %bb.37:                               ;   in Loop: Header=BB78_22 Depth=2
	v_cvt_f32_u32_e32 v3, s56
	s_sub_co_i32 s1, 0, s56
	s_delay_alu instid0(VALU_DEP_1) | instskip(NEXT) | instid1(TRANS32_DEP_1)
	v_rcp_iflag_f32_e32 v3, v3
	v_mul_f32_e32 v3, 0x4f7ffffe, v3
	s_delay_alu instid0(VALU_DEP_1) | instskip(SKIP_1) | instid1(VALU_DEP_1)
	v_cvt_u32_f32_e32 v3, v3
	s_wait_alu 0xfffe
	v_mul_lo_u32 v16, s1, v3
	s_delay_alu instid0(VALU_DEP_1) | instskip(NEXT) | instid1(VALU_DEP_1)
	v_mul_hi_u32 v16, v3, v16
	v_add_nc_u32_e32 v3, v3, v16
	s_delay_alu instid0(VALU_DEP_1) | instskip(NEXT) | instid1(VALU_DEP_1)
	v_mul_hi_u32 v3, v14, v3
	v_mul_lo_u32 v16, v3, s56
	v_add_nc_u32_e32 v17, 1, v3
	s_delay_alu instid0(VALU_DEP_2) | instskip(NEXT) | instid1(VALU_DEP_1)
	v_sub_nc_u32_e32 v16, v14, v16
	v_subrev_nc_u32_e32 v22, s56, v16
	v_cmp_le_u32_e32 vcc_lo, s56, v16
	s_wait_alu 0xfffd
	s_delay_alu instid0(VALU_DEP_2) | instskip(NEXT) | instid1(VALU_DEP_1)
	v_dual_cndmask_b32 v16, v16, v22 :: v_dual_cndmask_b32 v3, v3, v17
	v_cmp_le_u32_e32 vcc_lo, s56, v16
	s_delay_alu instid0(VALU_DEP_2) | instskip(SKIP_1) | instid1(VALU_DEP_1)
	v_add_nc_u32_e32 v17, 1, v3
	s_wait_alu 0xfffd
	v_dual_cndmask_b32 v16, v3, v17 :: v_dual_mov_b32 v17, v2
	s_branch .LBB78_21
.LBB78_38:                              ;   in Loop: Header=BB78_3 Depth=1
	s_load_b64 s[0:1], s[24:25], 0x0
	s_wait_kmcnt 0x0
	v_cmp_gt_i64_e32 vcc_lo, s[0:1], v[4:5]
	s_and_b32 exec_lo, exec_lo, vcc_lo
	s_cbranch_execz .LBB78_2
; %bb.39:                               ;   in Loop: Header=BB78_3 Depth=1
	v_add_co_u32 v3, vcc_lo, v4, 1
	s_wait_alu 0xfffd
	v_add_co_ci_u32_e64 v4, null, 0, v5, vcc_lo
	v_lshlrev_b64_e32 v[5:6], 2, v[6:7]
	s_delay_alu instid0(VALU_DEP_3) | instskip(SKIP_1) | instid1(VALU_DEP_3)
	v_sub_co_u32 v8, vcc_lo, v3, v20
	s_wait_alu 0xfffd
	v_sub_co_ci_u32_e64 v9, null, v4, v21, vcc_lo
	v_cmp_gt_i64_e32 vcc_lo, s[0:1], v[3:4]
	s_delay_alu instid0(VALU_DEP_4) | instskip(NEXT) | instid1(VALU_DEP_3)
	v_add_co_u32 v3, s1, s10, v5
	v_cmp_gt_i64_e64 s0, s[4:5], v[8:9]
	s_wait_alu 0xf1ff
	v_add_co_ci_u32_e64 v4, null, s11, v6, s1
	global_store_b32 v[3:4], v2, off
	s_and_b32 s0, vcc_lo, s0
	s_wait_alu 0xfffe
	s_and_b32 exec_lo, exec_lo, s0
	s_cbranch_execz .LBB78_2
; %bb.40:                               ;   in Loop: Header=BB78_3 Depth=1
	s_lshl_b64 s[0:1], s[2:3], 2
	s_wait_alu 0xfffe
	v_add_co_u32 v3, vcc_lo, v3, s0
	s_wait_alu 0xfffd
	v_add_co_ci_u32_e64 v4, null, s1, v4, vcc_lo
	global_store_b32 v[3:4], v2, off
	s_branch .LBB78_2
.LBB78_41:
	s_endpgm
	.section	.rodata,"a",@progbits
	.p2align	6, 0x0
	.amdhsa_kernel _ZN2at6native16triu_tril_kernelIflLb1ELi2ELb1EEEvNS_4cuda6detail10TensorInfoIT_T0_EENS4_IKS5_S6_EEllS6_
		.amdhsa_group_segment_fixed_size 0
		.amdhsa_private_segment_fixed_size 0
		.amdhsa_kernarg_size 1112
		.amdhsa_user_sgpr_count 2
		.amdhsa_user_sgpr_dispatch_ptr 0
		.amdhsa_user_sgpr_queue_ptr 0
		.amdhsa_user_sgpr_kernarg_segment_ptr 1
		.amdhsa_user_sgpr_dispatch_id 0
		.amdhsa_user_sgpr_private_segment_size 0
		.amdhsa_wavefront_size32 1
		.amdhsa_uses_dynamic_stack 0
		.amdhsa_enable_private_segment 0
		.amdhsa_system_sgpr_workgroup_id_x 1
		.amdhsa_system_sgpr_workgroup_id_y 0
		.amdhsa_system_sgpr_workgroup_id_z 0
		.amdhsa_system_sgpr_workgroup_info 0
		.amdhsa_system_vgpr_workitem_id 0
		.amdhsa_next_free_vgpr 30
		.amdhsa_next_free_sgpr 75
		.amdhsa_reserve_vcc 1
		.amdhsa_float_round_mode_32 0
		.amdhsa_float_round_mode_16_64 0
		.amdhsa_float_denorm_mode_32 3
		.amdhsa_float_denorm_mode_16_64 3
		.amdhsa_fp16_overflow 0
		.amdhsa_workgroup_processor_mode 1
		.amdhsa_memory_ordered 1
		.amdhsa_forward_progress 1
		.amdhsa_inst_pref_size 65
		.amdhsa_round_robin_scheduling 0
		.amdhsa_exception_fp_ieee_invalid_op 0
		.amdhsa_exception_fp_denorm_src 0
		.amdhsa_exception_fp_ieee_div_zero 0
		.amdhsa_exception_fp_ieee_overflow 0
		.amdhsa_exception_fp_ieee_underflow 0
		.amdhsa_exception_fp_ieee_inexact 0
		.amdhsa_exception_int_div_zero 0
	.end_amdhsa_kernel
	.section	.text._ZN2at6native16triu_tril_kernelIflLb1ELi2ELb1EEEvNS_4cuda6detail10TensorInfoIT_T0_EENS4_IKS5_S6_EEllS6_,"axG",@progbits,_ZN2at6native16triu_tril_kernelIflLb1ELi2ELb1EEEvNS_4cuda6detail10TensorInfoIT_T0_EENS4_IKS5_S6_EEllS6_,comdat
.Lfunc_end78:
	.size	_ZN2at6native16triu_tril_kernelIflLb1ELi2ELb1EEEvNS_4cuda6detail10TensorInfoIT_T0_EENS4_IKS5_S6_EEllS6_, .Lfunc_end78-_ZN2at6native16triu_tril_kernelIflLb1ELi2ELb1EEEvNS_4cuda6detail10TensorInfoIT_T0_EENS4_IKS5_S6_EEllS6_
                                        ; -- End function
	.set _ZN2at6native16triu_tril_kernelIflLb1ELi2ELb1EEEvNS_4cuda6detail10TensorInfoIT_T0_EENS4_IKS5_S6_EEllS6_.num_vgpr, 30
	.set _ZN2at6native16triu_tril_kernelIflLb1ELi2ELb1EEEvNS_4cuda6detail10TensorInfoIT_T0_EENS4_IKS5_S6_EEllS6_.num_agpr, 0
	.set _ZN2at6native16triu_tril_kernelIflLb1ELi2ELb1EEEvNS_4cuda6detail10TensorInfoIT_T0_EENS4_IKS5_S6_EEllS6_.numbered_sgpr, 75
	.set _ZN2at6native16triu_tril_kernelIflLb1ELi2ELb1EEEvNS_4cuda6detail10TensorInfoIT_T0_EENS4_IKS5_S6_EEllS6_.num_named_barrier, 0
	.set _ZN2at6native16triu_tril_kernelIflLb1ELi2ELb1EEEvNS_4cuda6detail10TensorInfoIT_T0_EENS4_IKS5_S6_EEllS6_.private_seg_size, 0
	.set _ZN2at6native16triu_tril_kernelIflLb1ELi2ELb1EEEvNS_4cuda6detail10TensorInfoIT_T0_EENS4_IKS5_S6_EEllS6_.uses_vcc, 1
	.set _ZN2at6native16triu_tril_kernelIflLb1ELi2ELb1EEEvNS_4cuda6detail10TensorInfoIT_T0_EENS4_IKS5_S6_EEllS6_.uses_flat_scratch, 0
	.set _ZN2at6native16triu_tril_kernelIflLb1ELi2ELb1EEEvNS_4cuda6detail10TensorInfoIT_T0_EENS4_IKS5_S6_EEllS6_.has_dyn_sized_stack, 0
	.set _ZN2at6native16triu_tril_kernelIflLb1ELi2ELb1EEEvNS_4cuda6detail10TensorInfoIT_T0_EENS4_IKS5_S6_EEllS6_.has_recursion, 0
	.set _ZN2at6native16triu_tril_kernelIflLb1ELi2ELb1EEEvNS_4cuda6detail10TensorInfoIT_T0_EENS4_IKS5_S6_EEllS6_.has_indirect_call, 0
	.section	.AMDGPU.csdata,"",@progbits
; Kernel info:
; codeLenInByte = 8312
; TotalNumSgprs: 77
; NumVgprs: 30
; ScratchSize: 0
; MemoryBound: 0
; FloatMode: 240
; IeeeMode: 1
; LDSByteSize: 0 bytes/workgroup (compile time only)
; SGPRBlocks: 0
; VGPRBlocks: 3
; NumSGPRsForWavesPerEU: 77
; NumVGPRsForWavesPerEU: 30
; Occupancy: 16
; WaveLimiterHint : 0
; COMPUTE_PGM_RSRC2:SCRATCH_EN: 0
; COMPUTE_PGM_RSRC2:USER_SGPR: 2
; COMPUTE_PGM_RSRC2:TRAP_HANDLER: 0
; COMPUTE_PGM_RSRC2:TGID_X_EN: 1
; COMPUTE_PGM_RSRC2:TGID_Y_EN: 0
; COMPUTE_PGM_RSRC2:TGID_Z_EN: 0
; COMPUTE_PGM_RSRC2:TIDIG_COMP_CNT: 0
	.section	.text._ZN2at6native16triu_tril_kernelIflLb1ELi2ELb0EEEvNS_4cuda6detail10TensorInfoIT_T0_EENS4_IKS5_S6_EEllS6_,"axG",@progbits,_ZN2at6native16triu_tril_kernelIflLb1ELi2ELb0EEEvNS_4cuda6detail10TensorInfoIT_T0_EENS4_IKS5_S6_EEllS6_,comdat
	.protected	_ZN2at6native16triu_tril_kernelIflLb1ELi2ELb0EEEvNS_4cuda6detail10TensorInfoIT_T0_EENS4_IKS5_S6_EEllS6_ ; -- Begin function _ZN2at6native16triu_tril_kernelIflLb1ELi2ELb0EEEvNS_4cuda6detail10TensorInfoIT_T0_EENS4_IKS5_S6_EEllS6_
	.globl	_ZN2at6native16triu_tril_kernelIflLb1ELi2ELb0EEEvNS_4cuda6detail10TensorInfoIT_T0_EENS4_IKS5_S6_EEllS6_
	.p2align	8
	.type	_ZN2at6native16triu_tril_kernelIflLb1ELi2ELb0EEEvNS_4cuda6detail10TensorInfoIT_T0_EENS4_IKS5_S6_EEllS6_,@function
_ZN2at6native16triu_tril_kernelIflLb1ELi2ELb0EEEvNS_4cuda6detail10TensorInfoIT_T0_EENS4_IKS5_S6_EEllS6_: ; @_ZN2at6native16triu_tril_kernelIflLb1ELi2ELb0EEEvNS_4cuda6detail10TensorInfoIT_T0_EENS4_IKS5_S6_EEllS6_
; %bb.0:
	s_clause 0x1
	s_load_b32 s2, s[0:1], 0x364
	s_load_b128 s[4:7], s[0:1], 0x340
	v_mov_b32_e32 v2, 0
	s_delay_alu instid0(VALU_DEP_1) | instskip(SKIP_3) | instid1(VALU_DEP_1)
	v_mov_b32_e32 v1, v2
	s_wait_kmcnt 0x0
	s_and_b32 s16, s2, 0xffff
	s_mov_b32 s2, exec_lo
	v_mad_co_u64_u32 v[0:1], null, s16, ttmp9, v[0:1]
	s_delay_alu instid0(VALU_DEP_1) | instskip(NEXT) | instid1(VALU_DEP_1)
	v_lshlrev_b64_e32 v[0:1], 1, v[0:1]
	v_cmpx_gt_i64_e64 s[6:7], v[0:1]
	s_cbranch_execz .LBB79_38
; %bb.1:
	s_clause 0x1
	s_load_b32 s38, s[0:1], 0x338
	s_load_b64 s[2:3], s[0:1], 0x1a0
	s_add_nc_u64 s[20:21], s[0:1], 0x1a0
	s_load_b64 s[22:23], s[0:1], 0x350
	s_add_nc_u64 s[14:15], s[0:1], 0x358
	s_mov_b32 s27, 0
	s_mov_b32 s63, 0
	s_wait_kmcnt 0x0
	s_ashr_i32 s39, s38, 31
	s_add_co_i32 s28, s38, -3
	s_lshl_b64 s[18:19], s[38:39], 3
	s_ashr_i32 s29, s28, 31
	s_add_nc_u64 s[12:13], s[20:21], s[18:19]
	v_cmp_gt_i64_e64 s62, s[38:39], 2
	s_add_nc_u64 s[8:9], s[12:13], -8
	s_add_nc_u64 s[30:31], s[28:29], -1
	s_load_b128 s[8:11], s[8:9], 0x0
	s_load_b32 s17, s[14:15], 0x0
	s_clause 0x1
	s_load_b64 s[24:25], s[0:1], 0x0
	s_load_b128 s[12:15], s[12:13], 0xc0
	v_cvt_f32_u32_e32 v3, s22
	s_add_nc_u64 s[38:39], s[0:1], 0xc8
	s_delay_alu instid0(VALU_DEP_1)
	v_rcp_iflag_f32_e32 v3, v3
	s_wait_kmcnt 0x0
	v_cvt_f32_u32_e32 v4, s8
	s_mul_i32 s26, s17, s16
	s_add_nc_u64 s[16:17], s[0:1], s[18:19]
	s_lshl_b32 s33, s26, 1
	s_load_b128 s[16:19], s[16:17], 0xc0
	v_rcp_iflag_f32_e32 v4, v4
	s_delay_alu instid0(TRANS32_DEP_2)
	v_mul_f32_e32 v3, 0x4f7ffffe, v3
	s_bitcmp0_b32 s28, 0
	s_cselect_b32 s60, -1, 0
	s_lshl_b64 s[36:37], s[28:29], 3
	s_cmp_lg_u32 s28, 0
	s_add_nc_u64 s[34:35], s[20:21], s[36:37]
	s_add_nc_u64 s[36:37], s[0:1], s[36:37]
	s_cselect_b32 s61, -1, 0
	s_delay_alu instid0(TRANS32_DEP_1) | instskip(SKIP_2) | instid1(VALU_DEP_2)
	v_mul_f32_e32 v4, 0x4f7ffffe, v4
	v_cvt_u32_f32_e32 v16, v3
	s_ashr_i32 s40, s23, 31
	v_cvt_u32_f32_e32 v17, v4
	s_branch .LBB79_3
.LBB79_2:                               ;   in Loop: Header=BB79_3 Depth=1
	s_wait_alu 0xfffe
	s_or_b32 exec_lo, exec_lo, s0
	v_add_co_u32 v0, vcc_lo, v0, s33
	s_wait_alu 0xfffd
	v_add_co_ci_u32_e64 v1, null, 0, v1, vcc_lo
	s_delay_alu instid0(VALU_DEP_1) | instskip(SKIP_1) | instid1(SALU_CYCLE_1)
	v_cmp_le_i64_e32 vcc_lo, s[6:7], v[0:1]
	s_or_b32 s63, vcc_lo, s63
	s_and_not1_b32 exec_lo, exec_lo, s63
	s_cbranch_execz .LBB79_38
.LBB79_3:                               ; =>This Loop Header: Depth=1
                                        ;     Child Loop BB79_21 Depth 2
	v_or_b32_e32 v3, s23, v1
                                        ; implicit-def: $vgpr6_vgpr7
	s_mov_b32 s0, exec_lo
	s_delay_alu instid0(VALU_DEP_1)
	v_cmpx_ne_u64_e32 0, v[2:3]
	s_wait_alu 0xfffe
	s_xor_b32 s1, exec_lo, s0
	s_cbranch_execz .LBB79_5
; %bb.4:                                ;   in Loop: Header=BB79_3 Depth=1
	s_mov_b32 s41, s40
	v_ashrrev_i32_e32 v9, 31, v1
	s_wait_alu 0xfffe
	s_add_nc_u64 s[42:43], s[22:23], s[40:41]
	s_wait_alu 0xfffe
	s_xor_b64 s[42:43], s[42:43], s[40:41]
	v_add_co_u32 v3, vcc_lo, v0, v9
	s_wait_alu 0xfffe
	s_cvt_f32_u32 s0, s42
	s_cvt_f32_u32 s26, s43
	s_sub_nc_u64 s[46:47], 0, s[42:43]
	s_wait_alu 0xfffd
	v_add_co_ci_u32_e64 v4, null, v1, v9, vcc_lo
	s_wait_alu 0xfffe
	s_fmamk_f32 s0, s26, 0x4f800000, s0
	v_xor_b32_e32 v10, v3, v9
	s_delay_alu instid0(VALU_DEP_2) | instskip(SKIP_2) | instid1(TRANS32_DEP_1)
	v_xor_b32_e32 v11, v4, v9
	s_wait_alu 0xfffe
	v_s_rcp_f32 s0, s0
	s_mul_f32 s0, s0, 0x5f7ffffc
	s_wait_alu 0xfffe
	s_delay_alu instid0(SALU_CYCLE_2) | instskip(SKIP_1) | instid1(SALU_CYCLE_2)
	s_mul_f32 s26, s0, 0x2f800000
	s_wait_alu 0xfffe
	s_trunc_f32 s26, s26
	s_wait_alu 0xfffe
	s_delay_alu instid0(SALU_CYCLE_2) | instskip(SKIP_2) | instid1(SALU_CYCLE_1)
	s_fmamk_f32 s0, s26, 0xcf800000, s0
	s_cvt_u32_f32 s45, s26
	s_wait_alu 0xfffe
	s_cvt_u32_f32 s44, s0
	s_wait_alu 0xfffe
	s_delay_alu instid0(SALU_CYCLE_2)
	s_mul_u64 s[48:49], s[46:47], s[44:45]
	s_wait_alu 0xfffe
	s_mul_hi_u32 s51, s44, s49
	s_mul_i32 s50, s44, s49
	s_mul_hi_u32 s26, s44, s48
	s_mul_i32 s41, s45, s48
	s_wait_alu 0xfffe
	s_add_nc_u64 s[50:51], s[26:27], s[50:51]
	s_mul_hi_u32 s0, s45, s48
	s_mul_hi_u32 s52, s45, s49
	s_wait_alu 0xfffe
	s_add_co_u32 s26, s50, s41
	s_add_co_ci_u32 s26, s51, s0
	s_mul_i32 s48, s45, s49
	s_add_co_ci_u32 s49, s52, 0
	s_wait_alu 0xfffe
	s_add_nc_u64 s[48:49], s[26:27], s[48:49]
	s_wait_alu 0xfffe
	s_add_co_u32 s44, s44, s48
	s_cselect_b32 s0, -1, 0
	s_wait_alu 0xfffe
	s_cmp_lg_u32 s0, 0
	s_add_co_ci_u32 s45, s45, s49
	s_wait_alu 0xfffe
	s_mul_u64 s[46:47], s[46:47], s[44:45]
	s_wait_alu 0xfffe
	s_mul_hi_u32 s49, s44, s47
	s_mul_i32 s48, s44, s47
	s_mul_hi_u32 s26, s44, s46
	s_mul_i32 s41, s45, s46
	s_wait_alu 0xfffe
	s_add_nc_u64 s[48:49], s[26:27], s[48:49]
	s_mul_hi_u32 s0, s45, s46
	s_mul_hi_u32 s50, s45, s47
	s_wait_alu 0xfffe
	s_add_co_u32 s26, s48, s41
	s_add_co_ci_u32 s26, s49, s0
	s_mul_i32 s46, s45, s47
	s_add_co_ci_u32 s47, s50, 0
	s_wait_alu 0xfffe
	s_add_nc_u64 s[46:47], s[26:27], s[46:47]
	s_wait_alu 0xfffe
	s_add_co_u32 s0, s44, s46
	s_cselect_b32 s26, -1, 0
	s_wait_alu 0xfffe
	v_mul_hi_u32 v12, v10, s0
	s_cmp_lg_u32 s26, 0
	v_mad_co_u64_u32 v[5:6], null, v11, s0, 0
	s_add_co_ci_u32 s26, s45, s47
	s_wait_alu 0xfffe
	v_mad_co_u64_u32 v[3:4], null, v10, s26, 0
	v_mad_co_u64_u32 v[7:8], null, v11, s26, 0
	s_delay_alu instid0(VALU_DEP_2) | instskip(SKIP_1) | instid1(VALU_DEP_3)
	v_add_co_u32 v3, vcc_lo, v12, v3
	s_wait_alu 0xfffd
	v_add_co_ci_u32_e64 v4, null, 0, v4, vcc_lo
	s_delay_alu instid0(VALU_DEP_2) | instskip(SKIP_1) | instid1(VALU_DEP_2)
	v_add_co_u32 v3, vcc_lo, v3, v5
	s_wait_alu 0xfffd
	v_add_co_ci_u32_e32 v3, vcc_lo, v4, v6, vcc_lo
	s_wait_alu 0xfffd
	v_add_co_ci_u32_e32 v4, vcc_lo, 0, v8, vcc_lo
	s_delay_alu instid0(VALU_DEP_2) | instskip(SKIP_1) | instid1(VALU_DEP_2)
	v_add_co_u32 v5, vcc_lo, v3, v7
	s_wait_alu 0xfffd
	v_add_co_ci_u32_e64 v6, null, 0, v4, vcc_lo
	s_delay_alu instid0(VALU_DEP_2) | instskip(SKIP_1) | instid1(VALU_DEP_3)
	v_mul_lo_u32 v7, s43, v5
	v_mad_co_u64_u32 v[3:4], null, s42, v5, 0
	v_mul_lo_u32 v8, s42, v6
	s_delay_alu instid0(VALU_DEP_2) | instskip(NEXT) | instid1(VALU_DEP_2)
	v_sub_co_u32 v3, vcc_lo, v10, v3
	v_add3_u32 v4, v4, v8, v7
	v_add_co_u32 v8, s0, v5, 2
	s_wait_alu 0xf1ff
	v_add_co_ci_u32_e64 v10, null, 0, v6, s0
	s_delay_alu instid0(VALU_DEP_3) | instskip(SKIP_3) | instid1(VALU_DEP_3)
	v_sub_nc_u32_e32 v7, v11, v4
	v_sub_co_u32 v12, s0, v3, s42
	s_wait_alu 0xfffd
	v_sub_co_ci_u32_e64 v4, null, v11, v4, vcc_lo
	v_subrev_co_ci_u32_e64 v7, null, s43, v7, vcc_lo
	s_delay_alu instid0(VALU_DEP_3) | instskip(SKIP_1) | instid1(VALU_DEP_2)
	v_cmp_le_u32_e32 vcc_lo, s42, v12
	s_wait_alu 0xf1ff
	v_subrev_co_ci_u32_e64 v7, null, 0, v7, s0
	s_wait_alu 0xfffd
	v_cndmask_b32_e64 v11, 0, -1, vcc_lo
	s_delay_alu instid0(VALU_DEP_2)
	v_cmp_le_u32_e32 vcc_lo, s43, v7
	s_wait_alu 0xfffd
	v_cndmask_b32_e64 v12, 0, -1, vcc_lo
	v_cmp_le_u32_e32 vcc_lo, s42, v3
	s_wait_alu 0xfffd
	v_cndmask_b32_e64 v3, 0, -1, vcc_lo
	;; [unrolled: 3-line block ×3, first 2 shown]
	v_cmp_eq_u32_e32 vcc_lo, s43, v7
	s_wait_alu 0xfffd
	v_cndmask_b32_e32 v7, v12, v11, vcc_lo
	v_add_co_u32 v11, vcc_lo, v5, 1
	s_wait_alu 0xfffd
	v_add_co_ci_u32_e64 v12, null, 0, v6, vcc_lo
	v_cmp_eq_u32_e32 vcc_lo, s43, v4
	s_wait_alu 0xfffd
	v_cndmask_b32_e32 v3, v13, v3, vcc_lo
	v_cmp_ne_u32_e32 vcc_lo, 0, v7
	v_xor_b32_e32 v7, s40, v9
	s_wait_alu 0xfffd
	v_cndmask_b32_e32 v4, v12, v10, vcc_lo
	v_cmp_ne_u32_e64 s0, 0, v3
	v_cndmask_b32_e32 v3, v11, v8, vcc_lo
	s_wait_alu 0xf1ff
	s_delay_alu instid0(VALU_DEP_2) | instskip(NEXT) | instid1(VALU_DEP_2)
	v_cndmask_b32_e64 v4, v6, v4, s0
	v_cndmask_b32_e64 v3, v5, v3, s0
	s_delay_alu instid0(VALU_DEP_2) | instskip(NEXT) | instid1(VALU_DEP_2)
	v_xor_b32_e32 v4, v4, v7
	v_xor_b32_e32 v3, v3, v7
	s_delay_alu instid0(VALU_DEP_1) | instskip(SKIP_1) | instid1(VALU_DEP_3)
	v_sub_co_u32 v6, vcc_lo, v3, v7
	s_wait_alu 0xfffd
	v_sub_co_ci_u32_e64 v7, null, v4, v7, vcc_lo
.LBB79_5:                               ;   in Loop: Header=BB79_3 Depth=1
	s_wait_alu 0xfffe
	s_and_not1_saveexec_b32 s0, s1
	s_cbranch_execz .LBB79_7
; %bb.6:                                ;   in Loop: Header=BB79_3 Depth=1
	s_sub_co_i32 s1, 0, s22
	v_mov_b32_e32 v7, v2
	s_wait_alu 0xfffe
	v_mul_lo_u32 v3, s1, v16
	s_delay_alu instid0(VALU_DEP_1) | instskip(NEXT) | instid1(VALU_DEP_1)
	v_mul_hi_u32 v3, v16, v3
	v_add_nc_u32_e32 v3, v16, v3
	s_delay_alu instid0(VALU_DEP_1) | instskip(NEXT) | instid1(VALU_DEP_1)
	v_mul_hi_u32 v3, v0, v3
	v_mul_lo_u32 v4, v3, s22
	s_delay_alu instid0(VALU_DEP_1) | instskip(NEXT) | instid1(VALU_DEP_1)
	v_sub_nc_u32_e32 v4, v0, v4
	v_subrev_nc_u32_e32 v6, s22, v4
	v_cmp_le_u32_e32 vcc_lo, s22, v4
	s_wait_alu 0xfffd
	s_delay_alu instid0(VALU_DEP_2) | instskip(NEXT) | instid1(VALU_DEP_1)
	v_dual_cndmask_b32 v4, v4, v6 :: v_dual_add_nc_u32 v5, 1, v3
	v_cndmask_b32_e32 v3, v3, v5, vcc_lo
	s_delay_alu instid0(VALU_DEP_2) | instskip(NEXT) | instid1(VALU_DEP_2)
	v_cmp_le_u32_e32 vcc_lo, s22, v4
	v_add_nc_u32_e32 v5, 1, v3
	s_wait_alu 0xfffd
	s_delay_alu instid0(VALU_DEP_1)
	v_cndmask_b32_e32 v6, v3, v5, vcc_lo
.LBB79_7:                               ;   in Loop: Header=BB79_3 Depth=1
	s_wait_alu 0xfffe
	s_or_b32 exec_lo, exec_lo, s0
	v_or_b32_e32 v3, s9, v7
                                        ; implicit-def: $vgpr10_vgpr11
	s_mov_b32 s0, exec_lo
	s_delay_alu instid0(VALU_DEP_1)
	v_cmpx_ne_u64_e32 0, v[2:3]
	s_wait_alu 0xfffe
	s_xor_b32 s1, exec_lo, s0
	s_cbranch_execz .LBB79_9
; %bb.8:                                ;   in Loop: Header=BB79_3 Depth=1
	s_ashr_i32 s42, s9, 31
	v_ashrrev_i32_e32 v5, 31, v7
	s_wait_alu 0xfffe
	s_mov_b32 s43, s42
	s_wait_alu 0xfffe
	s_add_nc_u64 s[44:45], s[8:9], s[42:43]
	v_add_co_u32 v3, vcc_lo, v6, v5
	s_wait_alu 0xfffe
	s_xor_b64 s[44:45], s[44:45], s[42:43]
	s_wait_alu 0xfffd
	v_add_co_ci_u32_e64 v4, null, v7, v5, vcc_lo
	s_wait_alu 0xfffe
	s_cvt_f32_u32 s0, s44
	s_cvt_f32_u32 s26, s45
	s_sub_nc_u64 s[48:49], 0, s[44:45]
	v_xor_b32_e32 v12, v3, v5
	v_xor_b32_e32 v13, v4, v5
	s_wait_alu 0xfffe
	s_fmamk_f32 s0, s26, 0x4f800000, s0
	v_xor_b32_e32 v5, s42, v5
	s_wait_alu 0xfffe
	s_delay_alu instid0(SALU_CYCLE_1) | instskip(NEXT) | instid1(TRANS32_DEP_1)
	v_s_rcp_f32 s0, s0
	s_mul_f32 s0, s0, 0x5f7ffffc
	s_wait_alu 0xfffe
	s_delay_alu instid0(SALU_CYCLE_2) | instskip(SKIP_1) | instid1(SALU_CYCLE_2)
	s_mul_f32 s26, s0, 0x2f800000
	s_wait_alu 0xfffe
	s_trunc_f32 s26, s26
	s_wait_alu 0xfffe
	s_delay_alu instid0(SALU_CYCLE_2) | instskip(SKIP_2) | instid1(SALU_CYCLE_1)
	s_fmamk_f32 s0, s26, 0xcf800000, s0
	s_cvt_u32_f32 s47, s26
	s_wait_alu 0xfffe
	s_cvt_u32_f32 s46, s0
	s_wait_alu 0xfffe
	s_delay_alu instid0(SALU_CYCLE_2)
	s_mul_u64 s[50:51], s[48:49], s[46:47]
	s_wait_alu 0xfffe
	s_mul_hi_u32 s53, s46, s51
	s_mul_i32 s52, s46, s51
	s_mul_hi_u32 s26, s46, s50
	s_mul_i32 s41, s47, s50
	s_wait_alu 0xfffe
	s_add_nc_u64 s[52:53], s[26:27], s[52:53]
	s_mul_hi_u32 s0, s47, s50
	s_mul_hi_u32 s43, s47, s51
	s_wait_alu 0xfffe
	s_add_co_u32 s26, s52, s41
	s_add_co_ci_u32 s26, s53, s0
	s_mul_i32 s50, s47, s51
	s_add_co_ci_u32 s51, s43, 0
	s_wait_alu 0xfffe
	s_add_nc_u64 s[50:51], s[26:27], s[50:51]
	s_wait_alu 0xfffe
	s_add_co_u32 s46, s46, s50
	s_cselect_b32 s0, -1, 0
	s_wait_alu 0xfffe
	s_cmp_lg_u32 s0, 0
	s_add_co_ci_u32 s47, s47, s51
	s_wait_alu 0xfffe
	s_mul_u64 s[48:49], s[48:49], s[46:47]
	s_wait_alu 0xfffe
	s_mul_hi_u32 s51, s46, s49
	s_mul_i32 s50, s46, s49
	s_mul_hi_u32 s26, s46, s48
	s_mul_i32 s41, s47, s48
	s_wait_alu 0xfffe
	s_add_nc_u64 s[50:51], s[26:27], s[50:51]
	s_mul_hi_u32 s0, s47, s48
	s_mul_hi_u32 s43, s47, s49
	s_wait_alu 0xfffe
	s_add_co_u32 s26, s50, s41
	s_add_co_ci_u32 s26, s51, s0
	s_mul_i32 s48, s47, s49
	s_add_co_ci_u32 s49, s43, 0
	s_wait_alu 0xfffe
	s_add_nc_u64 s[48:49], s[26:27], s[48:49]
	s_wait_alu 0xfffe
	s_add_co_u32 s0, s46, s48
	s_cselect_b32 s26, -1, 0
	s_wait_alu 0xfffe
	v_mul_hi_u32 v14, v12, s0
	s_cmp_lg_u32 s26, 0
	v_mad_co_u64_u32 v[8:9], null, v13, s0, 0
	s_add_co_ci_u32 s26, s47, s49
	s_wait_alu 0xfffe
	v_mad_co_u64_u32 v[3:4], null, v12, s26, 0
	v_mad_co_u64_u32 v[10:11], null, v13, s26, 0
	s_delay_alu instid0(VALU_DEP_2) | instskip(SKIP_1) | instid1(VALU_DEP_3)
	v_add_co_u32 v3, vcc_lo, v14, v3
	s_wait_alu 0xfffd
	v_add_co_ci_u32_e64 v4, null, 0, v4, vcc_lo
	s_delay_alu instid0(VALU_DEP_2) | instskip(SKIP_1) | instid1(VALU_DEP_2)
	v_add_co_u32 v3, vcc_lo, v3, v8
	s_wait_alu 0xfffd
	v_add_co_ci_u32_e32 v3, vcc_lo, v4, v9, vcc_lo
	s_wait_alu 0xfffd
	v_add_co_ci_u32_e32 v4, vcc_lo, 0, v11, vcc_lo
	s_delay_alu instid0(VALU_DEP_2) | instskip(SKIP_1) | instid1(VALU_DEP_2)
	v_add_co_u32 v8, vcc_lo, v3, v10
	s_wait_alu 0xfffd
	v_add_co_ci_u32_e64 v9, null, 0, v4, vcc_lo
	s_delay_alu instid0(VALU_DEP_2) | instskip(SKIP_1) | instid1(VALU_DEP_3)
	v_mul_lo_u32 v10, s45, v8
	v_mad_co_u64_u32 v[3:4], null, s44, v8, 0
	v_mul_lo_u32 v11, s44, v9
	s_delay_alu instid0(VALU_DEP_2) | instskip(NEXT) | instid1(VALU_DEP_2)
	v_sub_co_u32 v3, vcc_lo, v12, v3
	v_add3_u32 v4, v4, v11, v10
	v_add_co_u32 v11, s0, v8, 2
	s_wait_alu 0xf1ff
	v_add_co_ci_u32_e64 v12, null, 0, v9, s0
	s_delay_alu instid0(VALU_DEP_3) | instskip(SKIP_3) | instid1(VALU_DEP_3)
	v_sub_nc_u32_e32 v10, v13, v4
	v_sub_co_u32 v14, s0, v3, s44
	s_wait_alu 0xfffd
	v_sub_co_ci_u32_e64 v4, null, v13, v4, vcc_lo
	v_subrev_co_ci_u32_e64 v10, null, s45, v10, vcc_lo
	s_delay_alu instid0(VALU_DEP_3) | instskip(SKIP_1) | instid1(VALU_DEP_2)
	v_cmp_le_u32_e32 vcc_lo, s44, v14
	s_wait_alu 0xf1ff
	v_subrev_co_ci_u32_e64 v10, null, 0, v10, s0
	s_wait_alu 0xfffd
	v_cndmask_b32_e64 v13, 0, -1, vcc_lo
	s_delay_alu instid0(VALU_DEP_2)
	v_cmp_le_u32_e32 vcc_lo, s45, v10
	s_wait_alu 0xfffd
	v_cndmask_b32_e64 v14, 0, -1, vcc_lo
	v_cmp_le_u32_e32 vcc_lo, s44, v3
	s_wait_alu 0xfffd
	v_cndmask_b32_e64 v3, 0, -1, vcc_lo
	;; [unrolled: 3-line block ×3, first 2 shown]
	v_cmp_eq_u32_e32 vcc_lo, s45, v10
	s_wait_alu 0xfffd
	v_cndmask_b32_e32 v10, v14, v13, vcc_lo
	v_add_co_u32 v13, vcc_lo, v8, 1
	s_wait_alu 0xfffd
	v_add_co_ci_u32_e64 v14, null, 0, v9, vcc_lo
	v_cmp_eq_u32_e32 vcc_lo, s45, v4
	s_wait_alu 0xfffd
	v_cndmask_b32_e32 v3, v15, v3, vcc_lo
	v_cmp_ne_u32_e32 vcc_lo, 0, v10
	s_delay_alu instid0(VALU_DEP_2) | instskip(SKIP_3) | instid1(VALU_DEP_1)
	v_cmp_ne_u32_e64 s0, 0, v3
	s_wait_alu 0xfffd
	v_dual_cndmask_b32 v4, v14, v12 :: v_dual_cndmask_b32 v3, v13, v11
	s_wait_alu 0xf1ff
	v_cndmask_b32_e64 v4, v9, v4, s0
	s_delay_alu instid0(VALU_DEP_2) | instskip(NEXT) | instid1(VALU_DEP_2)
	v_cndmask_b32_e64 v3, v8, v3, s0
	v_xor_b32_e32 v4, v4, v5
	s_delay_alu instid0(VALU_DEP_2) | instskip(NEXT) | instid1(VALU_DEP_1)
	v_xor_b32_e32 v3, v3, v5
	v_sub_co_u32 v10, vcc_lo, v3, v5
	s_wait_alu 0xfffd
	s_delay_alu instid0(VALU_DEP_3)
	v_sub_co_ci_u32_e64 v11, null, v4, v5, vcc_lo
.LBB79_9:                               ;   in Loop: Header=BB79_3 Depth=1
	s_wait_alu 0xfffe
	s_and_not1_saveexec_b32 s0, s1
	s_cbranch_execz .LBB79_11
; %bb.10:                               ;   in Loop: Header=BB79_3 Depth=1
	s_sub_co_i32 s1, 0, s8
	v_mov_b32_e32 v11, v2
	s_wait_alu 0xfffe
	v_mul_lo_u32 v3, s1, v17
	s_delay_alu instid0(VALU_DEP_1) | instskip(NEXT) | instid1(VALU_DEP_1)
	v_mul_hi_u32 v3, v17, v3
	v_add_nc_u32_e32 v3, v17, v3
	s_delay_alu instid0(VALU_DEP_1) | instskip(NEXT) | instid1(VALU_DEP_1)
	v_mul_hi_u32 v3, v6, v3
	v_mul_lo_u32 v4, v3, s8
	v_add_nc_u32_e32 v5, 1, v3
	s_delay_alu instid0(VALU_DEP_2) | instskip(NEXT) | instid1(VALU_DEP_1)
	v_sub_nc_u32_e32 v4, v6, v4
	v_subrev_nc_u32_e32 v8, s8, v4
	v_cmp_le_u32_e32 vcc_lo, s8, v4
	s_wait_alu 0xfffd
	s_delay_alu instid0(VALU_DEP_2) | instskip(NEXT) | instid1(VALU_DEP_1)
	v_dual_cndmask_b32 v4, v4, v8 :: v_dual_cndmask_b32 v3, v3, v5
	v_cmp_le_u32_e32 vcc_lo, s8, v4
	s_delay_alu instid0(VALU_DEP_2) | instskip(SKIP_1) | instid1(VALU_DEP_1)
	v_add_nc_u32_e32 v5, 1, v3
	s_wait_alu 0xfffd
	v_cndmask_b32_e32 v10, v3, v5, vcc_lo
.LBB79_11:                              ;   in Loop: Header=BB79_3 Depth=1
	s_wait_alu 0xfffe
	s_or_b32 exec_lo, exec_lo, s0
	v_mul_lo_u32 v5, v7, s22
	v_mul_lo_u32 v12, v6, s23
	v_mad_co_u64_u32 v[3:4], null, v6, s22, 0
	v_mul_lo_u32 v13, v11, s8
	v_mul_lo_u32 v14, v10, s9
	v_mad_co_u64_u32 v[8:9], null, v10, s8, 0
	s_delay_alu instid0(VALU_DEP_4) | instskip(SKIP_1) | instid1(VALU_DEP_3)
	v_add3_u32 v5, v4, v12, v5
	v_sub_co_u32 v4, vcc_lo, v0, v3
	v_add3_u32 v3, v9, v14, v13
	s_wait_alu 0xfffd
	s_delay_alu instid0(VALU_DEP_3) | instskip(NEXT) | instid1(VALU_DEP_3)
	v_sub_co_ci_u32_e64 v5, null, v1, v5, vcc_lo
	v_mul_lo_u32 v9, s15, v4
	v_mad_co_u64_u32 v[12:13], null, s14, v4, 0
	s_wait_kmcnt 0x0
	v_mul_lo_u32 v20, s19, v4
	v_mul_lo_u32 v21, s14, v5
	;; [unrolled: 1-line block ×3, first 2 shown]
	v_mad_co_u64_u32 v[14:15], null, s18, v4, 0
	v_sub_co_u32 v18, vcc_lo, v6, v8
	s_wait_alu 0xfffd
	v_sub_co_ci_u32_e64 v19, null, v7, v3, vcc_lo
	v_add3_u32 v13, v13, v21, v9
	s_delay_alu instid0(VALU_DEP_3) | instskip(SKIP_1) | instid1(VALU_DEP_4)
	v_mul_lo_u32 v3, s13, v18
	v_add3_u32 v15, v15, v22, v20
	v_mul_lo_u32 v21, s12, v19
	s_and_not1_b32 vcc_lo, exec_lo, s62
	v_mad_co_u64_u32 v[8:9], null, s12, v18, v[12:13]
	v_mul_lo_u32 v12, s16, v19
	v_mul_lo_u32 v13, s17, v18
	v_mad_co_u64_u32 v[6:7], null, s16, v18, v[14:15]
	s_delay_alu instid0(VALU_DEP_4) | instskip(NEXT) | instid1(VALU_DEP_2)
	v_add3_u32 v9, v3, v9, v21
	v_add3_u32 v7, v13, v7, v12
	s_wait_alu 0xfffe
	s_cbranch_vccnz .LBB79_29
; %bb.12:                               ;   in Loop: Header=BB79_3 Depth=1
	s_and_not1_b32 vcc_lo, exec_lo, s60
	s_wait_alu 0xfffe
	s_cbranch_vccnz .LBB79_18
; %bb.13:                               ;   in Loop: Header=BB79_3 Depth=1
	s_load_b64 s[42:43], s[34:35], 0x8
                                        ; implicit-def: $vgpr12_vgpr13
	s_mov_b32 s0, exec_lo
	s_wait_kmcnt 0x0
	v_or_b32_e32 v3, s43, v11
	s_delay_alu instid0(VALU_DEP_1)
	v_cmpx_ne_u64_e32 0, v[2:3]
	s_wait_alu 0xfffe
	s_xor_b32 s1, exec_lo, s0
	s_cbranch_execz .LBB79_15
; %bb.14:                               ;   in Loop: Header=BB79_3 Depth=1
	s_ashr_i32 s44, s43, 31
	v_ashrrev_i32_e32 v3, 31, v11
	s_wait_alu 0xfffe
	s_mov_b32 s45, s44
	s_wait_alu 0xfffe
	s_add_nc_u64 s[46:47], s[42:43], s[44:45]
	v_add_co_u32 v12, vcc_lo, v10, v3
	s_wait_alu 0xfffe
	s_xor_b64 s[46:47], s[46:47], s[44:45]
	s_wait_alu 0xfffd
	v_add_co_ci_u32_e64 v13, null, v11, v3, vcc_lo
	s_wait_alu 0xfffe
	s_cvt_f32_u32 s0, s46
	s_cvt_f32_u32 s26, s47
	s_sub_nc_u64 s[50:51], 0, s[46:47]
	v_xor_b32_e32 v22, v12, v3
	v_xor_b32_e32 v23, v13, v3
	s_wait_alu 0xfffe
	s_fmamk_f32 s0, s26, 0x4f800000, s0
	v_xor_b32_e32 v3, s44, v3
	s_wait_alu 0xfffe
	s_delay_alu instid0(SALU_CYCLE_1) | instskip(NEXT) | instid1(TRANS32_DEP_1)
	v_s_rcp_f32 s0, s0
	s_mul_f32 s0, s0, 0x5f7ffffc
	s_wait_alu 0xfffe
	s_delay_alu instid0(SALU_CYCLE_2) | instskip(SKIP_1) | instid1(SALU_CYCLE_2)
	s_mul_f32 s26, s0, 0x2f800000
	s_wait_alu 0xfffe
	s_trunc_f32 s26, s26
	s_wait_alu 0xfffe
	s_delay_alu instid0(SALU_CYCLE_2) | instskip(SKIP_2) | instid1(SALU_CYCLE_1)
	s_fmamk_f32 s0, s26, 0xcf800000, s0
	s_cvt_u32_f32 s49, s26
	s_wait_alu 0xfffe
	s_cvt_u32_f32 s48, s0
	s_wait_alu 0xfffe
	s_delay_alu instid0(SALU_CYCLE_2)
	s_mul_u64 s[52:53], s[50:51], s[48:49]
	s_wait_alu 0xfffe
	s_mul_hi_u32 s55, s48, s53
	s_mul_i32 s54, s48, s53
	s_mul_hi_u32 s26, s48, s52
	s_mul_i32 s41, s49, s52
	s_wait_alu 0xfffe
	s_add_nc_u64 s[54:55], s[26:27], s[54:55]
	s_mul_hi_u32 s0, s49, s52
	s_mul_hi_u32 s45, s49, s53
	s_wait_alu 0xfffe
	s_add_co_u32 s26, s54, s41
	s_add_co_ci_u32 s26, s55, s0
	s_mul_i32 s52, s49, s53
	s_add_co_ci_u32 s53, s45, 0
	s_wait_alu 0xfffe
	s_add_nc_u64 s[52:53], s[26:27], s[52:53]
	s_wait_alu 0xfffe
	s_add_co_u32 s48, s48, s52
	s_cselect_b32 s0, -1, 0
	s_wait_alu 0xfffe
	s_cmp_lg_u32 s0, 0
	s_add_co_ci_u32 s49, s49, s53
	s_wait_alu 0xfffe
	s_mul_u64 s[50:51], s[50:51], s[48:49]
	s_wait_alu 0xfffe
	s_mul_hi_u32 s53, s48, s51
	s_mul_i32 s52, s48, s51
	s_mul_hi_u32 s26, s48, s50
	s_mul_i32 s41, s49, s50
	s_wait_alu 0xfffe
	s_add_nc_u64 s[52:53], s[26:27], s[52:53]
	s_mul_hi_u32 s0, s49, s50
	s_mul_hi_u32 s45, s49, s51
	s_wait_alu 0xfffe
	s_add_co_u32 s26, s52, s41
	s_add_co_ci_u32 s26, s53, s0
	s_mul_i32 s50, s49, s51
	s_add_co_ci_u32 s51, s45, 0
	s_wait_alu 0xfffe
	s_add_nc_u64 s[50:51], s[26:27], s[50:51]
	s_wait_alu 0xfffe
	s_add_co_u32 s0, s48, s50
	s_cselect_b32 s26, -1, 0
	s_wait_alu 0xfffe
	v_mul_hi_u32 v24, v22, s0
	s_cmp_lg_u32 s26, 0
	v_mad_co_u64_u32 v[14:15], null, v23, s0, 0
	s_add_co_ci_u32 s26, s49, s51
	s_wait_alu 0xfffe
	v_mad_co_u64_u32 v[12:13], null, v22, s26, 0
	v_mad_co_u64_u32 v[20:21], null, v23, s26, 0
	s_delay_alu instid0(VALU_DEP_2) | instskip(SKIP_1) | instid1(VALU_DEP_3)
	v_add_co_u32 v12, vcc_lo, v24, v12
	s_wait_alu 0xfffd
	v_add_co_ci_u32_e64 v13, null, 0, v13, vcc_lo
	s_delay_alu instid0(VALU_DEP_2) | instskip(SKIP_1) | instid1(VALU_DEP_2)
	v_add_co_u32 v12, vcc_lo, v12, v14
	s_wait_alu 0xfffd
	v_add_co_ci_u32_e32 v12, vcc_lo, v13, v15, vcc_lo
	s_wait_alu 0xfffd
	v_add_co_ci_u32_e32 v13, vcc_lo, 0, v21, vcc_lo
	s_delay_alu instid0(VALU_DEP_2) | instskip(SKIP_1) | instid1(VALU_DEP_2)
	v_add_co_u32 v14, vcc_lo, v12, v20
	s_wait_alu 0xfffd
	v_add_co_ci_u32_e64 v15, null, 0, v13, vcc_lo
	s_delay_alu instid0(VALU_DEP_2) | instskip(SKIP_1) | instid1(VALU_DEP_3)
	v_mul_lo_u32 v20, s47, v14
	v_mad_co_u64_u32 v[12:13], null, s46, v14, 0
	v_mul_lo_u32 v21, s46, v15
	s_delay_alu instid0(VALU_DEP_2) | instskip(NEXT) | instid1(VALU_DEP_2)
	v_sub_co_u32 v12, vcc_lo, v22, v12
	v_add3_u32 v13, v13, v21, v20
	v_add_co_u32 v21, s0, v14, 2
	s_wait_alu 0xf1ff
	v_add_co_ci_u32_e64 v22, null, 0, v15, s0
	s_delay_alu instid0(VALU_DEP_3) | instskip(SKIP_3) | instid1(VALU_DEP_3)
	v_sub_nc_u32_e32 v20, v23, v13
	v_sub_co_u32 v24, s0, v12, s46
	s_wait_alu 0xfffd
	v_sub_co_ci_u32_e64 v13, null, v23, v13, vcc_lo
	v_subrev_co_ci_u32_e64 v20, null, s47, v20, vcc_lo
	s_delay_alu instid0(VALU_DEP_3) | instskip(SKIP_1) | instid1(VALU_DEP_2)
	v_cmp_le_u32_e32 vcc_lo, s46, v24
	s_wait_alu 0xf1ff
	v_subrev_co_ci_u32_e64 v20, null, 0, v20, s0
	s_wait_alu 0xfffd
	v_cndmask_b32_e64 v23, 0, -1, vcc_lo
	s_delay_alu instid0(VALU_DEP_2)
	v_cmp_le_u32_e32 vcc_lo, s47, v20
	s_wait_alu 0xfffd
	v_cndmask_b32_e64 v24, 0, -1, vcc_lo
	v_cmp_le_u32_e32 vcc_lo, s46, v12
	s_wait_alu 0xfffd
	v_cndmask_b32_e64 v12, 0, -1, vcc_lo
	v_cmp_le_u32_e32 vcc_lo, s47, v13
	s_wait_alu 0xfffd
	v_cndmask_b32_e64 v25, 0, -1, vcc_lo
	v_cmp_eq_u32_e32 vcc_lo, s47, v20
	s_wait_alu 0xfffd
	v_cndmask_b32_e32 v20, v24, v23, vcc_lo
	v_add_co_u32 v23, vcc_lo, v14, 1
	s_wait_alu 0xfffd
	v_add_co_ci_u32_e64 v24, null, 0, v15, vcc_lo
	v_cmp_eq_u32_e32 vcc_lo, s47, v13
	s_wait_alu 0xfffd
	v_cndmask_b32_e32 v12, v25, v12, vcc_lo
	v_cmp_ne_u32_e32 vcc_lo, 0, v20
	s_wait_alu 0xfffd
	v_cndmask_b32_e32 v13, v24, v22, vcc_lo
	s_delay_alu instid0(VALU_DEP_3) | instskip(SKIP_2) | instid1(VALU_DEP_2)
	v_cmp_ne_u32_e64 s0, 0, v12
	v_cndmask_b32_e32 v12, v23, v21, vcc_lo
	s_wait_alu 0xf1ff
	v_cndmask_b32_e64 v13, v15, v13, s0
	s_delay_alu instid0(VALU_DEP_2) | instskip(NEXT) | instid1(VALU_DEP_2)
	v_cndmask_b32_e64 v12, v14, v12, s0
	v_xor_b32_e32 v13, v13, v3
	s_delay_alu instid0(VALU_DEP_2) | instskip(NEXT) | instid1(VALU_DEP_1)
	v_xor_b32_e32 v12, v12, v3
	v_sub_co_u32 v12, vcc_lo, v12, v3
	s_wait_alu 0xfffd
	s_delay_alu instid0(VALU_DEP_3)
	v_sub_co_ci_u32_e64 v13, null, v13, v3, vcc_lo
.LBB79_15:                              ;   in Loop: Header=BB79_3 Depth=1
	s_wait_alu 0xfffe
	s_and_not1_saveexec_b32 s0, s1
	s_cbranch_execz .LBB79_17
; %bb.16:                               ;   in Loop: Header=BB79_3 Depth=1
	v_cvt_f32_u32_e32 v3, s42
	s_sub_co_i32 s1, 0, s42
	s_delay_alu instid0(VALU_DEP_1) | instskip(NEXT) | instid1(TRANS32_DEP_1)
	v_rcp_iflag_f32_e32 v3, v3
	v_mul_f32_e32 v3, 0x4f7ffffe, v3
	s_delay_alu instid0(VALU_DEP_1) | instskip(SKIP_1) | instid1(VALU_DEP_1)
	v_cvt_u32_f32_e32 v3, v3
	s_wait_alu 0xfffe
	v_mul_lo_u32 v12, s1, v3
	s_delay_alu instid0(VALU_DEP_1) | instskip(NEXT) | instid1(VALU_DEP_1)
	v_mul_hi_u32 v12, v3, v12
	v_add_nc_u32_e32 v3, v3, v12
	s_delay_alu instid0(VALU_DEP_1) | instskip(NEXT) | instid1(VALU_DEP_1)
	v_mul_hi_u32 v3, v10, v3
	v_mul_lo_u32 v12, v3, s42
	v_add_nc_u32_e32 v13, 1, v3
	s_delay_alu instid0(VALU_DEP_2) | instskip(NEXT) | instid1(VALU_DEP_1)
	v_sub_nc_u32_e32 v12, v10, v12
	v_subrev_nc_u32_e32 v14, s42, v12
	v_cmp_le_u32_e32 vcc_lo, s42, v12
	s_wait_alu 0xfffd
	s_delay_alu instid0(VALU_DEP_2) | instskip(NEXT) | instid1(VALU_DEP_1)
	v_dual_cndmask_b32 v12, v12, v14 :: v_dual_cndmask_b32 v3, v3, v13
	v_cmp_le_u32_e32 vcc_lo, s42, v12
	s_delay_alu instid0(VALU_DEP_2) | instskip(SKIP_1) | instid1(VALU_DEP_1)
	v_add_nc_u32_e32 v13, 1, v3
	s_wait_alu 0xfffd
	v_dual_cndmask_b32 v12, v3, v13 :: v_dual_mov_b32 v13, v2
.LBB79_17:                              ;   in Loop: Header=BB79_3 Depth=1
	s_wait_alu 0xfffe
	s_or_b32 exec_lo, exec_lo, s0
	s_delay_alu instid0(VALU_DEP_1) | instskip(NEXT) | instid1(VALU_DEP_2)
	v_mul_lo_u32 v3, v13, s42
	v_mul_lo_u32 v20, v12, s43
	s_load_b64 s[0:1], s[34:35], 0xd0
	v_mad_co_u64_u32 v[14:15], null, v12, s42, 0
	s_load_b64 s[42:43], s[36:37], 0xd0
	v_add3_u32 v3, v15, v20, v3
	v_sub_co_u32 v10, vcc_lo, v10, v14
	s_wait_alu 0xfffd
	s_delay_alu instid0(VALU_DEP_2) | instskip(SKIP_1) | instid1(VALU_DEP_1)
	v_sub_co_ci_u32_e64 v3, null, v11, v3, vcc_lo
	s_wait_kmcnt 0x0
	v_mul_lo_u32 v11, s0, v3
	v_mul_lo_u32 v14, s1, v10
	v_mad_co_u64_u32 v[8:9], null, s0, v10, v[8:9]
	v_mul_lo_u32 v3, s42, v3
	v_mul_lo_u32 v15, s43, v10
	v_mad_co_u64_u32 v[6:7], null, s42, v10, v[6:7]
	s_mov_b64 s[0:1], s[30:31]
	v_add3_u32 v9, v14, v9, v11
	v_dual_mov_b32 v10, v12 :: v_dual_mov_b32 v11, v13
	v_add3_u32 v7, v15, v7, v3
	s_and_not1_b32 vcc_lo, exec_lo, s61
	s_wait_alu 0xfffe
	s_cbranch_vccz .LBB79_19
	s_branch .LBB79_29
.LBB79_18:                              ;   in Loop: Header=BB79_3 Depth=1
	s_mov_b64 s[0:1], s[28:29]
	s_and_not1_b32 vcc_lo, exec_lo, s61
	s_wait_alu 0xfffe
	s_cbranch_vccnz .LBB79_29
.LBB79_19:                              ;   in Loop: Header=BB79_3 Depth=1
	s_lshl_b64 s[44:45], s[0:1], 3
	s_add_nc_u64 s[46:47], s[0:1], 1
	s_wait_alu 0xfffe
	s_add_nc_u64 s[42:43], s[38:39], s[44:45]
	s_add_nc_u64 s[44:45], s[20:21], s[44:45]
	s_branch .LBB79_21
.LBB79_20:                              ;   in Loop: Header=BB79_21 Depth=2
	s_wait_alu 0xfffe
	s_or_b32 exec_lo, exec_lo, s0
	v_mul_lo_u32 v3, v13, s48
	v_mul_lo_u32 v24, v12, s49
	v_mad_co_u64_u32 v[20:21], null, v12, s48, 0
	s_load_b64 s[0:1], s[44:45], 0xc8
	s_load_b64 s[48:49], s[42:43], 0x0
	v_mul_lo_u32 v25, v15, s54
	v_mul_lo_u32 v26, v14, s55
	v_mad_co_u64_u32 v[22:23], null, v14, s54, 0
	v_add3_u32 v3, v21, v24, v3
	v_sub_co_u32 v10, vcc_lo, v10, v20
	s_add_nc_u64 s[46:47], s[46:47], -2
	s_add_nc_u64 s[42:43], s[42:43], -16
	s_wait_alu 0xfffd
	v_sub_co_ci_u32_e64 v3, null, v11, v3, vcc_lo
	v_mul_lo_u32 v11, s53, v10
	v_mad_co_u64_u32 v[8:9], null, s52, v10, v[8:9]
	s_delay_alu instid0(VALU_DEP_3)
	v_mul_lo_u32 v20, s52, v3
	v_mul_lo_u32 v21, s51, v10
	v_mad_co_u64_u32 v[6:7], null, s50, v10, v[6:7]
	v_mul_lo_u32 v3, s50, v3
	v_add3_u32 v10, v23, v26, v25
	s_wait_alu 0xfffe
	s_cmp_eq_u64 s[46:47], 0
	s_add_nc_u64 s[44:45], s[44:45], -16
	v_add3_u32 v9, v11, v9, v20
	v_sub_co_u32 v11, vcc_lo, v12, v22
	s_wait_alu 0xfffd
	v_sub_co_ci_u32_e64 v10, null, v13, v10, vcc_lo
	v_add3_u32 v7, v21, v7, v3
	s_wait_kmcnt 0x0
	v_mad_co_u64_u32 v[8:9], null, s0, v11, v[8:9]
	s_delay_alu instid0(VALU_DEP_3) | instskip(SKIP_4) | instid1(VALU_DEP_4)
	v_mul_lo_u32 v3, s0, v10
	v_mul_lo_u32 v12, s1, v11
	;; [unrolled: 1-line block ×4, first 2 shown]
	v_mad_co_u64_u32 v[6:7], null, s48, v11, v[6:7]
	v_add3_u32 v9, v12, v9, v3
	s_delay_alu instid0(VALU_DEP_2)
	v_add3_u32 v7, v13, v7, v10
	v_dual_mov_b32 v10, v14 :: v_dual_mov_b32 v11, v15
	s_cbranch_scc1 .LBB79_29
.LBB79_21:                              ;   Parent Loop BB79_3 Depth=1
                                        ; =>  This Inner Loop Header: Depth=2
	s_load_b64 s[48:49], s[44:45], 0x8
                                        ; implicit-def: $vgpr12_vgpr13
	s_mov_b32 s0, exec_lo
	s_wait_kmcnt 0x0
	v_or_b32_e32 v3, s49, v11
	s_delay_alu instid0(VALU_DEP_1)
	v_cmpx_ne_u64_e32 0, v[2:3]
	s_wait_alu 0xfffe
	s_xor_b32 s1, exec_lo, s0
	s_cbranch_execz .LBB79_23
; %bb.22:                               ;   in Loop: Header=BB79_21 Depth=2
	s_ashr_i32 s50, s49, 31
	v_ashrrev_i32_e32 v3, 31, v11
	s_wait_alu 0xfffe
	s_mov_b32 s51, s50
	s_wait_alu 0xfffe
	s_add_nc_u64 s[52:53], s[48:49], s[50:51]
	v_add_co_u32 v12, vcc_lo, v10, v3
	s_wait_alu 0xfffe
	s_xor_b64 s[52:53], s[52:53], s[50:51]
	s_wait_alu 0xfffd
	v_add_co_ci_u32_e64 v13, null, v11, v3, vcc_lo
	s_wait_alu 0xfffe
	s_cvt_f32_u32 s0, s52
	s_cvt_f32_u32 s26, s53
	s_sub_nc_u64 s[56:57], 0, s[52:53]
	v_xor_b32_e32 v22, v12, v3
	v_xor_b32_e32 v23, v13, v3
	s_wait_alu 0xfffe
	s_fmamk_f32 s0, s26, 0x4f800000, s0
	v_xor_b32_e32 v3, s50, v3
	s_wait_alu 0xfffe
	s_delay_alu instid0(SALU_CYCLE_1) | instskip(NEXT) | instid1(TRANS32_DEP_1)
	v_s_rcp_f32 s0, s0
	s_mul_f32 s0, s0, 0x5f7ffffc
	s_wait_alu 0xfffe
	s_delay_alu instid0(SALU_CYCLE_2) | instskip(SKIP_1) | instid1(SALU_CYCLE_2)
	s_mul_f32 s26, s0, 0x2f800000
	s_wait_alu 0xfffe
	s_trunc_f32 s26, s26
	s_wait_alu 0xfffe
	s_delay_alu instid0(SALU_CYCLE_2) | instskip(SKIP_2) | instid1(SALU_CYCLE_1)
	s_fmamk_f32 s0, s26, 0xcf800000, s0
	s_cvt_u32_f32 s55, s26
	s_wait_alu 0xfffe
	s_cvt_u32_f32 s54, s0
	s_wait_alu 0xfffe
	s_delay_alu instid0(SALU_CYCLE_2)
	s_mul_u64 s[58:59], s[56:57], s[54:55]
	s_wait_alu 0xfffe
	s_mul_hi_u32 s65, s54, s59
	s_mul_i32 s64, s54, s59
	s_mul_hi_u32 s26, s54, s58
	s_mul_i32 s41, s55, s58
	s_wait_alu 0xfffe
	s_add_nc_u64 s[64:65], s[26:27], s[64:65]
	s_mul_hi_u32 s0, s55, s58
	s_mul_hi_u32 s51, s55, s59
	s_add_co_u32 s26, s64, s41
	s_wait_alu 0xfffe
	s_add_co_ci_u32 s26, s65, s0
	s_mul_i32 s58, s55, s59
	s_add_co_ci_u32 s59, s51, 0
	s_wait_alu 0xfffe
	s_add_nc_u64 s[58:59], s[26:27], s[58:59]
	s_wait_alu 0xfffe
	s_add_co_u32 s54, s54, s58
	s_cselect_b32 s0, -1, 0
	s_wait_alu 0xfffe
	s_cmp_lg_u32 s0, 0
	s_add_co_ci_u32 s55, s55, s59
	s_wait_alu 0xfffe
	s_mul_u64 s[56:57], s[56:57], s[54:55]
	s_wait_alu 0xfffe
	s_mul_hi_u32 s59, s54, s57
	s_mul_i32 s58, s54, s57
	s_mul_hi_u32 s26, s54, s56
	s_mul_i32 s41, s55, s56
	s_wait_alu 0xfffe
	s_add_nc_u64 s[58:59], s[26:27], s[58:59]
	s_mul_hi_u32 s0, s55, s56
	s_mul_hi_u32 s51, s55, s57
	s_wait_alu 0xfffe
	s_add_co_u32 s26, s58, s41
	s_add_co_ci_u32 s26, s59, s0
	s_mul_i32 s56, s55, s57
	s_add_co_ci_u32 s57, s51, 0
	s_wait_alu 0xfffe
	s_add_nc_u64 s[56:57], s[26:27], s[56:57]
	s_wait_alu 0xfffe
	s_add_co_u32 s0, s54, s56
	s_cselect_b32 s26, -1, 0
	s_wait_alu 0xfffe
	v_mul_hi_u32 v24, v22, s0
	s_cmp_lg_u32 s26, 0
	v_mad_co_u64_u32 v[14:15], null, v23, s0, 0
	s_add_co_ci_u32 s26, s55, s57
	s_wait_alu 0xfffe
	v_mad_co_u64_u32 v[12:13], null, v22, s26, 0
	v_mad_co_u64_u32 v[20:21], null, v23, s26, 0
	s_delay_alu instid0(VALU_DEP_2) | instskip(SKIP_1) | instid1(VALU_DEP_3)
	v_add_co_u32 v12, vcc_lo, v24, v12
	s_wait_alu 0xfffd
	v_add_co_ci_u32_e64 v13, null, 0, v13, vcc_lo
	s_delay_alu instid0(VALU_DEP_2) | instskip(SKIP_1) | instid1(VALU_DEP_2)
	v_add_co_u32 v12, vcc_lo, v12, v14
	s_wait_alu 0xfffd
	v_add_co_ci_u32_e32 v12, vcc_lo, v13, v15, vcc_lo
	s_wait_alu 0xfffd
	v_add_co_ci_u32_e32 v13, vcc_lo, 0, v21, vcc_lo
	s_delay_alu instid0(VALU_DEP_2) | instskip(SKIP_1) | instid1(VALU_DEP_2)
	v_add_co_u32 v14, vcc_lo, v12, v20
	s_wait_alu 0xfffd
	v_add_co_ci_u32_e64 v15, null, 0, v13, vcc_lo
	s_delay_alu instid0(VALU_DEP_2) | instskip(SKIP_1) | instid1(VALU_DEP_3)
	v_mul_lo_u32 v20, s53, v14
	v_mad_co_u64_u32 v[12:13], null, s52, v14, 0
	v_mul_lo_u32 v21, s52, v15
	s_delay_alu instid0(VALU_DEP_2) | instskip(NEXT) | instid1(VALU_DEP_2)
	v_sub_co_u32 v12, vcc_lo, v22, v12
	v_add3_u32 v13, v13, v21, v20
	v_add_co_u32 v21, s0, v14, 2
	s_wait_alu 0xf1ff
	v_add_co_ci_u32_e64 v22, null, 0, v15, s0
	s_delay_alu instid0(VALU_DEP_3) | instskip(SKIP_3) | instid1(VALU_DEP_3)
	v_sub_nc_u32_e32 v20, v23, v13
	v_sub_co_u32 v24, s0, v12, s52
	s_wait_alu 0xfffd
	v_sub_co_ci_u32_e64 v13, null, v23, v13, vcc_lo
	v_subrev_co_ci_u32_e64 v20, null, s53, v20, vcc_lo
	s_delay_alu instid0(VALU_DEP_3) | instskip(SKIP_1) | instid1(VALU_DEP_2)
	v_cmp_le_u32_e32 vcc_lo, s52, v24
	s_wait_alu 0xf1ff
	v_subrev_co_ci_u32_e64 v20, null, 0, v20, s0
	s_wait_alu 0xfffd
	v_cndmask_b32_e64 v23, 0, -1, vcc_lo
	s_delay_alu instid0(VALU_DEP_2)
	v_cmp_le_u32_e32 vcc_lo, s53, v20
	s_wait_alu 0xfffd
	v_cndmask_b32_e64 v24, 0, -1, vcc_lo
	v_cmp_le_u32_e32 vcc_lo, s52, v12
	s_wait_alu 0xfffd
	v_cndmask_b32_e64 v12, 0, -1, vcc_lo
	;; [unrolled: 3-line block ×3, first 2 shown]
	v_cmp_eq_u32_e32 vcc_lo, s53, v20
	s_wait_alu 0xfffd
	v_cndmask_b32_e32 v20, v24, v23, vcc_lo
	v_add_co_u32 v23, vcc_lo, v14, 1
	s_wait_alu 0xfffd
	v_add_co_ci_u32_e64 v24, null, 0, v15, vcc_lo
	v_cmp_eq_u32_e32 vcc_lo, s53, v13
	s_wait_alu 0xfffd
	v_cndmask_b32_e32 v12, v25, v12, vcc_lo
	v_cmp_ne_u32_e32 vcc_lo, 0, v20
	s_wait_alu 0xfffd
	v_cndmask_b32_e32 v13, v24, v22, vcc_lo
	s_delay_alu instid0(VALU_DEP_3) | instskip(SKIP_2) | instid1(VALU_DEP_2)
	v_cmp_ne_u32_e64 s0, 0, v12
	v_cndmask_b32_e32 v12, v23, v21, vcc_lo
	s_wait_alu 0xf1ff
	v_cndmask_b32_e64 v13, v15, v13, s0
	s_delay_alu instid0(VALU_DEP_2) | instskip(NEXT) | instid1(VALU_DEP_2)
	v_cndmask_b32_e64 v12, v14, v12, s0
	v_xor_b32_e32 v13, v13, v3
	s_delay_alu instid0(VALU_DEP_2) | instskip(NEXT) | instid1(VALU_DEP_1)
	v_xor_b32_e32 v12, v12, v3
	v_sub_co_u32 v12, vcc_lo, v12, v3
	s_wait_alu 0xfffd
	s_delay_alu instid0(VALU_DEP_3)
	v_sub_co_ci_u32_e64 v13, null, v13, v3, vcc_lo
.LBB79_23:                              ;   in Loop: Header=BB79_21 Depth=2
	s_wait_alu 0xfffe
	s_and_not1_saveexec_b32 s0, s1
	s_cbranch_execz .LBB79_25
; %bb.24:                               ;   in Loop: Header=BB79_21 Depth=2
	v_cvt_f32_u32_e32 v3, s48
	s_sub_co_i32 s1, 0, s48
	s_delay_alu instid0(VALU_DEP_1) | instskip(NEXT) | instid1(TRANS32_DEP_1)
	v_rcp_iflag_f32_e32 v3, v3
	v_mul_f32_e32 v3, 0x4f7ffffe, v3
	s_delay_alu instid0(VALU_DEP_1) | instskip(SKIP_1) | instid1(VALU_DEP_1)
	v_cvt_u32_f32_e32 v3, v3
	s_wait_alu 0xfffe
	v_mul_lo_u32 v12, s1, v3
	s_delay_alu instid0(VALU_DEP_1) | instskip(NEXT) | instid1(VALU_DEP_1)
	v_mul_hi_u32 v12, v3, v12
	v_add_nc_u32_e32 v3, v3, v12
	s_delay_alu instid0(VALU_DEP_1) | instskip(NEXT) | instid1(VALU_DEP_1)
	v_mul_hi_u32 v3, v10, v3
	v_mul_lo_u32 v12, v3, s48
	v_add_nc_u32_e32 v13, 1, v3
	s_delay_alu instid0(VALU_DEP_2) | instskip(NEXT) | instid1(VALU_DEP_1)
	v_sub_nc_u32_e32 v12, v10, v12
	v_subrev_nc_u32_e32 v14, s48, v12
	v_cmp_le_u32_e32 vcc_lo, s48, v12
	s_wait_alu 0xfffd
	s_delay_alu instid0(VALU_DEP_2) | instskip(NEXT) | instid1(VALU_DEP_1)
	v_dual_cndmask_b32 v12, v12, v14 :: v_dual_cndmask_b32 v3, v3, v13
	v_cmp_le_u32_e32 vcc_lo, s48, v12
	s_delay_alu instid0(VALU_DEP_2) | instskip(SKIP_1) | instid1(VALU_DEP_1)
	v_add_nc_u32_e32 v13, 1, v3
	s_wait_alu 0xfffd
	v_dual_cndmask_b32 v12, v3, v13 :: v_dual_mov_b32 v13, v2
.LBB79_25:                              ;   in Loop: Header=BB79_21 Depth=2
	s_wait_alu 0xfffe
	s_or_b32 exec_lo, exec_lo, s0
	s_clause 0x1
	s_load_b64 s[54:55], s[44:45], 0x0
	s_load_b64 s[52:53], s[44:45], 0xd0
	;; [unrolled: 1-line block ×3, first 2 shown]
                                        ; implicit-def: $vgpr14_vgpr15
	s_mov_b32 s0, exec_lo
	s_wait_kmcnt 0x0
	v_or_b32_e32 v3, s55, v13
	s_delay_alu instid0(VALU_DEP_1)
	v_cmpx_ne_u64_e32 0, v[2:3]
	s_wait_alu 0xfffe
	s_xor_b32 s1, exec_lo, s0
	s_cbranch_execz .LBB79_27
; %bb.26:                               ;   in Loop: Header=BB79_21 Depth=2
	s_ashr_i32 s56, s55, 31
	v_ashrrev_i32_e32 v3, 31, v13
	s_wait_alu 0xfffe
	s_mov_b32 s57, s56
	s_wait_alu 0xfffe
	s_add_nc_u64 s[58:59], s[54:55], s[56:57]
	v_add_co_u32 v14, vcc_lo, v12, v3
	s_wait_alu 0xfffe
	s_xor_b64 s[58:59], s[58:59], s[56:57]
	s_wait_alu 0xfffd
	v_add_co_ci_u32_e64 v15, null, v13, v3, vcc_lo
	s_wait_alu 0xfffe
	s_cvt_f32_u32 s0, s58
	s_cvt_f32_u32 s26, s59
	s_sub_nc_u64 s[66:67], 0, s[58:59]
	v_xor_b32_e32 v24, v14, v3
	v_xor_b32_e32 v25, v15, v3
	s_wait_alu 0xfffe
	s_fmamk_f32 s0, s26, 0x4f800000, s0
	v_xor_b32_e32 v3, s56, v3
	s_wait_alu 0xfffe
	s_delay_alu instid0(SALU_CYCLE_1) | instskip(NEXT) | instid1(TRANS32_DEP_1)
	v_s_rcp_f32 s0, s0
	s_mul_f32 s0, s0, 0x5f7ffffc
	s_wait_alu 0xfffe
	s_delay_alu instid0(SALU_CYCLE_2) | instskip(SKIP_1) | instid1(SALU_CYCLE_2)
	s_mul_f32 s26, s0, 0x2f800000
	s_wait_alu 0xfffe
	s_trunc_f32 s26, s26
	s_wait_alu 0xfffe
	s_delay_alu instid0(SALU_CYCLE_2) | instskip(SKIP_2) | instid1(SALU_CYCLE_1)
	s_fmamk_f32 s0, s26, 0xcf800000, s0
	s_cvt_u32_f32 s65, s26
	s_wait_alu 0xfffe
	s_cvt_u32_f32 s64, s0
	s_delay_alu instid0(SALU_CYCLE_3) | instskip(NEXT) | instid1(SALU_CYCLE_1)
	s_mul_u64 s[68:69], s[66:67], s[64:65]
	s_mul_hi_u32 s71, s64, s69
	s_mul_i32 s70, s64, s69
	s_mul_hi_u32 s26, s64, s68
	s_mul_i32 s41, s65, s68
	s_wait_alu 0xfffe
	s_add_nc_u64 s[70:71], s[26:27], s[70:71]
	s_mul_hi_u32 s0, s65, s68
	s_mul_hi_u32 s57, s65, s69
	s_add_co_u32 s26, s70, s41
	s_wait_alu 0xfffe
	s_add_co_ci_u32 s26, s71, s0
	s_mul_i32 s68, s65, s69
	s_add_co_ci_u32 s69, s57, 0
	s_wait_alu 0xfffe
	s_add_nc_u64 s[68:69], s[26:27], s[68:69]
	s_delay_alu instid0(SALU_CYCLE_1) | instskip(SKIP_4) | instid1(SALU_CYCLE_1)
	s_add_co_u32 s64, s64, s68
	s_cselect_b32 s0, -1, 0
	s_wait_alu 0xfffe
	s_cmp_lg_u32 s0, 0
	s_add_co_ci_u32 s65, s65, s69
	s_mul_u64 s[66:67], s[66:67], s[64:65]
	s_delay_alu instid0(SALU_CYCLE_1)
	s_mul_hi_u32 s69, s64, s67
	s_mul_i32 s68, s64, s67
	s_mul_hi_u32 s26, s64, s66
	s_mul_i32 s41, s65, s66
	s_wait_alu 0xfffe
	s_add_nc_u64 s[68:69], s[26:27], s[68:69]
	s_mul_hi_u32 s0, s65, s66
	s_mul_hi_u32 s57, s65, s67
	s_add_co_u32 s26, s68, s41
	s_wait_alu 0xfffe
	s_add_co_ci_u32 s26, s69, s0
	s_mul_i32 s66, s65, s67
	s_add_co_ci_u32 s67, s57, 0
	s_wait_alu 0xfffe
	s_add_nc_u64 s[66:67], s[26:27], s[66:67]
	s_delay_alu instid0(SALU_CYCLE_1)
	s_add_co_u32 s0, s64, s66
	s_cselect_b32 s26, -1, 0
	s_wait_alu 0xfffe
	v_mul_hi_u32 v26, v24, s0
	s_cmp_lg_u32 s26, 0
	v_mad_co_u64_u32 v[20:21], null, v25, s0, 0
	s_add_co_ci_u32 s26, s65, s67
	s_wait_alu 0xfffe
	v_mad_co_u64_u32 v[14:15], null, v24, s26, 0
	v_mad_co_u64_u32 v[22:23], null, v25, s26, 0
	s_delay_alu instid0(VALU_DEP_2) | instskip(SKIP_1) | instid1(VALU_DEP_3)
	v_add_co_u32 v14, vcc_lo, v26, v14
	s_wait_alu 0xfffd
	v_add_co_ci_u32_e64 v15, null, 0, v15, vcc_lo
	s_delay_alu instid0(VALU_DEP_2) | instskip(SKIP_1) | instid1(VALU_DEP_2)
	v_add_co_u32 v14, vcc_lo, v14, v20
	s_wait_alu 0xfffd
	v_add_co_ci_u32_e32 v14, vcc_lo, v15, v21, vcc_lo
	s_wait_alu 0xfffd
	v_add_co_ci_u32_e32 v15, vcc_lo, 0, v23, vcc_lo
	s_delay_alu instid0(VALU_DEP_2) | instskip(SKIP_1) | instid1(VALU_DEP_2)
	v_add_co_u32 v20, vcc_lo, v14, v22
	s_wait_alu 0xfffd
	v_add_co_ci_u32_e64 v21, null, 0, v15, vcc_lo
	s_delay_alu instid0(VALU_DEP_2) | instskip(SKIP_1) | instid1(VALU_DEP_3)
	v_mul_lo_u32 v22, s59, v20
	v_mad_co_u64_u32 v[14:15], null, s58, v20, 0
	v_mul_lo_u32 v23, s58, v21
	s_delay_alu instid0(VALU_DEP_2) | instskip(NEXT) | instid1(VALU_DEP_2)
	v_sub_co_u32 v14, vcc_lo, v24, v14
	v_add3_u32 v15, v15, v23, v22
	v_add_co_u32 v23, s0, v20, 2
	s_wait_alu 0xf1ff
	v_add_co_ci_u32_e64 v24, null, 0, v21, s0
	s_delay_alu instid0(VALU_DEP_3) | instskip(SKIP_3) | instid1(VALU_DEP_3)
	v_sub_nc_u32_e32 v22, v25, v15
	v_sub_co_u32 v26, s0, v14, s58
	s_wait_alu 0xfffd
	v_sub_co_ci_u32_e64 v15, null, v25, v15, vcc_lo
	v_subrev_co_ci_u32_e64 v22, null, s59, v22, vcc_lo
	s_delay_alu instid0(VALU_DEP_3) | instskip(SKIP_1) | instid1(VALU_DEP_2)
	v_cmp_le_u32_e32 vcc_lo, s58, v26
	s_wait_alu 0xf1ff
	v_subrev_co_ci_u32_e64 v22, null, 0, v22, s0
	s_wait_alu 0xfffd
	v_cndmask_b32_e64 v25, 0, -1, vcc_lo
	s_delay_alu instid0(VALU_DEP_2)
	v_cmp_le_u32_e32 vcc_lo, s59, v22
	s_wait_alu 0xfffd
	v_cndmask_b32_e64 v26, 0, -1, vcc_lo
	v_cmp_le_u32_e32 vcc_lo, s58, v14
	s_wait_alu 0xfffd
	v_cndmask_b32_e64 v14, 0, -1, vcc_lo
	;; [unrolled: 3-line block ×3, first 2 shown]
	v_cmp_eq_u32_e32 vcc_lo, s59, v22
	s_wait_alu 0xfffd
	v_cndmask_b32_e32 v22, v26, v25, vcc_lo
	v_add_co_u32 v25, vcc_lo, v20, 1
	s_wait_alu 0xfffd
	v_add_co_ci_u32_e64 v26, null, 0, v21, vcc_lo
	v_cmp_eq_u32_e32 vcc_lo, s59, v15
	s_wait_alu 0xfffd
	v_cndmask_b32_e32 v14, v27, v14, vcc_lo
	v_cmp_ne_u32_e32 vcc_lo, 0, v22
	s_wait_alu 0xfffd
	v_cndmask_b32_e32 v15, v26, v24, vcc_lo
	s_delay_alu instid0(VALU_DEP_3) | instskip(SKIP_2) | instid1(VALU_DEP_2)
	v_cmp_ne_u32_e64 s0, 0, v14
	v_cndmask_b32_e32 v14, v25, v23, vcc_lo
	s_wait_alu 0xf1ff
	v_cndmask_b32_e64 v15, v21, v15, s0
	s_delay_alu instid0(VALU_DEP_2) | instskip(NEXT) | instid1(VALU_DEP_2)
	v_cndmask_b32_e64 v14, v20, v14, s0
	v_xor_b32_e32 v15, v15, v3
	s_delay_alu instid0(VALU_DEP_2) | instskip(NEXT) | instid1(VALU_DEP_1)
	v_xor_b32_e32 v14, v14, v3
	v_sub_co_u32 v14, vcc_lo, v14, v3
	s_wait_alu 0xfffd
	s_delay_alu instid0(VALU_DEP_3)
	v_sub_co_ci_u32_e64 v15, null, v15, v3, vcc_lo
.LBB79_27:                              ;   in Loop: Header=BB79_21 Depth=2
	s_wait_alu 0xfffe
	s_and_not1_saveexec_b32 s0, s1
	s_cbranch_execz .LBB79_20
; %bb.28:                               ;   in Loop: Header=BB79_21 Depth=2
	v_cvt_f32_u32_e32 v3, s54
	s_sub_co_i32 s1, 0, s54
	s_delay_alu instid0(VALU_DEP_1) | instskip(NEXT) | instid1(TRANS32_DEP_1)
	v_rcp_iflag_f32_e32 v3, v3
	v_mul_f32_e32 v3, 0x4f7ffffe, v3
	s_delay_alu instid0(VALU_DEP_1) | instskip(SKIP_1) | instid1(VALU_DEP_1)
	v_cvt_u32_f32_e32 v3, v3
	s_wait_alu 0xfffe
	v_mul_lo_u32 v14, s1, v3
	s_delay_alu instid0(VALU_DEP_1) | instskip(NEXT) | instid1(VALU_DEP_1)
	v_mul_hi_u32 v14, v3, v14
	v_add_nc_u32_e32 v3, v3, v14
	s_delay_alu instid0(VALU_DEP_1) | instskip(NEXT) | instid1(VALU_DEP_1)
	v_mul_hi_u32 v3, v12, v3
	v_mul_lo_u32 v14, v3, s54
	v_add_nc_u32_e32 v15, 1, v3
	s_delay_alu instid0(VALU_DEP_2) | instskip(NEXT) | instid1(VALU_DEP_1)
	v_sub_nc_u32_e32 v14, v12, v14
	v_subrev_nc_u32_e32 v20, s54, v14
	v_cmp_le_u32_e32 vcc_lo, s54, v14
	s_wait_alu 0xfffd
	s_delay_alu instid0(VALU_DEP_2) | instskip(NEXT) | instid1(VALU_DEP_1)
	v_dual_cndmask_b32 v14, v14, v20 :: v_dual_cndmask_b32 v3, v3, v15
	v_cmp_le_u32_e32 vcc_lo, s54, v14
	s_delay_alu instid0(VALU_DEP_2) | instskip(SKIP_1) | instid1(VALU_DEP_1)
	v_add_nc_u32_e32 v15, 1, v3
	s_wait_alu 0xfffd
	v_dual_cndmask_b32 v14, v3, v15 :: v_dual_mov_b32 v15, v2
	s_branch .LBB79_20
.LBB79_29:                              ;   in Loop: Header=BB79_3 Depth=1
	v_sub_co_u32 v10, vcc_lo, v4, v18
	s_wait_alu 0xfffd
	v_sub_co_ci_u32_e64 v11, null, v5, v19, vcc_lo
	s_delay_alu instid0(VALU_DEP_2) | instskip(SKIP_1) | instid1(VALU_DEP_2)
	v_add_co_u32 v12, vcc_lo, v10, 2
	s_wait_alu 0xfffd
	v_add_co_ci_u32_e64 v13, null, 0, v11, vcc_lo
	s_delay_alu instid0(VALU_DEP_1)
	v_cmp_le_i64_e32 vcc_lo, s[4:5], v[12:13]
	v_dual_mov_b32 v12, 0 :: v_dual_mov_b32 v13, 0
	s_and_saveexec_b32 s0, vcc_lo
	s_cbranch_execz .LBB79_35
; %bb.30:                               ;   in Loop: Header=BB79_3 Depth=1
	v_dual_mov_b32 v3, 0 :: v_dual_mov_b32 v12, 0
	s_mov_b32 s1, exec_lo
	v_cmpx_gt_i64_e64 s[10:11], v[4:5]
	s_cbranch_execz .LBB79_34
; %bb.31:                               ;   in Loop: Header=BB79_3 Depth=1
	v_lshlrev_b64_e32 v[8:9], 2, v[8:9]
	s_delay_alu instid0(VALU_DEP_1) | instskip(SKIP_1) | instid1(VALU_DEP_2)
	v_add_co_u32 v8, vcc_lo, s2, v8
	s_wait_alu 0xfffd
	v_add_co_ci_u32_e64 v9, null, s3, v9, vcc_lo
	v_add_co_u32 v12, vcc_lo, v4, 1
	s_wait_alu 0xfffd
	v_add_co_ci_u32_e64 v13, null, 0, v5, vcc_lo
	global_load_b32 v3, v[8:9], off
	v_cmp_gt_i64_e32 vcc_lo, s[10:11], v[12:13]
	v_mov_b32_e32 v12, 0
	s_and_saveexec_b32 s26, vcc_lo
	s_wait_alu 0xfffe
	s_xor_b32 s26, exec_lo, s26
	s_cbranch_execz .LBB79_33
; %bb.32:                               ;   in Loop: Header=BB79_3 Depth=1
	s_lshl_b64 s[42:43], s[14:15], 2
	s_wait_alu 0xfffe
	v_add_co_u32 v8, vcc_lo, v8, s42
	s_wait_alu 0xfffd
	v_add_co_ci_u32_e64 v9, null, s43, v9, vcc_lo
	global_load_b32 v12, v[8:9], off
.LBB79_33:                              ;   in Loop: Header=BB79_3 Depth=1
	s_wait_alu 0xfffe
	s_or_b32 exec_lo, exec_lo, s26
.LBB79_34:                              ;   in Loop: Header=BB79_3 Depth=1
	s_wait_alu 0xfffe
	s_or_b32 exec_lo, exec_lo, s1
	v_add_co_u32 v8, vcc_lo, v10, 1
	s_wait_alu 0xfffd
	v_add_co_ci_u32_e64 v9, null, 0, v11, vcc_lo
	v_cmp_le_i64_e32 vcc_lo, s[4:5], v[10:11]
	s_wait_loadcnt 0x0
	s_wait_alu 0xfffd
	v_cndmask_b32_e32 v13, 0, v3, vcc_lo
	v_cmp_le_i64_e32 vcc_lo, s[4:5], v[8:9]
	s_wait_alu 0xfffd
	v_cndmask_b32_e32 v12, 0, v12, vcc_lo
.LBB79_35:                              ;   in Loop: Header=BB79_3 Depth=1
	s_wait_alu 0xfffe
	s_or_b32 exec_lo, exec_lo, s0
	s_delay_alu instid0(SALU_CYCLE_1)
	s_mov_b32 s0, exec_lo
	v_cmpx_gt_i64_e64 s[10:11], v[4:5]
	s_cbranch_execz .LBB79_2
; %bb.36:                               ;   in Loop: Header=BB79_3 Depth=1
	v_lshlrev_b64_e32 v[6:7], 2, v[6:7]
	v_add_co_u32 v8, vcc_lo, v4, 1
	s_wait_alu 0xfffd
	v_add_co_ci_u32_e64 v9, null, 0, v5, vcc_lo
	s_mov_b32 s1, exec_lo
	v_add_co_u32 v3, vcc_lo, s24, v6
	s_wait_alu 0xfffd
	v_add_co_ci_u32_e64 v4, null, s25, v7, vcc_lo
	global_store_b32 v[3:4], v13, off
	v_cmpx_gt_i64_e64 s[10:11], v[8:9]
	s_wait_alu 0xfffe
	s_xor_b32 s1, exec_lo, s1
	s_cbranch_execz .LBB79_2
; %bb.37:                               ;   in Loop: Header=BB79_3 Depth=1
	s_lshl_b64 s[42:43], s[18:19], 2
	s_wait_alu 0xfffe
	v_add_co_u32 v3, vcc_lo, v3, s42
	s_wait_alu 0xfffd
	v_add_co_ci_u32_e64 v4, null, s43, v4, vcc_lo
	global_store_b32 v[3:4], v12, off
	s_branch .LBB79_2
.LBB79_38:
	s_endpgm
	.section	.rodata,"a",@progbits
	.p2align	6, 0x0
	.amdhsa_kernel _ZN2at6native16triu_tril_kernelIflLb1ELi2ELb0EEEvNS_4cuda6detail10TensorInfoIT_T0_EENS4_IKS5_S6_EEllS6_
		.amdhsa_group_segment_fixed_size 0
		.amdhsa_private_segment_fixed_size 0
		.amdhsa_kernarg_size 1112
		.amdhsa_user_sgpr_count 2
		.amdhsa_user_sgpr_dispatch_ptr 0
		.amdhsa_user_sgpr_queue_ptr 0
		.amdhsa_user_sgpr_kernarg_segment_ptr 1
		.amdhsa_user_sgpr_dispatch_id 0
		.amdhsa_user_sgpr_private_segment_size 0
		.amdhsa_wavefront_size32 1
		.amdhsa_uses_dynamic_stack 0
		.amdhsa_enable_private_segment 0
		.amdhsa_system_sgpr_workgroup_id_x 1
		.amdhsa_system_sgpr_workgroup_id_y 0
		.amdhsa_system_sgpr_workgroup_id_z 0
		.amdhsa_system_sgpr_workgroup_info 0
		.amdhsa_system_vgpr_workitem_id 0
		.amdhsa_next_free_vgpr 28
		.amdhsa_next_free_sgpr 72
		.amdhsa_reserve_vcc 1
		.amdhsa_float_round_mode_32 0
		.amdhsa_float_round_mode_16_64 0
		.amdhsa_float_denorm_mode_32 3
		.amdhsa_float_denorm_mode_16_64 3
		.amdhsa_fp16_overflow 0
		.amdhsa_workgroup_processor_mode 1
		.amdhsa_memory_ordered 1
		.amdhsa_forward_progress 1
		.amdhsa_inst_pref_size 51
		.amdhsa_round_robin_scheduling 0
		.amdhsa_exception_fp_ieee_invalid_op 0
		.amdhsa_exception_fp_denorm_src 0
		.amdhsa_exception_fp_ieee_div_zero 0
		.amdhsa_exception_fp_ieee_overflow 0
		.amdhsa_exception_fp_ieee_underflow 0
		.amdhsa_exception_fp_ieee_inexact 0
		.amdhsa_exception_int_div_zero 0
	.end_amdhsa_kernel
	.section	.text._ZN2at6native16triu_tril_kernelIflLb1ELi2ELb0EEEvNS_4cuda6detail10TensorInfoIT_T0_EENS4_IKS5_S6_EEllS6_,"axG",@progbits,_ZN2at6native16triu_tril_kernelIflLb1ELi2ELb0EEEvNS_4cuda6detail10TensorInfoIT_T0_EENS4_IKS5_S6_EEllS6_,comdat
.Lfunc_end79:
	.size	_ZN2at6native16triu_tril_kernelIflLb1ELi2ELb0EEEvNS_4cuda6detail10TensorInfoIT_T0_EENS4_IKS5_S6_EEllS6_, .Lfunc_end79-_ZN2at6native16triu_tril_kernelIflLb1ELi2ELb0EEEvNS_4cuda6detail10TensorInfoIT_T0_EENS4_IKS5_S6_EEllS6_
                                        ; -- End function
	.set _ZN2at6native16triu_tril_kernelIflLb1ELi2ELb0EEEvNS_4cuda6detail10TensorInfoIT_T0_EENS4_IKS5_S6_EEllS6_.num_vgpr, 28
	.set _ZN2at6native16triu_tril_kernelIflLb1ELi2ELb0EEEvNS_4cuda6detail10TensorInfoIT_T0_EENS4_IKS5_S6_EEllS6_.num_agpr, 0
	.set _ZN2at6native16triu_tril_kernelIflLb1ELi2ELb0EEEvNS_4cuda6detail10TensorInfoIT_T0_EENS4_IKS5_S6_EEllS6_.numbered_sgpr, 72
	.set _ZN2at6native16triu_tril_kernelIflLb1ELi2ELb0EEEvNS_4cuda6detail10TensorInfoIT_T0_EENS4_IKS5_S6_EEllS6_.num_named_barrier, 0
	.set _ZN2at6native16triu_tril_kernelIflLb1ELi2ELb0EEEvNS_4cuda6detail10TensorInfoIT_T0_EENS4_IKS5_S6_EEllS6_.private_seg_size, 0
	.set _ZN2at6native16triu_tril_kernelIflLb1ELi2ELb0EEEvNS_4cuda6detail10TensorInfoIT_T0_EENS4_IKS5_S6_EEllS6_.uses_vcc, 1
	.set _ZN2at6native16triu_tril_kernelIflLb1ELi2ELb0EEEvNS_4cuda6detail10TensorInfoIT_T0_EENS4_IKS5_S6_EEllS6_.uses_flat_scratch, 0
	.set _ZN2at6native16triu_tril_kernelIflLb1ELi2ELb0EEEvNS_4cuda6detail10TensorInfoIT_T0_EENS4_IKS5_S6_EEllS6_.has_dyn_sized_stack, 0
	.set _ZN2at6native16triu_tril_kernelIflLb1ELi2ELb0EEEvNS_4cuda6detail10TensorInfoIT_T0_EENS4_IKS5_S6_EEllS6_.has_recursion, 0
	.set _ZN2at6native16triu_tril_kernelIflLb1ELi2ELb0EEEvNS_4cuda6detail10TensorInfoIT_T0_EENS4_IKS5_S6_EEllS6_.has_indirect_call, 0
	.section	.AMDGPU.csdata,"",@progbits
; Kernel info:
; codeLenInByte = 6496
; TotalNumSgprs: 74
; NumVgprs: 28
; ScratchSize: 0
; MemoryBound: 0
; FloatMode: 240
; IeeeMode: 1
; LDSByteSize: 0 bytes/workgroup (compile time only)
; SGPRBlocks: 0
; VGPRBlocks: 3
; NumSGPRsForWavesPerEU: 74
; NumVGPRsForWavesPerEU: 28
; Occupancy: 16
; WaveLimiterHint : 0
; COMPUTE_PGM_RSRC2:SCRATCH_EN: 0
; COMPUTE_PGM_RSRC2:USER_SGPR: 2
; COMPUTE_PGM_RSRC2:TRAP_HANDLER: 0
; COMPUTE_PGM_RSRC2:TGID_X_EN: 1
; COMPUTE_PGM_RSRC2:TGID_Y_EN: 0
; COMPUTE_PGM_RSRC2:TGID_Z_EN: 0
; COMPUTE_PGM_RSRC2:TIDIG_COMP_CNT: 0
	.section	.text._ZN2at6native16triu_tril_kernelIN3c107complexIdEEiLb1ELi1ELb1EEEvNS_4cuda6detail10TensorInfoIT_T0_EENS7_IKS8_S9_EEllS9_,"axG",@progbits,_ZN2at6native16triu_tril_kernelIN3c107complexIdEEiLb1ELi1ELb1EEEvNS_4cuda6detail10TensorInfoIT_T0_EENS7_IKS8_S9_EEllS9_,comdat
	.protected	_ZN2at6native16triu_tril_kernelIN3c107complexIdEEiLb1ELi1ELb1EEEvNS_4cuda6detail10TensorInfoIT_T0_EENS7_IKS8_S9_EEllS9_ ; -- Begin function _ZN2at6native16triu_tril_kernelIN3c107complexIdEEiLb1ELi1ELb1EEEvNS_4cuda6detail10TensorInfoIT_T0_EENS7_IKS8_S9_EEllS9_
	.globl	_ZN2at6native16triu_tril_kernelIN3c107complexIdEEiLb1ELi1ELb1EEEvNS_4cuda6detail10TensorInfoIT_T0_EENS7_IKS8_S9_EEllS9_
	.p2align	8
	.type	_ZN2at6native16triu_tril_kernelIN3c107complexIdEEiLb1ELi1ELb1EEEvNS_4cuda6detail10TensorInfoIT_T0_EENS7_IKS8_S9_EEllS9_,@function
_ZN2at6native16triu_tril_kernelIN3c107complexIdEEiLb1ELi1ELb1EEEvNS_4cuda6detail10TensorInfoIT_T0_EENS7_IKS8_S9_EEllS9_: ; @_ZN2at6native16triu_tril_kernelIN3c107complexIdEEiLb1ELi1ELb1EEEvNS_4cuda6detail10TensorInfoIT_T0_EENS7_IKS8_S9_EEllS9_
; %bb.0:
	s_clause 0x1
	s_load_b32 s2, s[0:1], 0x1d4
	s_load_b128 s[4:7], s[0:1], 0x1b0
	v_mov_b32_e32 v2, 0
	s_mov_b32 s3, exec_lo
	s_delay_alu instid0(VALU_DEP_1)
	v_mov_b32_e32 v1, v2
	s_wait_kmcnt 0x0
	s_and_b32 s2, s2, 0xffff
	s_delay_alu instid0(VALU_DEP_1) | instid1(SALU_CYCLE_1)
	v_mad_co_u64_u32 v[0:1], null, s2, ttmp9, v[0:1]
	s_delay_alu instid0(VALU_DEP_1)
	v_cmpx_gt_i64_e64 s[6:7], v[0:1]
	s_cbranch_execz .LBB80_58
; %bb.1:
	s_clause 0x1
	s_load_b32 s20, s[0:1], 0x1a8
	s_load_b32 s8, s[0:1], 0x1c0
	s_add_nc_u64 s[10:11], s[0:1], 0xd8
	s_add_nc_u64 s[18:19], s[0:1], 0x1c8
	s_mov_b32 s56, 0
	s_wait_kmcnt 0x0
	s_ashr_i32 s21, s20, 31
	v_cvt_f32_u32_e32 v3, s8
	s_lshl_b64 s[22:23], s[20:21], 2
	s_add_co_i32 s9, s20, 6
	s_add_nc_u64 s[12:13], s[10:11], s[22:23]
	s_add_co_i32 s3, s20, -3
	s_clause 0x1
	s_load_b32 s14, s[12:13], 0x0
	s_load_b64 s[16:17], s[0:1], 0x0
	v_rcp_iflag_f32_e32 v3, v3
	s_load_b32 s18, s[18:19], 0x0
	s_and_b32 s19, s20, 7
	s_and_b32 s33, s9, 7
	s_ashr_i32 s9, s8, 31
	v_cmp_gt_i64_e64 s55, s[20:21], 2
	s_add_nc_u64 s[20:21], s[0:1], s[22:23]
	s_wait_kmcnt 0x0
	v_cvt_f32_u32_e32 v4, s14
	s_ashr_i32 s15, s14, 31
	s_cmp_lg_u32 s19, 2
	s_mul_i32 s54, s18, s2
	s_cselect_b32 s52, -1, 0
	v_rcp_iflag_f32_e32 v4, v4
	v_mul_f32_e32 v3, 0x4f7ffffe, v3
	s_cmp_gt_u32 s3, 6
	s_cselect_b32 s53, -1, 0
	s_sub_co_i32 s19, 0, s8
	s_wait_alu 0xfffe
	s_ashr_i32 s22, s9, 31
	s_ashr_i32 s24, s15, 31
	s_delay_alu instid0(TRANS32_DEP_1) | instskip(SKIP_1) | instid1(VALU_DEP_2)
	v_mul_f32_e32 v4, 0x4f7ffffe, v4
	v_cvt_u32_f32_e32 v3, v3
	v_cvt_u32_f32_e32 v24, v4
	s_delay_alu instid0(VALU_DEP_2) | instskip(SKIP_1) | instid1(VALU_DEP_1)
	v_mul_lo_u32 v5, s19, v3
	s_mov_b32 s19, 0
	v_mul_hi_u32 v5, v3, v5
	s_delay_alu instid0(VALU_DEP_1)
	v_add_nc_u32_e32 v25, v3, v5
	s_branch .LBB80_3
.LBB80_2:                               ;   in Loop: Header=BB80_3 Depth=1
	s_wait_alu 0xfffe
	s_or_b32 exec_lo, exec_lo, s23
	v_add_co_u32 v0, vcc_lo, v0, s54
	s_wait_alu 0xfffd
	v_add_co_ci_u32_e64 v1, null, 0, v1, vcc_lo
	s_delay_alu instid0(VALU_DEP_1) | instskip(SKIP_1) | instid1(SALU_CYCLE_1)
	v_cmp_le_i64_e32 vcc_lo, s[6:7], v[0:1]
	s_or_b32 s56, vcc_lo, s56
	s_and_not1_b32 exec_lo, exec_lo, s56
	s_cbranch_execz .LBB80_58
.LBB80_3:                               ; =>This Loop Header: Depth=1
                                        ;     Child Loop BB80_16 Depth 2
                                        ;     Child Loop BB80_22 Depth 2
	v_or_b32_e32 v3, s9, v1
                                        ; implicit-def: $vgpr4_vgpr5
	s_mov_b32 s2, exec_lo
	s_delay_alu instid0(VALU_DEP_1)
	v_cmpx_ne_u64_e32 0, v[2:3]
	s_wait_alu 0xfffe
	s_xor_b32 s25, exec_lo, s2
	s_cbranch_execz .LBB80_5
; %bb.4:                                ;   in Loop: Header=BB80_3 Depth=1
	s_mov_b32 s23, s22
	v_ashrrev_i32_e32 v9, 31, v1
	s_wait_alu 0xfffe
	s_add_nc_u64 s[26:27], s[8:9], s[22:23]
	s_wait_alu 0xfffe
	s_xor_b64 s[26:27], s[26:27], s[22:23]
	v_add_co_u32 v3, vcc_lo, v0, v9
	s_wait_alu 0xfffe
	s_cvt_f32_u32 s2, s26
	s_cvt_f32_u32 s18, s27
	s_sub_nc_u64 s[30:31], 0, s[26:27]
	s_wait_alu 0xfffd
	v_add_co_ci_u32_e64 v4, null, v1, v9, vcc_lo
	s_wait_alu 0xfffe
	s_fmamk_f32 s2, s18, 0x4f800000, s2
	v_xor_b32_e32 v10, v3, v9
	s_delay_alu instid0(VALU_DEP_2) | instskip(SKIP_2) | instid1(TRANS32_DEP_1)
	v_xor_b32_e32 v11, v4, v9
	s_wait_alu 0xfffe
	v_s_rcp_f32 s2, s2
	s_mul_f32 s2, s2, 0x5f7ffffc
	s_wait_alu 0xfffe
	s_delay_alu instid0(SALU_CYCLE_2) | instskip(SKIP_1) | instid1(SALU_CYCLE_2)
	s_mul_f32 s18, s2, 0x2f800000
	s_wait_alu 0xfffe
	s_trunc_f32 s18, s18
	s_wait_alu 0xfffe
	s_delay_alu instid0(SALU_CYCLE_2) | instskip(SKIP_2) | instid1(SALU_CYCLE_1)
	s_fmamk_f32 s2, s18, 0xcf800000, s2
	s_cvt_u32_f32 s29, s18
	s_wait_alu 0xfffe
	s_cvt_u32_f32 s28, s2
	s_wait_alu 0xfffe
	s_delay_alu instid0(SALU_CYCLE_2)
	s_mul_u64 s[34:35], s[30:31], s[28:29]
	s_wait_alu 0xfffe
	s_mul_hi_u32 s37, s28, s35
	s_mul_i32 s36, s28, s35
	s_mul_hi_u32 s18, s28, s34
	s_mul_i32 s23, s29, s34
	s_wait_alu 0xfffe
	s_add_nc_u64 s[36:37], s[18:19], s[36:37]
	s_mul_hi_u32 s2, s29, s34
	s_mul_hi_u32 s38, s29, s35
	s_wait_alu 0xfffe
	s_add_co_u32 s18, s36, s23
	s_add_co_ci_u32 s18, s37, s2
	s_mul_i32 s34, s29, s35
	s_add_co_ci_u32 s35, s38, 0
	s_wait_alu 0xfffe
	s_add_nc_u64 s[34:35], s[18:19], s[34:35]
	s_wait_alu 0xfffe
	s_add_co_u32 s28, s28, s34
	s_cselect_b32 s2, -1, 0
	s_wait_alu 0xfffe
	s_cmp_lg_u32 s2, 0
	s_add_co_ci_u32 s29, s29, s35
	s_wait_alu 0xfffe
	s_mul_u64 s[30:31], s[30:31], s[28:29]
	s_wait_alu 0xfffe
	s_mul_hi_u32 s35, s28, s31
	s_mul_i32 s34, s28, s31
	s_mul_hi_u32 s18, s28, s30
	s_mul_i32 s23, s29, s30
	s_wait_alu 0xfffe
	s_add_nc_u64 s[34:35], s[18:19], s[34:35]
	s_mul_hi_u32 s2, s29, s30
	s_mul_hi_u32 s36, s29, s31
	s_wait_alu 0xfffe
	s_add_co_u32 s18, s34, s23
	s_add_co_ci_u32 s18, s35, s2
	s_mul_i32 s30, s29, s31
	s_add_co_ci_u32 s31, s36, 0
	s_wait_alu 0xfffe
	s_add_nc_u64 s[30:31], s[18:19], s[30:31]
	s_wait_alu 0xfffe
	s_add_co_u32 s2, s28, s30
	s_cselect_b32 s18, -1, 0
	s_wait_alu 0xfffe
	v_mul_hi_u32 v12, v10, s2
	s_cmp_lg_u32 s18, 0
	v_mad_co_u64_u32 v[5:6], null, v11, s2, 0
	s_add_co_ci_u32 s18, s29, s31
	s_wait_alu 0xfffe
	v_mad_co_u64_u32 v[3:4], null, v10, s18, 0
	v_mad_co_u64_u32 v[7:8], null, v11, s18, 0
	s_delay_alu instid0(VALU_DEP_2) | instskip(SKIP_1) | instid1(VALU_DEP_3)
	v_add_co_u32 v3, vcc_lo, v12, v3
	s_wait_alu 0xfffd
	v_add_co_ci_u32_e64 v4, null, 0, v4, vcc_lo
	s_delay_alu instid0(VALU_DEP_2) | instskip(SKIP_1) | instid1(VALU_DEP_2)
	v_add_co_u32 v3, vcc_lo, v3, v5
	s_wait_alu 0xfffd
	v_add_co_ci_u32_e32 v3, vcc_lo, v4, v6, vcc_lo
	s_wait_alu 0xfffd
	v_add_co_ci_u32_e32 v4, vcc_lo, 0, v8, vcc_lo
	s_delay_alu instid0(VALU_DEP_2) | instskip(SKIP_1) | instid1(VALU_DEP_2)
	v_add_co_u32 v5, vcc_lo, v3, v7
	s_wait_alu 0xfffd
	v_add_co_ci_u32_e64 v6, null, 0, v4, vcc_lo
	s_delay_alu instid0(VALU_DEP_2) | instskip(SKIP_1) | instid1(VALU_DEP_3)
	v_mul_lo_u32 v7, s27, v5
	v_mad_co_u64_u32 v[3:4], null, s26, v5, 0
	v_mul_lo_u32 v8, s26, v6
	s_delay_alu instid0(VALU_DEP_2) | instskip(NEXT) | instid1(VALU_DEP_2)
	v_sub_co_u32 v3, vcc_lo, v10, v3
	v_add3_u32 v4, v4, v8, v7
	v_add_co_u32 v8, s2, v5, 2
	s_wait_alu 0xf1ff
	v_add_co_ci_u32_e64 v10, null, 0, v6, s2
	s_delay_alu instid0(VALU_DEP_3) | instskip(SKIP_3) | instid1(VALU_DEP_3)
	v_sub_nc_u32_e32 v7, v11, v4
	v_sub_co_u32 v12, s2, v3, s26
	s_wait_alu 0xfffd
	v_sub_co_ci_u32_e64 v4, null, v11, v4, vcc_lo
	v_subrev_co_ci_u32_e64 v7, null, s27, v7, vcc_lo
	s_delay_alu instid0(VALU_DEP_3) | instskip(SKIP_1) | instid1(VALU_DEP_2)
	v_cmp_le_u32_e32 vcc_lo, s26, v12
	s_wait_alu 0xf1ff
	v_subrev_co_ci_u32_e64 v7, null, 0, v7, s2
	s_wait_alu 0xfffd
	v_cndmask_b32_e64 v11, 0, -1, vcc_lo
	s_delay_alu instid0(VALU_DEP_2)
	v_cmp_le_u32_e32 vcc_lo, s27, v7
	s_wait_alu 0xfffd
	v_cndmask_b32_e64 v12, 0, -1, vcc_lo
	v_cmp_le_u32_e32 vcc_lo, s26, v3
	s_wait_alu 0xfffd
	v_cndmask_b32_e64 v3, 0, -1, vcc_lo
	;; [unrolled: 3-line block ×3, first 2 shown]
	v_cmp_eq_u32_e32 vcc_lo, s27, v7
	s_wait_alu 0xfffd
	v_cndmask_b32_e32 v7, v12, v11, vcc_lo
	v_add_co_u32 v11, vcc_lo, v5, 1
	s_wait_alu 0xfffd
	v_add_co_ci_u32_e64 v12, null, 0, v6, vcc_lo
	v_cmp_eq_u32_e32 vcc_lo, s27, v4
	s_wait_alu 0xfffd
	v_cndmask_b32_e32 v3, v13, v3, vcc_lo
	v_cmp_ne_u32_e32 vcc_lo, 0, v7
	v_xor_b32_e32 v7, s22, v9
	s_wait_alu 0xfffd
	v_cndmask_b32_e32 v4, v12, v10, vcc_lo
	v_cmp_ne_u32_e64 s2, 0, v3
	v_cndmask_b32_e32 v3, v11, v8, vcc_lo
	s_wait_alu 0xf1ff
	s_delay_alu instid0(VALU_DEP_2) | instskip(NEXT) | instid1(VALU_DEP_2)
	v_cndmask_b32_e64 v4, v6, v4, s2
	v_cndmask_b32_e64 v3, v5, v3, s2
	s_delay_alu instid0(VALU_DEP_2) | instskip(NEXT) | instid1(VALU_DEP_2)
	v_xor_b32_e32 v5, v4, v7
	v_xor_b32_e32 v3, v3, v7
	s_delay_alu instid0(VALU_DEP_1) | instskip(SKIP_1) | instid1(VALU_DEP_3)
	v_sub_co_u32 v4, vcc_lo, v3, v7
	s_wait_alu 0xfffd
	v_sub_co_ci_u32_e64 v5, null, v5, v7, vcc_lo
.LBB80_5:                               ;   in Loop: Header=BB80_3 Depth=1
	s_wait_alu 0xfffe
	s_and_not1_saveexec_b32 s2, s25
	s_cbranch_execz .LBB80_7
; %bb.6:                                ;   in Loop: Header=BB80_3 Depth=1
	v_mul_hi_u32 v3, v0, v25
	s_delay_alu instid0(VALU_DEP_1) | instskip(NEXT) | instid1(VALU_DEP_1)
	v_mul_lo_u32 v4, v3, s8
	v_sub_nc_u32_e32 v4, v0, v4
	s_delay_alu instid0(VALU_DEP_1) | instskip(SKIP_2) | instid1(VALU_DEP_2)
	v_subrev_nc_u32_e32 v6, s8, v4
	v_cmp_le_u32_e32 vcc_lo, s8, v4
	s_wait_alu 0xfffd
	v_dual_cndmask_b32 v4, v4, v6 :: v_dual_add_nc_u32 v5, 1, v3
	s_delay_alu instid0(VALU_DEP_1) | instskip(NEXT) | instid1(VALU_DEP_2)
	v_cndmask_b32_e32 v3, v3, v5, vcc_lo
	v_cmp_le_u32_e32 vcc_lo, s8, v4
	s_delay_alu instid0(VALU_DEP_2) | instskip(SKIP_1) | instid1(VALU_DEP_1)
	v_add_nc_u32_e32 v5, 1, v3
	s_wait_alu 0xfffd
	v_dual_cndmask_b32 v4, v3, v5 :: v_dual_mov_b32 v5, v2
.LBB80_7:                               ;   in Loop: Header=BB80_3 Depth=1
	s_wait_alu 0xfffe
	s_or_b32 exec_lo, exec_lo, s2
	s_delay_alu instid0(VALU_DEP_1) | instskip(SKIP_1) | instid1(VALU_DEP_1)
	v_or_b32_e32 v3, s15, v5
                                        ; implicit-def: $vgpr6_vgpr7
	s_mov_b32 s2, exec_lo
	v_cmpx_ne_u64_e32 0, v[2:3]
	s_wait_alu 0xfffe
	s_xor_b32 s23, exec_lo, s2
	s_cbranch_execz .LBB80_9
; %bb.8:                                ;   in Loop: Header=BB80_3 Depth=1
	s_mov_b32 s25, s24
	v_ashrrev_i32_e32 v3, 31, v5
	s_wait_alu 0xfffe
	s_add_nc_u64 s[26:27], s[14:15], s[24:25]
	s_wait_alu 0xfffe
	s_xor_b64 s[26:27], s[26:27], s[24:25]
	v_add_co_u32 v6, vcc_lo, v4, v3
	s_wait_alu 0xfffe
	s_cvt_f32_u32 s2, s26
	s_cvt_f32_u32 s18, s27
	s_sub_nc_u64 s[30:31], 0, s[26:27]
	s_wait_alu 0xfffd
	v_add_co_ci_u32_e64 v5, null, v5, v3, vcc_lo
	s_wait_alu 0xfffe
	s_fmamk_f32 s2, s18, 0x4f800000, s2
	v_xor_b32_e32 v11, v6, v3
	s_delay_alu instid0(VALU_DEP_2) | instskip(SKIP_3) | instid1(TRANS32_DEP_1)
	v_xor_b32_e32 v12, v5, v3
	s_wait_alu 0xfffe
	v_s_rcp_f32 s2, s2
	v_xor_b32_e32 v3, s24, v3
	s_mul_f32 s2, s2, 0x5f7ffffc
	s_wait_alu 0xfffe
	s_delay_alu instid0(SALU_CYCLE_2) | instskip(SKIP_1) | instid1(SALU_CYCLE_2)
	s_mul_f32 s18, s2, 0x2f800000
	s_wait_alu 0xfffe
	s_trunc_f32 s18, s18
	s_wait_alu 0xfffe
	s_delay_alu instid0(SALU_CYCLE_2) | instskip(SKIP_2) | instid1(SALU_CYCLE_1)
	s_fmamk_f32 s2, s18, 0xcf800000, s2
	s_cvt_u32_f32 s29, s18
	s_wait_alu 0xfffe
	s_cvt_u32_f32 s28, s2
	s_wait_alu 0xfffe
	s_delay_alu instid0(SALU_CYCLE_2)
	s_mul_u64 s[34:35], s[30:31], s[28:29]
	s_wait_alu 0xfffe
	s_mul_hi_u32 s37, s28, s35
	s_mul_i32 s36, s28, s35
	s_mul_hi_u32 s18, s28, s34
	s_mul_i32 s25, s29, s34
	s_wait_alu 0xfffe
	s_add_nc_u64 s[36:37], s[18:19], s[36:37]
	s_mul_hi_u32 s2, s29, s34
	s_mul_hi_u32 s38, s29, s35
	s_wait_alu 0xfffe
	s_add_co_u32 s18, s36, s25
	s_add_co_ci_u32 s18, s37, s2
	s_mul_i32 s34, s29, s35
	s_add_co_ci_u32 s35, s38, 0
	s_wait_alu 0xfffe
	s_add_nc_u64 s[34:35], s[18:19], s[34:35]
	s_wait_alu 0xfffe
	s_add_co_u32 s28, s28, s34
	s_cselect_b32 s2, -1, 0
	s_wait_alu 0xfffe
	s_cmp_lg_u32 s2, 0
	s_add_co_ci_u32 s29, s29, s35
	s_wait_alu 0xfffe
	s_mul_u64 s[30:31], s[30:31], s[28:29]
	s_wait_alu 0xfffe
	s_mul_hi_u32 s35, s28, s31
	s_mul_i32 s34, s28, s31
	s_mul_hi_u32 s18, s28, s30
	s_mul_i32 s25, s29, s30
	s_wait_alu 0xfffe
	s_add_nc_u64 s[34:35], s[18:19], s[34:35]
	s_mul_hi_u32 s2, s29, s30
	s_mul_hi_u32 s36, s29, s31
	s_wait_alu 0xfffe
	s_add_co_u32 s18, s34, s25
	s_add_co_ci_u32 s18, s35, s2
	s_mul_i32 s30, s29, s31
	s_add_co_ci_u32 s31, s36, 0
	s_wait_alu 0xfffe
	s_add_nc_u64 s[30:31], s[18:19], s[30:31]
	s_wait_alu 0xfffe
	s_add_co_u32 s2, s28, s30
	s_cselect_b32 s18, -1, 0
	s_wait_alu 0xfffe
	v_mul_hi_u32 v13, v11, s2
	s_cmp_lg_u32 s18, 0
	v_mad_co_u64_u32 v[7:8], null, v12, s2, 0
	s_add_co_ci_u32 s18, s29, s31
	s_wait_alu 0xfffe
	v_mad_co_u64_u32 v[5:6], null, v11, s18, 0
	v_mad_co_u64_u32 v[9:10], null, v12, s18, 0
	s_delay_alu instid0(VALU_DEP_2) | instskip(SKIP_1) | instid1(VALU_DEP_3)
	v_add_co_u32 v5, vcc_lo, v13, v5
	s_wait_alu 0xfffd
	v_add_co_ci_u32_e64 v6, null, 0, v6, vcc_lo
	s_delay_alu instid0(VALU_DEP_2) | instskip(SKIP_1) | instid1(VALU_DEP_2)
	v_add_co_u32 v5, vcc_lo, v5, v7
	s_wait_alu 0xfffd
	v_add_co_ci_u32_e32 v5, vcc_lo, v6, v8, vcc_lo
	s_wait_alu 0xfffd
	v_add_co_ci_u32_e32 v6, vcc_lo, 0, v10, vcc_lo
	s_delay_alu instid0(VALU_DEP_2) | instskip(SKIP_1) | instid1(VALU_DEP_2)
	v_add_co_u32 v7, vcc_lo, v5, v9
	s_wait_alu 0xfffd
	v_add_co_ci_u32_e64 v8, null, 0, v6, vcc_lo
	s_delay_alu instid0(VALU_DEP_2) | instskip(SKIP_1) | instid1(VALU_DEP_3)
	v_mul_lo_u32 v9, s27, v7
	v_mad_co_u64_u32 v[5:6], null, s26, v7, 0
	v_mul_lo_u32 v10, s26, v8
	s_delay_alu instid0(VALU_DEP_2) | instskip(NEXT) | instid1(VALU_DEP_2)
	v_sub_co_u32 v5, vcc_lo, v11, v5
	v_add3_u32 v6, v6, v10, v9
	v_add_co_u32 v10, s2, v7, 2
	s_wait_alu 0xf1ff
	v_add_co_ci_u32_e64 v11, null, 0, v8, s2
	s_delay_alu instid0(VALU_DEP_3) | instskip(SKIP_3) | instid1(VALU_DEP_3)
	v_sub_nc_u32_e32 v9, v12, v6
	v_sub_co_u32 v13, s2, v5, s26
	s_wait_alu 0xfffd
	v_sub_co_ci_u32_e64 v6, null, v12, v6, vcc_lo
	v_subrev_co_ci_u32_e64 v9, null, s27, v9, vcc_lo
	s_delay_alu instid0(VALU_DEP_3) | instskip(SKIP_1) | instid1(VALU_DEP_2)
	v_cmp_le_u32_e32 vcc_lo, s26, v13
	s_wait_alu 0xf1ff
	v_subrev_co_ci_u32_e64 v9, null, 0, v9, s2
	s_wait_alu 0xfffd
	v_cndmask_b32_e64 v12, 0, -1, vcc_lo
	s_delay_alu instid0(VALU_DEP_2)
	v_cmp_le_u32_e32 vcc_lo, s27, v9
	s_wait_alu 0xfffd
	v_cndmask_b32_e64 v13, 0, -1, vcc_lo
	v_cmp_le_u32_e32 vcc_lo, s26, v5
	s_wait_alu 0xfffd
	v_cndmask_b32_e64 v5, 0, -1, vcc_lo
	;; [unrolled: 3-line block ×3, first 2 shown]
	v_cmp_eq_u32_e32 vcc_lo, s27, v9
	s_wait_alu 0xfffd
	v_cndmask_b32_e32 v9, v13, v12, vcc_lo
	v_add_co_u32 v12, vcc_lo, v7, 1
	s_wait_alu 0xfffd
	v_add_co_ci_u32_e64 v13, null, 0, v8, vcc_lo
	v_cmp_eq_u32_e32 vcc_lo, s27, v6
	s_wait_alu 0xfffd
	v_cndmask_b32_e32 v5, v14, v5, vcc_lo
	v_cmp_ne_u32_e32 vcc_lo, 0, v9
	s_wait_alu 0xfffd
	v_cndmask_b32_e32 v6, v13, v11, vcc_lo
	s_delay_alu instid0(VALU_DEP_3) | instskip(SKIP_2) | instid1(VALU_DEP_2)
	v_cmp_ne_u32_e64 s2, 0, v5
	v_cndmask_b32_e32 v5, v12, v10, vcc_lo
	s_wait_alu 0xf1ff
	v_cndmask_b32_e64 v6, v8, v6, s2
	s_delay_alu instid0(VALU_DEP_2) | instskip(NEXT) | instid1(VALU_DEP_2)
	v_cndmask_b32_e64 v5, v7, v5, s2
	v_xor_b32_e32 v7, v6, v3
	s_delay_alu instid0(VALU_DEP_2) | instskip(NEXT) | instid1(VALU_DEP_1)
	v_xor_b32_e32 v5, v5, v3
	v_sub_co_u32 v6, vcc_lo, v5, v3
	s_wait_alu 0xfffd
	s_delay_alu instid0(VALU_DEP_3)
	v_sub_co_ci_u32_e64 v7, null, v7, v3, vcc_lo
.LBB80_9:                               ;   in Loop: Header=BB80_3 Depth=1
	s_wait_alu 0xfffe
	s_and_not1_saveexec_b32 s2, s23
	s_cbranch_execz .LBB80_11
; %bb.10:                               ;   in Loop: Header=BB80_3 Depth=1
	s_sub_co_i32 s18, 0, s14
	s_wait_alu 0xfffe
	v_mul_lo_u32 v3, s18, v24
	s_delay_alu instid0(VALU_DEP_1) | instskip(NEXT) | instid1(VALU_DEP_1)
	v_mul_hi_u32 v3, v24, v3
	v_add_nc_u32_e32 v3, v24, v3
	s_delay_alu instid0(VALU_DEP_1) | instskip(NEXT) | instid1(VALU_DEP_1)
	v_mul_hi_u32 v3, v4, v3
	v_mul_lo_u32 v5, v3, s14
	v_add_nc_u32_e32 v6, 1, v3
	s_delay_alu instid0(VALU_DEP_2) | instskip(NEXT) | instid1(VALU_DEP_1)
	v_sub_nc_u32_e32 v5, v4, v5
	v_subrev_nc_u32_e32 v7, s14, v5
	v_cmp_le_u32_e32 vcc_lo, s14, v5
	s_wait_alu 0xfffd
	s_delay_alu instid0(VALU_DEP_2) | instskip(SKIP_2) | instid1(VALU_DEP_3)
	v_cndmask_b32_e32 v5, v5, v7, vcc_lo
	v_mov_b32_e32 v7, v2
	v_cndmask_b32_e32 v3, v3, v6, vcc_lo
	v_cmp_le_u32_e32 vcc_lo, s14, v5
	s_delay_alu instid0(VALU_DEP_2) | instskip(SKIP_1) | instid1(VALU_DEP_1)
	v_add_nc_u32_e32 v6, 1, v3
	s_wait_alu 0xfffd
	v_cndmask_b32_e32 v6, v3, v6, vcc_lo
.LBB80_11:                              ;   in Loop: Header=BB80_3 Depth=1
	s_wait_alu 0xfffe
	s_or_b32 exec_lo, exec_lo, s2
	v_mad_co_u64_u32 v[8:9], null, v4, s8, 0
	s_delay_alu instid0(VALU_DEP_2) | instskip(SKIP_3) | instid1(VALU_DEP_1)
	v_mad_co_u64_u32 v[9:10], null, v6, s14, 0
	s_mov_b32 s23, exec_lo
	v_sub_co_u32 v26, null, v0, v8
	v_sub_co_u32 v3, null, v4, v9
	v_sub_nc_u32_e32 v4, v26, v3
	s_delay_alu instid0(VALU_DEP_1) | instskip(NEXT) | instid1(VALU_DEP_1)
	v_ashrrev_i32_e32 v5, 31, v4
	v_cmpx_gt_i64_e64 s[4:5], v[4:5]
	s_cbranch_execz .LBB80_2
; %bb.12:                               ;   in Loop: Header=BB80_3 Depth=1
	s_load_b64 s[26:27], s[20:21], 0x64
	s_and_not1_b32 vcc_lo, exec_lo, s55
	s_wait_kmcnt 0x0
	v_mul_lo_u32 v4, s27, v26
	s_delay_alu instid0(VALU_DEP_1)
	v_mad_co_u64_u32 v[4:5], null, s26, v3, v[4:5]
	s_wait_alu 0xfffe
	s_cbranch_vccnz .LBB80_56
; %bb.13:                               ;   in Loop: Header=BB80_3 Depth=1
	s_mov_b32 s25, s33
	s_and_not1_b32 vcc_lo, exec_lo, s52
	s_mov_b32 s18, s3
	s_mov_b32 s2, s3
	s_wait_alu 0xfffe
	s_cbranch_vccz .LBB80_16
; %bb.14:                               ;   in Loop: Header=BB80_3 Depth=1
	s_and_not1_b32 vcc_lo, exec_lo, s53
	s_wait_alu 0xfffe
	s_cbranch_vccz .LBB80_21
	s_branch .LBB80_56
.LBB80_15:                              ;   in Loop: Header=BB80_16 Depth=2
	s_wait_alu 0xfffe
	s_or_b32 exec_lo, exec_lo, s2
	s_add_nc_u64 s[26:27], s[0:1], s[26:27]
	v_mul_lo_u32 v3, v8, s28
	s_load_b32 s2, s[26:27], 0x6c
	s_add_co_i32 s25, s25, -1
	s_add_co_i32 s18, s18, -1
	s_wait_alu 0xfffe
	s_cmp_lg_u32 s25, 0
	s_delay_alu instid0(VALU_DEP_1) | instskip(SKIP_2) | instid1(VALU_DEP_2)
	v_sub_nc_u32_e32 v3, v6, v3
	v_dual_mov_b32 v6, v8 :: v_dual_mov_b32 v7, v9
	s_wait_kmcnt 0x0
	v_mad_co_u64_u32 v[4:5], null, s2, v3, v[4:5]
	s_cbranch_scc0 .LBB80_20
.LBB80_16:                              ;   Parent Loop BB80_3 Depth=1
                                        ; =>  This Inner Loop Header: Depth=2
	s_lshl_b64 s[26:27], s[18:19], 2
                                        ; implicit-def: $vgpr8_vgpr9
	s_mov_b32 s2, exec_lo
	s_wait_alu 0xfffe
	s_add_nc_u64 s[28:29], s[10:11], s[26:27]
	s_load_b32 s28, s[28:29], 0x8
	s_wait_kmcnt 0x0
	s_ashr_i32 s29, s28, 31
	s_wait_alu 0xfffe
	v_or_b32_e32 v3, s29, v7
	s_delay_alu instid0(VALU_DEP_1)
	v_cmpx_ne_u64_e32 0, v[2:3]
	s_xor_b32 s36, exec_lo, s2
	s_cbranch_execz .LBB80_18
; %bb.17:                               ;   in Loop: Header=BB80_16 Depth=2
	s_ashr_i32 s30, s29, 31
	s_mov_b32 s43, s19
	s_wait_alu 0xfffe
	s_mov_b32 s31, s30
	s_mov_b32 s47, s19
	s_wait_alu 0xfffe
	s_add_nc_u64 s[34:35], s[28:29], s[30:31]
	v_ashrrev_i32_e32 v3, 31, v7
	s_wait_alu 0xfffe
	s_xor_b64 s[34:35], s[34:35], s[30:31]
	s_wait_alu 0xfffe
	s_cvt_f32_u32 s2, s34
	s_cvt_f32_u32 s29, s35
	s_sub_nc_u64 s[40:41], 0, s[34:35]
	v_add_co_u32 v5, vcc_lo, v6, v3
	s_wait_alu 0xfffe
	s_fmamk_f32 s2, s29, 0x4f800000, s2
	s_wait_alu 0xfffd
	v_add_co_ci_u32_e64 v7, null, v7, v3, vcc_lo
	v_xor_b32_e32 v5, v5, v3
	s_wait_alu 0xfffe
	v_s_rcp_f32 s2, s2
	s_delay_alu instid0(VALU_DEP_2) | instskip(SKIP_1) | instid1(TRANS32_DEP_1)
	v_xor_b32_e32 v13, v7, v3
	v_xor_b32_e32 v3, s30, v3
	s_mul_f32 s2, s2, 0x5f7ffffc
	s_wait_alu 0xfffe
	s_delay_alu instid0(SALU_CYCLE_2) | instskip(SKIP_1) | instid1(SALU_CYCLE_2)
	s_mul_f32 s29, s2, 0x2f800000
	s_wait_alu 0xfffe
	s_trunc_f32 s29, s29
	s_wait_alu 0xfffe
	s_delay_alu instid0(SALU_CYCLE_2) | instskip(SKIP_2) | instid1(SALU_CYCLE_1)
	s_fmamk_f32 s2, s29, 0xcf800000, s2
	s_cvt_u32_f32 s39, s29
	s_wait_alu 0xfffe
	s_cvt_u32_f32 s38, s2
	s_wait_alu 0xfffe
	s_delay_alu instid0(SALU_CYCLE_2)
	s_mul_u64 s[44:45], s[40:41], s[38:39]
	s_wait_alu 0xfffe
	s_mul_hi_u32 s49, s38, s45
	s_mul_i32 s48, s38, s45
	s_mul_hi_u32 s42, s38, s44
	s_mul_i32 s29, s39, s44
	s_wait_alu 0xfffe
	s_add_nc_u64 s[42:43], s[42:43], s[48:49]
	s_mul_hi_u32 s2, s39, s44
	s_mul_hi_u32 s31, s39, s45
	s_wait_alu 0xfffe
	s_add_co_u32 s29, s42, s29
	s_add_co_ci_u32 s46, s43, s2
	s_mul_i32 s44, s39, s45
	s_add_co_ci_u32 s45, s31, 0
	s_wait_alu 0xfffe
	s_add_nc_u64 s[42:43], s[46:47], s[44:45]
	s_mov_b32 s45, s19
	s_wait_alu 0xfffe
	s_add_co_u32 s38, s38, s42
	s_cselect_b32 s2, -1, 0
	s_wait_alu 0xfffe
	s_cmp_lg_u32 s2, 0
	s_add_co_ci_u32 s39, s39, s43
	s_mov_b32 s43, s19
	s_wait_alu 0xfffe
	s_mul_u64 s[40:41], s[40:41], s[38:39]
	s_wait_alu 0xfffe
	s_mul_hi_u32 s47, s38, s41
	s_mul_i32 s46, s38, s41
	s_mul_hi_u32 s44, s38, s40
	s_mul_i32 s29, s39, s40
	s_wait_alu 0xfffe
	s_add_nc_u64 s[44:45], s[44:45], s[46:47]
	s_mul_hi_u32 s2, s39, s40
	s_mul_hi_u32 s31, s39, s41
	s_wait_alu 0xfffe
	s_add_co_u32 s29, s44, s29
	s_add_co_ci_u32 s42, s45, s2
	s_mul_i32 s40, s39, s41
	s_add_co_ci_u32 s41, s31, 0
	s_wait_alu 0xfffe
	s_add_nc_u64 s[40:41], s[42:43], s[40:41]
	s_wait_alu 0xfffe
	s_add_co_u32 s2, s38, s40
	s_cselect_b32 s29, -1, 0
	s_wait_alu 0xfffe
	v_mul_hi_u32 v14, v5, s2
	s_cmp_lg_u32 s29, 0
	v_mad_co_u64_u32 v[9:10], null, v13, s2, 0
	s_add_co_ci_u32 s29, s39, s41
	s_wait_alu 0xfffe
	v_mad_co_u64_u32 v[7:8], null, v5, s29, 0
	v_mad_co_u64_u32 v[11:12], null, v13, s29, 0
	s_delay_alu instid0(VALU_DEP_2) | instskip(SKIP_1) | instid1(VALU_DEP_3)
	v_add_co_u32 v7, vcc_lo, v14, v7
	s_wait_alu 0xfffd
	v_add_co_ci_u32_e64 v8, null, 0, v8, vcc_lo
	s_delay_alu instid0(VALU_DEP_2) | instskip(SKIP_1) | instid1(VALU_DEP_2)
	v_add_co_u32 v7, vcc_lo, v7, v9
	s_wait_alu 0xfffd
	v_add_co_ci_u32_e32 v7, vcc_lo, v8, v10, vcc_lo
	s_wait_alu 0xfffd
	v_add_co_ci_u32_e32 v8, vcc_lo, 0, v12, vcc_lo
	s_delay_alu instid0(VALU_DEP_2) | instskip(SKIP_1) | instid1(VALU_DEP_2)
	v_add_co_u32 v9, vcc_lo, v7, v11
	s_wait_alu 0xfffd
	v_add_co_ci_u32_e64 v10, null, 0, v8, vcc_lo
	s_delay_alu instid0(VALU_DEP_2) | instskip(SKIP_1) | instid1(VALU_DEP_3)
	v_mul_lo_u32 v11, s35, v9
	v_mad_co_u64_u32 v[7:8], null, s34, v9, 0
	v_mul_lo_u32 v12, s34, v10
	s_delay_alu instid0(VALU_DEP_2) | instskip(NEXT) | instid1(VALU_DEP_2)
	v_sub_co_u32 v5, vcc_lo, v5, v7
	v_add3_u32 v8, v8, v12, v11
	s_delay_alu instid0(VALU_DEP_1) | instskip(SKIP_2) | instid1(VALU_DEP_2)
	v_sub_nc_u32_e32 v11, v13, v8
	s_wait_alu 0xfffd
	v_sub_co_ci_u32_e64 v8, null, v13, v8, vcc_lo
	v_subrev_co_ci_u32_e64 v7, null, s35, v11, vcc_lo
	v_add_co_u32 v11, s2, v9, 2
	s_wait_alu 0xf1ff
	v_add_co_ci_u32_e64 v12, null, 0, v10, s2
	v_sub_co_u32 v14, s2, v5, s34
	s_wait_alu 0xf1ff
	v_subrev_co_ci_u32_e64 v7, null, 0, v7, s2
	s_delay_alu instid0(VALU_DEP_2) | instskip(SKIP_2) | instid1(VALU_DEP_3)
	v_cmp_le_u32_e32 vcc_lo, s34, v14
	s_wait_alu 0xfffd
	v_cndmask_b32_e64 v13, 0, -1, vcc_lo
	v_cmp_le_u32_e32 vcc_lo, s35, v7
	s_wait_alu 0xfffd
	v_cndmask_b32_e64 v14, 0, -1, vcc_lo
	;; [unrolled: 3-line block ×4, first 2 shown]
	v_cmp_eq_u32_e32 vcc_lo, s35, v7
	s_wait_alu 0xfffd
	v_cndmask_b32_e32 v7, v14, v13, vcc_lo
	v_add_co_u32 v13, vcc_lo, v9, 1
	s_wait_alu 0xfffd
	v_add_co_ci_u32_e64 v14, null, 0, v10, vcc_lo
	v_cmp_eq_u32_e32 vcc_lo, s35, v8
	s_wait_alu 0xfffd
	v_cndmask_b32_e32 v5, v15, v5, vcc_lo
	v_cmp_ne_u32_e32 vcc_lo, 0, v7
	s_delay_alu instid0(VALU_DEP_2) | instskip(SKIP_4) | instid1(VALU_DEP_2)
	v_cmp_ne_u32_e64 s2, 0, v5
	s_wait_alu 0xfffd
	v_cndmask_b32_e32 v5, v13, v11, vcc_lo
	v_cndmask_b32_e32 v7, v14, v12, vcc_lo
	s_wait_alu 0xf1ff
	v_cndmask_b32_e64 v5, v9, v5, s2
	s_delay_alu instid0(VALU_DEP_2) | instskip(NEXT) | instid1(VALU_DEP_2)
	v_cndmask_b32_e64 v7, v10, v7, s2
	v_xor_b32_e32 v5, v5, v3
	s_delay_alu instid0(VALU_DEP_2) | instskip(NEXT) | instid1(VALU_DEP_2)
	v_xor_b32_e32 v7, v7, v3
	v_sub_co_u32 v8, vcc_lo, v5, v3
	s_wait_alu 0xfffd
	s_delay_alu instid0(VALU_DEP_2)
	v_sub_co_ci_u32_e64 v9, null, v7, v3, vcc_lo
.LBB80_18:                              ;   in Loop: Header=BB80_16 Depth=2
	s_wait_alu 0xfffe
	s_and_not1_saveexec_b32 s2, s36
	s_cbranch_execz .LBB80_15
; %bb.19:                               ;   in Loop: Header=BB80_16 Depth=2
	v_cvt_f32_u32_e32 v3, s28
	s_sub_co_i32 s29, 0, s28
	v_mov_b32_e32 v9, v2
	s_delay_alu instid0(VALU_DEP_2) | instskip(NEXT) | instid1(TRANS32_DEP_1)
	v_rcp_iflag_f32_e32 v3, v3
	v_mul_f32_e32 v3, 0x4f7ffffe, v3
	s_delay_alu instid0(VALU_DEP_1) | instskip(SKIP_1) | instid1(VALU_DEP_1)
	v_cvt_u32_f32_e32 v3, v3
	s_wait_alu 0xfffe
	v_mul_lo_u32 v5, s29, v3
	s_delay_alu instid0(VALU_DEP_1) | instskip(NEXT) | instid1(VALU_DEP_1)
	v_mul_hi_u32 v5, v3, v5
	v_add_nc_u32_e32 v3, v3, v5
	s_delay_alu instid0(VALU_DEP_1) | instskip(NEXT) | instid1(VALU_DEP_1)
	v_mul_hi_u32 v3, v6, v3
	v_mul_lo_u32 v5, v3, s28
	v_add_nc_u32_e32 v7, 1, v3
	s_delay_alu instid0(VALU_DEP_2) | instskip(NEXT) | instid1(VALU_DEP_1)
	v_sub_nc_u32_e32 v5, v6, v5
	v_cmp_le_u32_e32 vcc_lo, s28, v5
	v_subrev_nc_u32_e32 v8, s28, v5
	s_wait_alu 0xfffd
	v_cndmask_b32_e32 v3, v3, v7, vcc_lo
	s_delay_alu instid0(VALU_DEP_1) | instskip(NEXT) | instid1(VALU_DEP_3)
	v_add_nc_u32_e32 v7, 1, v3
	v_cndmask_b32_e32 v5, v5, v8, vcc_lo
	s_delay_alu instid0(VALU_DEP_1) | instskip(SKIP_1) | instid1(VALU_DEP_3)
	v_cmp_le_u32_e32 vcc_lo, s28, v5
	s_wait_alu 0xfffd
	v_cndmask_b32_e32 v8, v3, v7, vcc_lo
	s_branch .LBB80_15
.LBB80_20:                              ;   in Loop: Header=BB80_3 Depth=1
	s_mov_b32 s2, s18
	s_and_not1_b32 vcc_lo, exec_lo, s53
	s_wait_alu 0xfffe
	s_cbranch_vccnz .LBB80_56
.LBB80_21:                              ;   in Loop: Header=BB80_3 Depth=1
	s_add_co_i32 s26, s2, -7
.LBB80_22:                              ;   Parent Loop BB80_3 Depth=1
                                        ; =>  This Inner Loop Header: Depth=2
	s_wait_alu 0xfffe
	s_add_co_i32 s18, s26, 7
                                        ; implicit-def: $vgpr8_vgpr9
	s_mov_b32 s2, exec_lo
	s_wait_alu 0xfffe
	s_lshl_b64 s[34:35], s[18:19], 2
	s_wait_alu 0xfffe
	s_add_nc_u64 s[28:29], s[10:11], s[34:35]
	s_load_b32 s28, s[28:29], 0x8
	s_wait_kmcnt 0x0
	s_ashr_i32 s29, s28, 31
	s_wait_alu 0xfffe
	v_or_b32_e32 v3, s29, v7
	s_delay_alu instid0(VALU_DEP_1)
	v_cmpx_ne_u64_e32 0, v[2:3]
	s_xor_b32 s25, exec_lo, s2
	s_cbranch_execz .LBB80_24
; %bb.23:                               ;   in Loop: Header=BB80_22 Depth=2
	s_ashr_i32 s30, s29, 31
	v_ashrrev_i32_e32 v3, 31, v7
	s_wait_alu 0xfffe
	s_mov_b32 s31, s30
	s_wait_alu 0xfffe
	s_add_nc_u64 s[36:37], s[28:29], s[30:31]
	v_add_co_u32 v5, vcc_lo, v6, v3
	s_wait_alu 0xfffe
	s_xor_b64 s[36:37], s[36:37], s[30:31]
	s_wait_alu 0xfffd
	v_add_co_ci_u32_e64 v7, null, v7, v3, vcc_lo
	s_wait_alu 0xfffe
	s_cvt_f32_u32 s2, s36
	s_cvt_f32_u32 s18, s37
	s_sub_nc_u64 s[40:41], 0, s[36:37]
	v_xor_b32_e32 v5, v5, v3
	v_xor_b32_e32 v13, v7, v3
	s_wait_alu 0xfffe
	s_fmamk_f32 s2, s18, 0x4f800000, s2
	v_xor_b32_e32 v3, s30, v3
	s_wait_alu 0xfffe
	s_delay_alu instid0(SALU_CYCLE_1) | instskip(NEXT) | instid1(TRANS32_DEP_1)
	v_s_rcp_f32 s2, s2
	s_mul_f32 s2, s2, 0x5f7ffffc
	s_wait_alu 0xfffe
	s_delay_alu instid0(SALU_CYCLE_2) | instskip(SKIP_1) | instid1(SALU_CYCLE_2)
	s_mul_f32 s18, s2, 0x2f800000
	s_wait_alu 0xfffe
	s_trunc_f32 s18, s18
	s_wait_alu 0xfffe
	s_delay_alu instid0(SALU_CYCLE_2) | instskip(SKIP_2) | instid1(SALU_CYCLE_1)
	s_fmamk_f32 s2, s18, 0xcf800000, s2
	s_cvt_u32_f32 s39, s18
	s_wait_alu 0xfffe
	s_cvt_u32_f32 s38, s2
	s_wait_alu 0xfffe
	s_delay_alu instid0(SALU_CYCLE_2)
	s_mul_u64 s[42:43], s[40:41], s[38:39]
	s_wait_alu 0xfffe
	s_mul_hi_u32 s45, s38, s43
	s_mul_i32 s44, s38, s43
	s_mul_hi_u32 s18, s38, s42
	s_mul_i32 s27, s39, s42
	s_wait_alu 0xfffe
	s_add_nc_u64 s[44:45], s[18:19], s[44:45]
	s_mul_hi_u32 s2, s39, s42
	s_mul_hi_u32 s29, s39, s43
	s_wait_alu 0xfffe
	s_add_co_u32 s18, s44, s27
	s_add_co_ci_u32 s18, s45, s2
	s_mul_i32 s42, s39, s43
	s_add_co_ci_u32 s43, s29, 0
	s_wait_alu 0xfffe
	s_add_nc_u64 s[42:43], s[18:19], s[42:43]
	s_wait_alu 0xfffe
	s_add_co_u32 s38, s38, s42
	s_cselect_b32 s2, -1, 0
	s_wait_alu 0xfffe
	s_cmp_lg_u32 s2, 0
	s_add_co_ci_u32 s39, s39, s43
	s_wait_alu 0xfffe
	s_mul_u64 s[40:41], s[40:41], s[38:39]
	s_wait_alu 0xfffe
	s_mul_hi_u32 s43, s38, s41
	s_mul_i32 s42, s38, s41
	s_mul_hi_u32 s18, s38, s40
	s_mul_i32 s27, s39, s40
	s_wait_alu 0xfffe
	s_add_nc_u64 s[42:43], s[18:19], s[42:43]
	s_mul_hi_u32 s2, s39, s40
	s_mul_hi_u32 s29, s39, s41
	s_wait_alu 0xfffe
	s_add_co_u32 s18, s42, s27
	s_add_co_ci_u32 s18, s43, s2
	s_mul_i32 s40, s39, s41
	s_add_co_ci_u32 s41, s29, 0
	s_wait_alu 0xfffe
	s_add_nc_u64 s[40:41], s[18:19], s[40:41]
	s_wait_alu 0xfffe
	s_add_co_u32 s2, s38, s40
	s_cselect_b32 s18, -1, 0
	s_wait_alu 0xfffe
	v_mul_hi_u32 v14, v5, s2
	s_cmp_lg_u32 s18, 0
	v_mad_co_u64_u32 v[9:10], null, v13, s2, 0
	s_add_co_ci_u32 s18, s39, s41
	s_wait_alu 0xfffe
	v_mad_co_u64_u32 v[7:8], null, v5, s18, 0
	v_mad_co_u64_u32 v[11:12], null, v13, s18, 0
	s_delay_alu instid0(VALU_DEP_2) | instskip(SKIP_1) | instid1(VALU_DEP_3)
	v_add_co_u32 v7, vcc_lo, v14, v7
	s_wait_alu 0xfffd
	v_add_co_ci_u32_e64 v8, null, 0, v8, vcc_lo
	s_delay_alu instid0(VALU_DEP_2) | instskip(SKIP_1) | instid1(VALU_DEP_2)
	v_add_co_u32 v7, vcc_lo, v7, v9
	s_wait_alu 0xfffd
	v_add_co_ci_u32_e32 v7, vcc_lo, v8, v10, vcc_lo
	s_wait_alu 0xfffd
	v_add_co_ci_u32_e32 v8, vcc_lo, 0, v12, vcc_lo
	s_delay_alu instid0(VALU_DEP_2) | instskip(SKIP_1) | instid1(VALU_DEP_2)
	v_add_co_u32 v9, vcc_lo, v7, v11
	s_wait_alu 0xfffd
	v_add_co_ci_u32_e64 v10, null, 0, v8, vcc_lo
	s_delay_alu instid0(VALU_DEP_2) | instskip(SKIP_1) | instid1(VALU_DEP_3)
	v_mul_lo_u32 v11, s37, v9
	v_mad_co_u64_u32 v[7:8], null, s36, v9, 0
	v_mul_lo_u32 v12, s36, v10
	s_delay_alu instid0(VALU_DEP_2) | instskip(NEXT) | instid1(VALU_DEP_2)
	v_sub_co_u32 v5, vcc_lo, v5, v7
	v_add3_u32 v8, v8, v12, v11
	s_delay_alu instid0(VALU_DEP_1) | instskip(SKIP_2) | instid1(VALU_DEP_2)
	v_sub_nc_u32_e32 v11, v13, v8
	s_wait_alu 0xfffd
	v_sub_co_ci_u32_e64 v8, null, v13, v8, vcc_lo
	v_subrev_co_ci_u32_e64 v7, null, s37, v11, vcc_lo
	v_add_co_u32 v11, s2, v9, 2
	s_wait_alu 0xf1ff
	v_add_co_ci_u32_e64 v12, null, 0, v10, s2
	v_sub_co_u32 v14, s2, v5, s36
	s_wait_alu 0xf1ff
	v_subrev_co_ci_u32_e64 v7, null, 0, v7, s2
	s_delay_alu instid0(VALU_DEP_2) | instskip(SKIP_2) | instid1(VALU_DEP_3)
	v_cmp_le_u32_e32 vcc_lo, s36, v14
	s_wait_alu 0xfffd
	v_cndmask_b32_e64 v13, 0, -1, vcc_lo
	v_cmp_le_u32_e32 vcc_lo, s37, v7
	s_wait_alu 0xfffd
	v_cndmask_b32_e64 v14, 0, -1, vcc_lo
	;; [unrolled: 3-line block ×4, first 2 shown]
	v_cmp_eq_u32_e32 vcc_lo, s37, v7
	s_wait_alu 0xfffd
	v_cndmask_b32_e32 v7, v14, v13, vcc_lo
	v_add_co_u32 v13, vcc_lo, v9, 1
	s_wait_alu 0xfffd
	v_add_co_ci_u32_e64 v14, null, 0, v10, vcc_lo
	v_cmp_eq_u32_e32 vcc_lo, s37, v8
	s_wait_alu 0xfffd
	v_cndmask_b32_e32 v5, v15, v5, vcc_lo
	v_cmp_ne_u32_e32 vcc_lo, 0, v7
	s_delay_alu instid0(VALU_DEP_2) | instskip(SKIP_4) | instid1(VALU_DEP_2)
	v_cmp_ne_u32_e64 s2, 0, v5
	s_wait_alu 0xfffd
	v_cndmask_b32_e32 v5, v13, v11, vcc_lo
	v_cndmask_b32_e32 v7, v14, v12, vcc_lo
	s_wait_alu 0xf1ff
	v_cndmask_b32_e64 v5, v9, v5, s2
	s_delay_alu instid0(VALU_DEP_2) | instskip(NEXT) | instid1(VALU_DEP_2)
	v_cndmask_b32_e64 v7, v10, v7, s2
	v_xor_b32_e32 v5, v5, v3
	s_delay_alu instid0(VALU_DEP_2) | instskip(NEXT) | instid1(VALU_DEP_2)
	v_xor_b32_e32 v7, v7, v3
	v_sub_co_u32 v8, vcc_lo, v5, v3
	s_wait_alu 0xfffd
	s_delay_alu instid0(VALU_DEP_2)
	v_sub_co_ci_u32_e64 v9, null, v7, v3, vcc_lo
.LBB80_24:                              ;   in Loop: Header=BB80_22 Depth=2
	s_wait_alu 0xfffe
	s_and_not1_saveexec_b32 s2, s25
	s_cbranch_execz .LBB80_26
; %bb.25:                               ;   in Loop: Header=BB80_22 Depth=2
	v_cvt_f32_u32_e32 v3, s28
	s_sub_co_i32 s18, 0, s28
	v_mov_b32_e32 v9, v2
	s_delay_alu instid0(VALU_DEP_2) | instskip(NEXT) | instid1(TRANS32_DEP_1)
	v_rcp_iflag_f32_e32 v3, v3
	v_mul_f32_e32 v3, 0x4f7ffffe, v3
	s_delay_alu instid0(VALU_DEP_1) | instskip(SKIP_1) | instid1(VALU_DEP_1)
	v_cvt_u32_f32_e32 v3, v3
	s_wait_alu 0xfffe
	v_mul_lo_u32 v5, s18, v3
	s_delay_alu instid0(VALU_DEP_1) | instskip(NEXT) | instid1(VALU_DEP_1)
	v_mul_hi_u32 v5, v3, v5
	v_add_nc_u32_e32 v3, v3, v5
	s_delay_alu instid0(VALU_DEP_1) | instskip(NEXT) | instid1(VALU_DEP_1)
	v_mul_hi_u32 v3, v6, v3
	v_mul_lo_u32 v5, v3, s28
	v_add_nc_u32_e32 v7, 1, v3
	s_delay_alu instid0(VALU_DEP_2) | instskip(NEXT) | instid1(VALU_DEP_1)
	v_sub_nc_u32_e32 v5, v6, v5
	v_cmp_le_u32_e32 vcc_lo, s28, v5
	v_subrev_nc_u32_e32 v8, s28, v5
	s_wait_alu 0xfffd
	v_cndmask_b32_e32 v3, v3, v7, vcc_lo
	s_delay_alu instid0(VALU_DEP_1) | instskip(NEXT) | instid1(VALU_DEP_3)
	v_add_nc_u32_e32 v7, 1, v3
	v_cndmask_b32_e32 v5, v5, v8, vcc_lo
	s_delay_alu instid0(VALU_DEP_1) | instskip(SKIP_1) | instid1(VALU_DEP_3)
	v_cmp_le_u32_e32 vcc_lo, s28, v5
	s_wait_alu 0xfffd
	v_cndmask_b32_e32 v8, v3, v7, vcc_lo
.LBB80_26:                              ;   in Loop: Header=BB80_22 Depth=2
	s_wait_alu 0xfffe
	s_or_b32 exec_lo, exec_lo, s2
	s_add_co_i32 s18, s26, 6
	s_add_nc_u64 s[34:35], s[0:1], s[34:35]
	s_wait_alu 0xfffe
	s_lshl_b64 s[36:37], s[18:19], 2
                                        ; implicit-def: $vgpr10_vgpr11
	s_mov_b32 s2, exec_lo
	s_wait_alu 0xfffe
	s_add_nc_u64 s[30:31], s[10:11], s[36:37]
	s_clause 0x1
	s_load_b32 s25, s[34:35], 0x6c
	s_load_b32 s30, s[30:31], 0x8
	s_wait_kmcnt 0x0
	s_ashr_i32 s31, s30, 31
	s_wait_alu 0xfffe
	v_or_b32_e32 v3, s31, v9
	s_delay_alu instid0(VALU_DEP_1)
	v_cmpx_ne_u64_e32 0, v[2:3]
	s_xor_b32 s27, exec_lo, s2
	s_cbranch_execz .LBB80_28
; %bb.27:                               ;   in Loop: Header=BB80_22 Depth=2
	s_ashr_i32 s34, s31, 31
	v_ashrrev_i32_e32 v3, 31, v9
	s_wait_alu 0xfffe
	s_mov_b32 s35, s34
	s_wait_alu 0xfffe
	s_add_nc_u64 s[38:39], s[30:31], s[34:35]
	v_add_co_u32 v5, vcc_lo, v8, v3
	s_wait_alu 0xfffe
	s_xor_b64 s[38:39], s[38:39], s[34:35]
	s_wait_alu 0xfffd
	v_add_co_ci_u32_e64 v7, null, v9, v3, vcc_lo
	s_wait_alu 0xfffe
	s_cvt_f32_u32 s2, s38
	s_cvt_f32_u32 s18, s39
	s_sub_nc_u64 s[42:43], 0, s[38:39]
	v_xor_b32_e32 v5, v5, v3
	v_xor_b32_e32 v7, v7, v3
	s_wait_alu 0xfffe
	s_fmamk_f32 s2, s18, 0x4f800000, s2
	v_xor_b32_e32 v3, s34, v3
	s_wait_alu 0xfffe
	s_delay_alu instid0(SALU_CYCLE_1) | instskip(NEXT) | instid1(TRANS32_DEP_1)
	v_s_rcp_f32 s2, s2
	s_mul_f32 s2, s2, 0x5f7ffffc
	s_wait_alu 0xfffe
	s_delay_alu instid0(SALU_CYCLE_2) | instskip(SKIP_1) | instid1(SALU_CYCLE_2)
	s_mul_f32 s18, s2, 0x2f800000
	s_wait_alu 0xfffe
	s_trunc_f32 s18, s18
	s_wait_alu 0xfffe
	s_delay_alu instid0(SALU_CYCLE_2) | instskip(SKIP_2) | instid1(SALU_CYCLE_1)
	s_fmamk_f32 s2, s18, 0xcf800000, s2
	s_cvt_u32_f32 s41, s18
	s_wait_alu 0xfffe
	s_cvt_u32_f32 s40, s2
	s_wait_alu 0xfffe
	s_delay_alu instid0(SALU_CYCLE_2)
	s_mul_u64 s[44:45], s[42:43], s[40:41]
	s_wait_alu 0xfffe
	s_mul_hi_u32 s47, s40, s45
	s_mul_i32 s46, s40, s45
	s_mul_hi_u32 s18, s40, s44
	s_mul_i32 s29, s41, s44
	s_wait_alu 0xfffe
	s_add_nc_u64 s[46:47], s[18:19], s[46:47]
	s_mul_hi_u32 s2, s41, s44
	s_mul_hi_u32 s31, s41, s45
	s_wait_alu 0xfffe
	s_add_co_u32 s18, s46, s29
	s_add_co_ci_u32 s18, s47, s2
	s_mul_i32 s44, s41, s45
	s_add_co_ci_u32 s45, s31, 0
	s_wait_alu 0xfffe
	s_add_nc_u64 s[44:45], s[18:19], s[44:45]
	s_wait_alu 0xfffe
	s_add_co_u32 s40, s40, s44
	s_cselect_b32 s2, -1, 0
	s_wait_alu 0xfffe
	s_cmp_lg_u32 s2, 0
	s_add_co_ci_u32 s41, s41, s45
	s_wait_alu 0xfffe
	s_mul_u64 s[42:43], s[42:43], s[40:41]
	s_wait_alu 0xfffe
	s_mul_hi_u32 s45, s40, s43
	s_mul_i32 s44, s40, s43
	s_mul_hi_u32 s18, s40, s42
	s_mul_i32 s29, s41, s42
	s_wait_alu 0xfffe
	s_add_nc_u64 s[44:45], s[18:19], s[44:45]
	s_mul_hi_u32 s2, s41, s42
	s_mul_hi_u32 s31, s41, s43
	s_wait_alu 0xfffe
	s_add_co_u32 s18, s44, s29
	s_add_co_ci_u32 s18, s45, s2
	s_mul_i32 s42, s41, s43
	s_add_co_ci_u32 s43, s31, 0
	s_wait_alu 0xfffe
	s_add_nc_u64 s[42:43], s[18:19], s[42:43]
	s_wait_alu 0xfffe
	s_add_co_u32 s2, s40, s42
	s_cselect_b32 s18, -1, 0
	s_wait_alu 0xfffe
	v_mul_hi_u32 v15, v5, s2
	s_cmp_lg_u32 s18, 0
	v_mad_co_u64_u32 v[11:12], null, v7, s2, 0
	s_add_co_ci_u32 s18, s41, s43
	s_wait_alu 0xfffe
	v_mad_co_u64_u32 v[9:10], null, v5, s18, 0
	v_mad_co_u64_u32 v[13:14], null, v7, s18, 0
	s_delay_alu instid0(VALU_DEP_2) | instskip(SKIP_1) | instid1(VALU_DEP_3)
	v_add_co_u32 v9, vcc_lo, v15, v9
	s_wait_alu 0xfffd
	v_add_co_ci_u32_e64 v10, null, 0, v10, vcc_lo
	s_delay_alu instid0(VALU_DEP_2) | instskip(SKIP_1) | instid1(VALU_DEP_2)
	v_add_co_u32 v9, vcc_lo, v9, v11
	s_wait_alu 0xfffd
	v_add_co_ci_u32_e32 v9, vcc_lo, v10, v12, vcc_lo
	s_wait_alu 0xfffd
	v_add_co_ci_u32_e32 v10, vcc_lo, 0, v14, vcc_lo
	s_delay_alu instid0(VALU_DEP_2) | instskip(SKIP_1) | instid1(VALU_DEP_2)
	v_add_co_u32 v11, vcc_lo, v9, v13
	s_wait_alu 0xfffd
	v_add_co_ci_u32_e64 v12, null, 0, v10, vcc_lo
	s_delay_alu instid0(VALU_DEP_2) | instskip(SKIP_1) | instid1(VALU_DEP_3)
	v_mul_lo_u32 v13, s39, v11
	v_mad_co_u64_u32 v[9:10], null, s38, v11, 0
	v_mul_lo_u32 v14, s38, v12
	s_delay_alu instid0(VALU_DEP_2) | instskip(NEXT) | instid1(VALU_DEP_2)
	v_sub_co_u32 v5, vcc_lo, v5, v9
	v_add3_u32 v10, v10, v14, v13
	s_delay_alu instid0(VALU_DEP_1) | instskip(SKIP_2) | instid1(VALU_DEP_2)
	v_sub_nc_u32_e32 v13, v7, v10
	s_wait_alu 0xfffd
	v_sub_co_ci_u32_e64 v7, null, v7, v10, vcc_lo
	v_subrev_co_ci_u32_e64 v9, null, s39, v13, vcc_lo
	v_add_co_u32 v13, s2, v11, 2
	s_wait_alu 0xf1ff
	v_add_co_ci_u32_e64 v14, null, 0, v12, s2
	v_sub_co_u32 v15, s2, v5, s38
	s_wait_alu 0xf1ff
	v_subrev_co_ci_u32_e64 v9, null, 0, v9, s2
	s_delay_alu instid0(VALU_DEP_2) | instskip(SKIP_2) | instid1(VALU_DEP_3)
	v_cmp_le_u32_e32 vcc_lo, s38, v15
	s_wait_alu 0xfffd
	v_cndmask_b32_e64 v10, 0, -1, vcc_lo
	v_cmp_le_u32_e32 vcc_lo, s39, v9
	s_wait_alu 0xfffd
	v_cndmask_b32_e64 v15, 0, -1, vcc_lo
	;; [unrolled: 3-line block ×4, first 2 shown]
	v_cmp_eq_u32_e32 vcc_lo, s39, v9
	s_wait_alu 0xfffd
	v_cndmask_b32_e32 v9, v15, v10, vcc_lo
	v_add_co_u32 v10, vcc_lo, v11, 1
	s_wait_alu 0xfffd
	v_add_co_ci_u32_e64 v15, null, 0, v12, vcc_lo
	v_cmp_eq_u32_e32 vcc_lo, s39, v7
	s_wait_alu 0xfffd
	v_cndmask_b32_e32 v5, v16, v5, vcc_lo
	v_cmp_ne_u32_e32 vcc_lo, 0, v9
	s_delay_alu instid0(VALU_DEP_2) | instskip(SKIP_4) | instid1(VALU_DEP_2)
	v_cmp_ne_u32_e64 s2, 0, v5
	s_wait_alu 0xfffd
	v_cndmask_b32_e32 v5, v10, v13, vcc_lo
	v_cndmask_b32_e32 v7, v15, v14, vcc_lo
	s_wait_alu 0xf1ff
	v_cndmask_b32_e64 v5, v11, v5, s2
	s_delay_alu instid0(VALU_DEP_2) | instskip(NEXT) | instid1(VALU_DEP_2)
	v_cndmask_b32_e64 v7, v12, v7, s2
	v_xor_b32_e32 v5, v5, v3
	s_delay_alu instid0(VALU_DEP_2) | instskip(NEXT) | instid1(VALU_DEP_2)
	v_xor_b32_e32 v7, v7, v3
	v_sub_co_u32 v10, vcc_lo, v5, v3
	s_wait_alu 0xfffd
	s_delay_alu instid0(VALU_DEP_2)
	v_sub_co_ci_u32_e64 v11, null, v7, v3, vcc_lo
.LBB80_28:                              ;   in Loop: Header=BB80_22 Depth=2
	s_wait_alu 0xfffe
	s_and_not1_saveexec_b32 s2, s27
	s_cbranch_execz .LBB80_30
; %bb.29:                               ;   in Loop: Header=BB80_22 Depth=2
	v_cvt_f32_u32_e32 v3, s30
	s_sub_co_i32 s18, 0, s30
	v_mov_b32_e32 v11, v2
	s_delay_alu instid0(VALU_DEP_2) | instskip(NEXT) | instid1(TRANS32_DEP_1)
	v_rcp_iflag_f32_e32 v3, v3
	v_mul_f32_e32 v3, 0x4f7ffffe, v3
	s_delay_alu instid0(VALU_DEP_1) | instskip(SKIP_1) | instid1(VALU_DEP_1)
	v_cvt_u32_f32_e32 v3, v3
	s_wait_alu 0xfffe
	v_mul_lo_u32 v5, s18, v3
	s_delay_alu instid0(VALU_DEP_1) | instskip(NEXT) | instid1(VALU_DEP_1)
	v_mul_hi_u32 v5, v3, v5
	v_add_nc_u32_e32 v3, v3, v5
	s_delay_alu instid0(VALU_DEP_1) | instskip(NEXT) | instid1(VALU_DEP_1)
	v_mul_hi_u32 v3, v8, v3
	v_mul_lo_u32 v5, v3, s30
	v_add_nc_u32_e32 v7, 1, v3
	s_delay_alu instid0(VALU_DEP_2) | instskip(NEXT) | instid1(VALU_DEP_1)
	v_sub_nc_u32_e32 v5, v8, v5
	v_cmp_le_u32_e32 vcc_lo, s30, v5
	v_subrev_nc_u32_e32 v9, s30, v5
	s_wait_alu 0xfffd
	v_cndmask_b32_e32 v3, v3, v7, vcc_lo
	s_delay_alu instid0(VALU_DEP_1) | instskip(NEXT) | instid1(VALU_DEP_3)
	v_add_nc_u32_e32 v7, 1, v3
	v_cndmask_b32_e32 v5, v5, v9, vcc_lo
	s_delay_alu instid0(VALU_DEP_1) | instskip(SKIP_1) | instid1(VALU_DEP_3)
	v_cmp_le_u32_e32 vcc_lo, s30, v5
	s_wait_alu 0xfffd
	v_cndmask_b32_e32 v10, v3, v7, vcc_lo
.LBB80_30:                              ;   in Loop: Header=BB80_22 Depth=2
	s_wait_alu 0xfffe
	s_or_b32 exec_lo, exec_lo, s2
	s_add_co_i32 s18, s26, 5
	s_add_nc_u64 s[36:37], s[0:1], s[36:37]
	s_wait_alu 0xfffe
	s_lshl_b64 s[38:39], s[18:19], 2
                                        ; implicit-def: $vgpr12_vgpr13
	s_mov_b32 s2, exec_lo
	s_wait_alu 0xfffe
	s_add_nc_u64 s[34:35], s[10:11], s[38:39]
	s_clause 0x1
	s_load_b32 s29, s[36:37], 0x6c
	s_load_b32 s34, s[34:35], 0x8
	s_wait_kmcnt 0x0
	s_ashr_i32 s35, s34, 31
	s_wait_alu 0xfffe
	v_or_b32_e32 v3, s35, v11
	s_delay_alu instid0(VALU_DEP_1)
	v_cmpx_ne_u64_e32 0, v[2:3]
	s_xor_b32 s27, exec_lo, s2
	s_cbranch_execz .LBB80_32
; %bb.31:                               ;   in Loop: Header=BB80_22 Depth=2
	s_ashr_i32 s36, s35, 31
	v_ashrrev_i32_e32 v3, 31, v11
	s_wait_alu 0xfffe
	s_mov_b32 s37, s36
	s_wait_alu 0xfffe
	s_add_nc_u64 s[40:41], s[34:35], s[36:37]
	v_add_co_u32 v5, vcc_lo, v10, v3
	s_wait_alu 0xfffe
	s_xor_b64 s[40:41], s[40:41], s[36:37]
	s_wait_alu 0xfffd
	v_add_co_ci_u32_e64 v7, null, v11, v3, vcc_lo
	s_wait_alu 0xfffe
	s_cvt_f32_u32 s2, s40
	s_cvt_f32_u32 s18, s41
	s_sub_nc_u64 s[44:45], 0, s[40:41]
	v_xor_b32_e32 v5, v5, v3
	v_xor_b32_e32 v7, v7, v3
	s_wait_alu 0xfffe
	s_fmamk_f32 s2, s18, 0x4f800000, s2
	v_xor_b32_e32 v3, s36, v3
	s_wait_alu 0xfffe
	s_delay_alu instid0(SALU_CYCLE_1) | instskip(NEXT) | instid1(TRANS32_DEP_1)
	v_s_rcp_f32 s2, s2
	s_mul_f32 s2, s2, 0x5f7ffffc
	s_wait_alu 0xfffe
	s_delay_alu instid0(SALU_CYCLE_2) | instskip(SKIP_1) | instid1(SALU_CYCLE_2)
	s_mul_f32 s18, s2, 0x2f800000
	s_wait_alu 0xfffe
	s_trunc_f32 s18, s18
	s_wait_alu 0xfffe
	s_delay_alu instid0(SALU_CYCLE_2) | instskip(SKIP_2) | instid1(SALU_CYCLE_1)
	s_fmamk_f32 s2, s18, 0xcf800000, s2
	s_cvt_u32_f32 s43, s18
	s_wait_alu 0xfffe
	s_cvt_u32_f32 s42, s2
	s_wait_alu 0xfffe
	s_delay_alu instid0(SALU_CYCLE_2)
	s_mul_u64 s[46:47], s[44:45], s[42:43]
	s_wait_alu 0xfffe
	s_mul_hi_u32 s49, s42, s47
	s_mul_i32 s48, s42, s47
	s_mul_hi_u32 s18, s42, s46
	s_mul_i32 s31, s43, s46
	s_wait_alu 0xfffe
	s_add_nc_u64 s[48:49], s[18:19], s[48:49]
	s_mul_hi_u32 s2, s43, s46
	s_mul_hi_u32 s35, s43, s47
	s_wait_alu 0xfffe
	s_add_co_u32 s18, s48, s31
	s_add_co_ci_u32 s18, s49, s2
	s_mul_i32 s46, s43, s47
	s_add_co_ci_u32 s47, s35, 0
	s_wait_alu 0xfffe
	s_add_nc_u64 s[46:47], s[18:19], s[46:47]
	s_wait_alu 0xfffe
	s_add_co_u32 s42, s42, s46
	s_cselect_b32 s2, -1, 0
	s_wait_alu 0xfffe
	s_cmp_lg_u32 s2, 0
	s_add_co_ci_u32 s43, s43, s47
	s_wait_alu 0xfffe
	s_mul_u64 s[44:45], s[44:45], s[42:43]
	s_wait_alu 0xfffe
	s_mul_hi_u32 s47, s42, s45
	s_mul_i32 s46, s42, s45
	s_mul_hi_u32 s18, s42, s44
	s_mul_i32 s31, s43, s44
	s_wait_alu 0xfffe
	s_add_nc_u64 s[46:47], s[18:19], s[46:47]
	s_mul_hi_u32 s2, s43, s44
	s_mul_hi_u32 s35, s43, s45
	s_wait_alu 0xfffe
	s_add_co_u32 s18, s46, s31
	s_add_co_ci_u32 s18, s47, s2
	s_mul_i32 s44, s43, s45
	s_add_co_ci_u32 s45, s35, 0
	s_wait_alu 0xfffe
	s_add_nc_u64 s[44:45], s[18:19], s[44:45]
	s_wait_alu 0xfffe
	s_add_co_u32 s2, s42, s44
	s_cselect_b32 s18, -1, 0
	s_wait_alu 0xfffe
	v_mul_hi_u32 v9, v5, s2
	s_cmp_lg_u32 s18, 0
	v_mad_co_u64_u32 v[13:14], null, v7, s2, 0
	s_add_co_ci_u32 s18, s43, s45
	s_wait_alu 0xfffe
	v_mad_co_u64_u32 v[11:12], null, v5, s18, 0
	v_mad_co_u64_u32 v[15:16], null, v7, s18, 0
	s_delay_alu instid0(VALU_DEP_2) | instskip(SKIP_1) | instid1(VALU_DEP_3)
	v_add_co_u32 v9, vcc_lo, v9, v11
	s_wait_alu 0xfffd
	v_add_co_ci_u32_e64 v11, null, 0, v12, vcc_lo
	s_delay_alu instid0(VALU_DEP_2) | instskip(SKIP_1) | instid1(VALU_DEP_2)
	v_add_co_u32 v9, vcc_lo, v9, v13
	s_wait_alu 0xfffd
	v_add_co_ci_u32_e32 v9, vcc_lo, v11, v14, vcc_lo
	s_wait_alu 0xfffd
	v_add_co_ci_u32_e32 v11, vcc_lo, 0, v16, vcc_lo
	s_delay_alu instid0(VALU_DEP_2) | instskip(SKIP_1) | instid1(VALU_DEP_2)
	v_add_co_u32 v9, vcc_lo, v9, v15
	s_wait_alu 0xfffd
	v_add_co_ci_u32_e64 v13, null, 0, v11, vcc_lo
	s_delay_alu instid0(VALU_DEP_2) | instskip(SKIP_1) | instid1(VALU_DEP_3)
	v_mul_lo_u32 v14, s41, v9
	v_mad_co_u64_u32 v[11:12], null, s40, v9, 0
	v_mul_lo_u32 v15, s40, v13
	s_delay_alu instid0(VALU_DEP_2) | instskip(NEXT) | instid1(VALU_DEP_2)
	v_sub_co_u32 v5, vcc_lo, v5, v11
	v_add3_u32 v12, v12, v15, v14
	s_delay_alu instid0(VALU_DEP_1) | instskip(SKIP_2) | instid1(VALU_DEP_2)
	v_sub_nc_u32_e32 v14, v7, v12
	s_wait_alu 0xfffd
	v_sub_co_ci_u32_e64 v7, null, v7, v12, vcc_lo
	v_subrev_co_ci_u32_e64 v11, null, s41, v14, vcc_lo
	v_add_co_u32 v14, s2, v9, 2
	s_wait_alu 0xf1ff
	v_add_co_ci_u32_e64 v15, null, 0, v13, s2
	v_sub_co_u32 v16, s2, v5, s40
	s_wait_alu 0xf1ff
	v_subrev_co_ci_u32_e64 v11, null, 0, v11, s2
	s_delay_alu instid0(VALU_DEP_2) | instskip(SKIP_2) | instid1(VALU_DEP_3)
	v_cmp_le_u32_e32 vcc_lo, s40, v16
	s_wait_alu 0xfffd
	v_cndmask_b32_e64 v12, 0, -1, vcc_lo
	v_cmp_le_u32_e32 vcc_lo, s41, v11
	s_wait_alu 0xfffd
	v_cndmask_b32_e64 v16, 0, -1, vcc_lo
	;; [unrolled: 3-line block ×4, first 2 shown]
	v_cmp_eq_u32_e32 vcc_lo, s41, v11
	s_wait_alu 0xfffd
	v_cndmask_b32_e32 v11, v16, v12, vcc_lo
	v_add_co_u32 v12, vcc_lo, v9, 1
	s_wait_alu 0xfffd
	v_add_co_ci_u32_e64 v16, null, 0, v13, vcc_lo
	v_cmp_eq_u32_e32 vcc_lo, s41, v7
	s_wait_alu 0xfffd
	v_cndmask_b32_e32 v5, v17, v5, vcc_lo
	v_cmp_ne_u32_e32 vcc_lo, 0, v11
	s_delay_alu instid0(VALU_DEP_2) | instskip(SKIP_4) | instid1(VALU_DEP_2)
	v_cmp_ne_u32_e64 s2, 0, v5
	s_wait_alu 0xfffd
	v_cndmask_b32_e32 v5, v12, v14, vcc_lo
	v_cndmask_b32_e32 v7, v16, v15, vcc_lo
	s_wait_alu 0xf1ff
	v_cndmask_b32_e64 v5, v9, v5, s2
	s_delay_alu instid0(VALU_DEP_2) | instskip(NEXT) | instid1(VALU_DEP_2)
	v_cndmask_b32_e64 v7, v13, v7, s2
	v_xor_b32_e32 v5, v5, v3
	s_delay_alu instid0(VALU_DEP_2) | instskip(NEXT) | instid1(VALU_DEP_2)
	v_xor_b32_e32 v7, v7, v3
	v_sub_co_u32 v12, vcc_lo, v5, v3
	s_wait_alu 0xfffd
	s_delay_alu instid0(VALU_DEP_2)
	v_sub_co_ci_u32_e64 v13, null, v7, v3, vcc_lo
.LBB80_32:                              ;   in Loop: Header=BB80_22 Depth=2
	s_wait_alu 0xfffe
	s_and_not1_saveexec_b32 s2, s27
	s_cbranch_execz .LBB80_34
; %bb.33:                               ;   in Loop: Header=BB80_22 Depth=2
	v_cvt_f32_u32_e32 v3, s34
	s_sub_co_i32 s18, 0, s34
	v_mov_b32_e32 v13, v2
	s_delay_alu instid0(VALU_DEP_2) | instskip(NEXT) | instid1(TRANS32_DEP_1)
	v_rcp_iflag_f32_e32 v3, v3
	v_mul_f32_e32 v3, 0x4f7ffffe, v3
	s_delay_alu instid0(VALU_DEP_1) | instskip(SKIP_1) | instid1(VALU_DEP_1)
	v_cvt_u32_f32_e32 v3, v3
	s_wait_alu 0xfffe
	v_mul_lo_u32 v5, s18, v3
	s_delay_alu instid0(VALU_DEP_1) | instskip(NEXT) | instid1(VALU_DEP_1)
	v_mul_hi_u32 v5, v3, v5
	v_add_nc_u32_e32 v3, v3, v5
	s_delay_alu instid0(VALU_DEP_1) | instskip(NEXT) | instid1(VALU_DEP_1)
	v_mul_hi_u32 v3, v10, v3
	v_mul_lo_u32 v5, v3, s34
	v_add_nc_u32_e32 v7, 1, v3
	s_delay_alu instid0(VALU_DEP_2) | instskip(NEXT) | instid1(VALU_DEP_1)
	v_sub_nc_u32_e32 v5, v10, v5
	v_cmp_le_u32_e32 vcc_lo, s34, v5
	v_subrev_nc_u32_e32 v9, s34, v5
	s_wait_alu 0xfffd
	v_cndmask_b32_e32 v3, v3, v7, vcc_lo
	s_delay_alu instid0(VALU_DEP_1) | instskip(NEXT) | instid1(VALU_DEP_3)
	v_add_nc_u32_e32 v7, 1, v3
	v_cndmask_b32_e32 v5, v5, v9, vcc_lo
	s_delay_alu instid0(VALU_DEP_1) | instskip(SKIP_1) | instid1(VALU_DEP_3)
	v_cmp_le_u32_e32 vcc_lo, s34, v5
	s_wait_alu 0xfffd
	v_cndmask_b32_e32 v12, v3, v7, vcc_lo
.LBB80_34:                              ;   in Loop: Header=BB80_22 Depth=2
	s_wait_alu 0xfffe
	s_or_b32 exec_lo, exec_lo, s2
	s_add_co_i32 s18, s26, 4
	s_add_nc_u64 s[38:39], s[0:1], s[38:39]
	s_wait_alu 0xfffe
	s_lshl_b64 s[40:41], s[18:19], 2
                                        ; implicit-def: $vgpr14_vgpr15
	s_mov_b32 s2, exec_lo
	s_wait_alu 0xfffe
	s_add_nc_u64 s[36:37], s[10:11], s[40:41]
	s_clause 0x1
	s_load_b32 s31, s[38:39], 0x6c
	s_load_b32 s36, s[36:37], 0x8
	s_wait_kmcnt 0x0
	s_ashr_i32 s37, s36, 31
	s_wait_alu 0xfffe
	v_or_b32_e32 v3, s37, v13
	s_delay_alu instid0(VALU_DEP_1)
	v_cmpx_ne_u64_e32 0, v[2:3]
	s_xor_b32 s27, exec_lo, s2
	s_cbranch_execz .LBB80_36
; %bb.35:                               ;   in Loop: Header=BB80_22 Depth=2
	s_ashr_i32 s38, s37, 31
	v_ashrrev_i32_e32 v3, 31, v13
	s_wait_alu 0xfffe
	s_mov_b32 s39, s38
	s_wait_alu 0xfffe
	s_add_nc_u64 s[42:43], s[36:37], s[38:39]
	v_add_co_u32 v5, vcc_lo, v12, v3
	s_wait_alu 0xfffe
	s_xor_b64 s[42:43], s[42:43], s[38:39]
	s_wait_alu 0xfffd
	v_add_co_ci_u32_e64 v7, null, v13, v3, vcc_lo
	s_wait_alu 0xfffe
	s_cvt_f32_u32 s2, s42
	s_cvt_f32_u32 s18, s43
	s_sub_nc_u64 s[46:47], 0, s[42:43]
	v_xor_b32_e32 v5, v5, v3
	v_xor_b32_e32 v7, v7, v3
	s_wait_alu 0xfffe
	s_fmamk_f32 s2, s18, 0x4f800000, s2
	v_xor_b32_e32 v3, s38, v3
	s_wait_alu 0xfffe
	s_delay_alu instid0(SALU_CYCLE_1) | instskip(NEXT) | instid1(TRANS32_DEP_1)
	v_s_rcp_f32 s2, s2
	s_mul_f32 s2, s2, 0x5f7ffffc
	s_wait_alu 0xfffe
	s_delay_alu instid0(SALU_CYCLE_2) | instskip(SKIP_1) | instid1(SALU_CYCLE_2)
	s_mul_f32 s18, s2, 0x2f800000
	s_wait_alu 0xfffe
	s_trunc_f32 s18, s18
	s_wait_alu 0xfffe
	s_delay_alu instid0(SALU_CYCLE_2) | instskip(SKIP_2) | instid1(SALU_CYCLE_1)
	s_fmamk_f32 s2, s18, 0xcf800000, s2
	s_cvt_u32_f32 s45, s18
	s_wait_alu 0xfffe
	s_cvt_u32_f32 s44, s2
	s_wait_alu 0xfffe
	s_delay_alu instid0(SALU_CYCLE_2)
	s_mul_u64 s[48:49], s[46:47], s[44:45]
	s_wait_alu 0xfffe
	s_mul_hi_u32 s51, s44, s49
	s_mul_i32 s50, s44, s49
	s_mul_hi_u32 s18, s44, s48
	s_mul_i32 s35, s45, s48
	s_wait_alu 0xfffe
	s_add_nc_u64 s[50:51], s[18:19], s[50:51]
	s_mul_hi_u32 s2, s45, s48
	s_mul_hi_u32 s37, s45, s49
	s_wait_alu 0xfffe
	s_add_co_u32 s18, s50, s35
	s_add_co_ci_u32 s18, s51, s2
	s_mul_i32 s48, s45, s49
	s_add_co_ci_u32 s49, s37, 0
	s_wait_alu 0xfffe
	s_add_nc_u64 s[48:49], s[18:19], s[48:49]
	s_wait_alu 0xfffe
	s_add_co_u32 s44, s44, s48
	s_cselect_b32 s2, -1, 0
	s_wait_alu 0xfffe
	s_cmp_lg_u32 s2, 0
	s_add_co_ci_u32 s45, s45, s49
	s_wait_alu 0xfffe
	s_mul_u64 s[46:47], s[46:47], s[44:45]
	s_wait_alu 0xfffe
	s_mul_hi_u32 s49, s44, s47
	s_mul_i32 s48, s44, s47
	s_mul_hi_u32 s18, s44, s46
	s_mul_i32 s35, s45, s46
	s_wait_alu 0xfffe
	s_add_nc_u64 s[48:49], s[18:19], s[48:49]
	s_mul_hi_u32 s2, s45, s46
	s_mul_hi_u32 s37, s45, s47
	s_wait_alu 0xfffe
	s_add_co_u32 s18, s48, s35
	s_add_co_ci_u32 s18, s49, s2
	s_mul_i32 s46, s45, s47
	s_add_co_ci_u32 s47, s37, 0
	s_wait_alu 0xfffe
	s_add_nc_u64 s[46:47], s[18:19], s[46:47]
	s_wait_alu 0xfffe
	s_add_co_u32 s2, s44, s46
	s_cselect_b32 s18, -1, 0
	s_wait_alu 0xfffe
	v_mul_hi_u32 v9, v5, s2
	s_cmp_lg_u32 s18, 0
	v_mad_co_u64_u32 v[15:16], null, v7, s2, 0
	s_add_co_ci_u32 s18, s45, s47
	s_wait_alu 0xfffe
	v_mad_co_u64_u32 v[13:14], null, v5, s18, 0
	v_mad_co_u64_u32 v[17:18], null, v7, s18, 0
	s_delay_alu instid0(VALU_DEP_2) | instskip(SKIP_1) | instid1(VALU_DEP_3)
	v_add_co_u32 v9, vcc_lo, v9, v13
	s_wait_alu 0xfffd
	v_add_co_ci_u32_e64 v11, null, 0, v14, vcc_lo
	s_delay_alu instid0(VALU_DEP_2) | instskip(SKIP_1) | instid1(VALU_DEP_2)
	v_add_co_u32 v9, vcc_lo, v9, v15
	s_wait_alu 0xfffd
	v_add_co_ci_u32_e32 v9, vcc_lo, v11, v16, vcc_lo
	s_wait_alu 0xfffd
	v_add_co_ci_u32_e32 v11, vcc_lo, 0, v18, vcc_lo
	s_delay_alu instid0(VALU_DEP_2) | instskip(SKIP_1) | instid1(VALU_DEP_2)
	v_add_co_u32 v9, vcc_lo, v9, v17
	s_wait_alu 0xfffd
	v_add_co_ci_u32_e64 v11, null, 0, v11, vcc_lo
	s_delay_alu instid0(VALU_DEP_2) | instskip(SKIP_1) | instid1(VALU_DEP_3)
	v_mul_lo_u32 v15, s43, v9
	v_mad_co_u64_u32 v[13:14], null, s42, v9, 0
	v_mul_lo_u32 v16, s42, v11
	s_delay_alu instid0(VALU_DEP_2) | instskip(NEXT) | instid1(VALU_DEP_2)
	v_sub_co_u32 v5, vcc_lo, v5, v13
	v_add3_u32 v14, v14, v16, v15
	s_delay_alu instid0(VALU_DEP_1) | instskip(SKIP_2) | instid1(VALU_DEP_2)
	v_sub_nc_u32_e32 v15, v7, v14
	s_wait_alu 0xfffd
	v_sub_co_ci_u32_e64 v7, null, v7, v14, vcc_lo
	v_subrev_co_ci_u32_e64 v13, null, s43, v15, vcc_lo
	v_add_co_u32 v15, s2, v9, 2
	s_wait_alu 0xf1ff
	v_add_co_ci_u32_e64 v16, null, 0, v11, s2
	v_sub_co_u32 v17, s2, v5, s42
	s_wait_alu 0xf1ff
	v_subrev_co_ci_u32_e64 v13, null, 0, v13, s2
	s_delay_alu instid0(VALU_DEP_2) | instskip(SKIP_2) | instid1(VALU_DEP_3)
	v_cmp_le_u32_e32 vcc_lo, s42, v17
	s_wait_alu 0xfffd
	v_cndmask_b32_e64 v14, 0, -1, vcc_lo
	v_cmp_le_u32_e32 vcc_lo, s43, v13
	s_wait_alu 0xfffd
	v_cndmask_b32_e64 v17, 0, -1, vcc_lo
	;; [unrolled: 3-line block ×4, first 2 shown]
	v_cmp_eq_u32_e32 vcc_lo, s43, v13
	s_wait_alu 0xfffd
	v_cndmask_b32_e32 v13, v17, v14, vcc_lo
	v_add_co_u32 v14, vcc_lo, v9, 1
	s_wait_alu 0xfffd
	v_add_co_ci_u32_e64 v17, null, 0, v11, vcc_lo
	v_cmp_eq_u32_e32 vcc_lo, s43, v7
	s_wait_alu 0xfffd
	v_cndmask_b32_e32 v5, v18, v5, vcc_lo
	v_cmp_ne_u32_e32 vcc_lo, 0, v13
	s_delay_alu instid0(VALU_DEP_2) | instskip(SKIP_4) | instid1(VALU_DEP_2)
	v_cmp_ne_u32_e64 s2, 0, v5
	s_wait_alu 0xfffd
	v_cndmask_b32_e32 v5, v14, v15, vcc_lo
	v_cndmask_b32_e32 v7, v17, v16, vcc_lo
	s_wait_alu 0xf1ff
	v_cndmask_b32_e64 v5, v9, v5, s2
	s_delay_alu instid0(VALU_DEP_2) | instskip(NEXT) | instid1(VALU_DEP_2)
	v_cndmask_b32_e64 v7, v11, v7, s2
	v_xor_b32_e32 v5, v5, v3
	s_delay_alu instid0(VALU_DEP_2) | instskip(NEXT) | instid1(VALU_DEP_2)
	v_xor_b32_e32 v7, v7, v3
	v_sub_co_u32 v14, vcc_lo, v5, v3
	s_wait_alu 0xfffd
	s_delay_alu instid0(VALU_DEP_2)
	v_sub_co_ci_u32_e64 v15, null, v7, v3, vcc_lo
.LBB80_36:                              ;   in Loop: Header=BB80_22 Depth=2
	s_wait_alu 0xfffe
	s_and_not1_saveexec_b32 s2, s27
	s_cbranch_execz .LBB80_38
; %bb.37:                               ;   in Loop: Header=BB80_22 Depth=2
	v_cvt_f32_u32_e32 v3, s36
	s_sub_co_i32 s18, 0, s36
	v_mov_b32_e32 v15, v2
	s_delay_alu instid0(VALU_DEP_2) | instskip(NEXT) | instid1(TRANS32_DEP_1)
	v_rcp_iflag_f32_e32 v3, v3
	v_mul_f32_e32 v3, 0x4f7ffffe, v3
	s_delay_alu instid0(VALU_DEP_1) | instskip(SKIP_1) | instid1(VALU_DEP_1)
	v_cvt_u32_f32_e32 v3, v3
	s_wait_alu 0xfffe
	v_mul_lo_u32 v5, s18, v3
	s_delay_alu instid0(VALU_DEP_1) | instskip(NEXT) | instid1(VALU_DEP_1)
	v_mul_hi_u32 v5, v3, v5
	v_add_nc_u32_e32 v3, v3, v5
	s_delay_alu instid0(VALU_DEP_1) | instskip(NEXT) | instid1(VALU_DEP_1)
	v_mul_hi_u32 v3, v12, v3
	v_mul_lo_u32 v5, v3, s36
	v_add_nc_u32_e32 v7, 1, v3
	s_delay_alu instid0(VALU_DEP_2) | instskip(NEXT) | instid1(VALU_DEP_1)
	v_sub_nc_u32_e32 v5, v12, v5
	v_cmp_le_u32_e32 vcc_lo, s36, v5
	v_subrev_nc_u32_e32 v9, s36, v5
	s_wait_alu 0xfffd
	v_cndmask_b32_e32 v3, v3, v7, vcc_lo
	s_delay_alu instid0(VALU_DEP_1) | instskip(NEXT) | instid1(VALU_DEP_3)
	v_add_nc_u32_e32 v7, 1, v3
	v_cndmask_b32_e32 v5, v5, v9, vcc_lo
	s_delay_alu instid0(VALU_DEP_1) | instskip(SKIP_1) | instid1(VALU_DEP_3)
	v_cmp_le_u32_e32 vcc_lo, s36, v5
	s_wait_alu 0xfffd
	v_cndmask_b32_e32 v14, v3, v7, vcc_lo
.LBB80_38:                              ;   in Loop: Header=BB80_22 Depth=2
	s_wait_alu 0xfffe
	s_or_b32 exec_lo, exec_lo, s2
	s_add_co_i32 s18, s26, 3
	s_add_nc_u64 s[40:41], s[0:1], s[40:41]
	s_wait_alu 0xfffe
	s_lshl_b64 s[42:43], s[18:19], 2
                                        ; implicit-def: $vgpr16_vgpr17
	s_mov_b32 s2, exec_lo
	s_wait_alu 0xfffe
	s_add_nc_u64 s[38:39], s[10:11], s[42:43]
	s_clause 0x1
	s_load_b32 s35, s[40:41], 0x6c
	s_load_b32 s38, s[38:39], 0x8
	s_wait_kmcnt 0x0
	s_ashr_i32 s39, s38, 31
	s_wait_alu 0xfffe
	v_or_b32_e32 v3, s39, v15
	s_delay_alu instid0(VALU_DEP_1)
	v_cmpx_ne_u64_e32 0, v[2:3]
	s_xor_b32 s27, exec_lo, s2
	s_cbranch_execz .LBB80_40
; %bb.39:                               ;   in Loop: Header=BB80_22 Depth=2
	s_ashr_i32 s40, s39, 31
	v_ashrrev_i32_e32 v3, 31, v15
	s_wait_alu 0xfffe
	s_mov_b32 s41, s40
	s_wait_alu 0xfffe
	s_add_nc_u64 s[44:45], s[38:39], s[40:41]
	v_add_co_u32 v5, vcc_lo, v14, v3
	s_wait_alu 0xfffe
	s_xor_b64 s[44:45], s[44:45], s[40:41]
	s_wait_alu 0xfffd
	v_add_co_ci_u32_e64 v7, null, v15, v3, vcc_lo
	s_wait_alu 0xfffe
	s_cvt_f32_u32 s2, s44
	s_cvt_f32_u32 s18, s45
	s_sub_nc_u64 s[48:49], 0, s[44:45]
	v_xor_b32_e32 v5, v5, v3
	v_xor_b32_e32 v7, v7, v3
	s_wait_alu 0xfffe
	s_fmamk_f32 s2, s18, 0x4f800000, s2
	v_xor_b32_e32 v3, s40, v3
	s_wait_alu 0xfffe
	s_delay_alu instid0(SALU_CYCLE_1) | instskip(NEXT) | instid1(TRANS32_DEP_1)
	v_s_rcp_f32 s2, s2
	s_mul_f32 s2, s2, 0x5f7ffffc
	s_wait_alu 0xfffe
	s_delay_alu instid0(SALU_CYCLE_2) | instskip(SKIP_1) | instid1(SALU_CYCLE_2)
	s_mul_f32 s18, s2, 0x2f800000
	s_wait_alu 0xfffe
	s_trunc_f32 s18, s18
	s_wait_alu 0xfffe
	s_delay_alu instid0(SALU_CYCLE_2) | instskip(SKIP_2) | instid1(SALU_CYCLE_1)
	s_fmamk_f32 s2, s18, 0xcf800000, s2
	s_cvt_u32_f32 s47, s18
	s_wait_alu 0xfffe
	s_cvt_u32_f32 s46, s2
	s_wait_alu 0xfffe
	s_delay_alu instid0(SALU_CYCLE_2)
	s_mul_u64 s[50:51], s[48:49], s[46:47]
	s_wait_alu 0xfffe
	s_mul_hi_u32 s59, s46, s51
	s_mul_i32 s58, s46, s51
	s_mul_hi_u32 s18, s46, s50
	s_mul_i32 s37, s47, s50
	s_wait_alu 0xfffe
	s_add_nc_u64 s[58:59], s[18:19], s[58:59]
	s_mul_hi_u32 s2, s47, s50
	s_mul_hi_u32 s39, s47, s51
	s_add_co_u32 s18, s58, s37
	s_wait_alu 0xfffe
	s_add_co_ci_u32 s18, s59, s2
	s_mul_i32 s50, s47, s51
	s_add_co_ci_u32 s51, s39, 0
	s_wait_alu 0xfffe
	s_add_nc_u64 s[50:51], s[18:19], s[50:51]
	s_wait_alu 0xfffe
	s_add_co_u32 s46, s46, s50
	s_cselect_b32 s2, -1, 0
	s_wait_alu 0xfffe
	s_cmp_lg_u32 s2, 0
	s_add_co_ci_u32 s47, s47, s51
	s_wait_alu 0xfffe
	s_mul_u64 s[48:49], s[48:49], s[46:47]
	s_wait_alu 0xfffe
	s_mul_hi_u32 s51, s46, s49
	s_mul_i32 s50, s46, s49
	s_mul_hi_u32 s18, s46, s48
	s_mul_i32 s37, s47, s48
	s_wait_alu 0xfffe
	s_add_nc_u64 s[50:51], s[18:19], s[50:51]
	s_mul_hi_u32 s2, s47, s48
	s_mul_hi_u32 s39, s47, s49
	s_wait_alu 0xfffe
	s_add_co_u32 s18, s50, s37
	s_add_co_ci_u32 s18, s51, s2
	s_mul_i32 s48, s47, s49
	s_add_co_ci_u32 s49, s39, 0
	s_wait_alu 0xfffe
	s_add_nc_u64 s[48:49], s[18:19], s[48:49]
	s_wait_alu 0xfffe
	s_add_co_u32 s2, s46, s48
	s_cselect_b32 s18, -1, 0
	s_wait_alu 0xfffe
	v_mul_hi_u32 v9, v5, s2
	s_cmp_lg_u32 s18, 0
	v_mad_co_u64_u32 v[17:18], null, v7, s2, 0
	s_add_co_ci_u32 s18, s47, s49
	s_wait_alu 0xfffe
	v_mad_co_u64_u32 v[15:16], null, v5, s18, 0
	v_mad_co_u64_u32 v[19:20], null, v7, s18, 0
	s_delay_alu instid0(VALU_DEP_2) | instskip(SKIP_1) | instid1(VALU_DEP_3)
	v_add_co_u32 v9, vcc_lo, v9, v15
	s_wait_alu 0xfffd
	v_add_co_ci_u32_e64 v11, null, 0, v16, vcc_lo
	s_delay_alu instid0(VALU_DEP_2) | instskip(SKIP_1) | instid1(VALU_DEP_2)
	v_add_co_u32 v9, vcc_lo, v9, v17
	s_wait_alu 0xfffd
	v_add_co_ci_u32_e32 v9, vcc_lo, v11, v18, vcc_lo
	s_wait_alu 0xfffd
	v_add_co_ci_u32_e32 v11, vcc_lo, 0, v20, vcc_lo
	s_delay_alu instid0(VALU_DEP_2) | instskip(SKIP_1) | instid1(VALU_DEP_2)
	v_add_co_u32 v9, vcc_lo, v9, v19
	s_wait_alu 0xfffd
	v_add_co_ci_u32_e64 v11, null, 0, v11, vcc_lo
	s_delay_alu instid0(VALU_DEP_2) | instskip(SKIP_1) | instid1(VALU_DEP_3)
	v_mul_lo_u32 v13, s45, v9
	v_mad_co_u64_u32 v[15:16], null, s44, v9, 0
	v_mul_lo_u32 v17, s44, v11
	s_delay_alu instid0(VALU_DEP_2) | instskip(NEXT) | instid1(VALU_DEP_2)
	v_sub_co_u32 v5, vcc_lo, v5, v15
	v_add3_u32 v13, v16, v17, v13
	s_delay_alu instid0(VALU_DEP_1) | instskip(SKIP_2) | instid1(VALU_DEP_2)
	v_sub_nc_u32_e32 v16, v7, v13
	s_wait_alu 0xfffd
	v_sub_co_ci_u32_e64 v7, null, v7, v13, vcc_lo
	v_subrev_co_ci_u32_e64 v15, null, s45, v16, vcc_lo
	v_add_co_u32 v16, s2, v9, 2
	s_wait_alu 0xf1ff
	v_add_co_ci_u32_e64 v17, null, 0, v11, s2
	v_sub_co_u32 v18, s2, v5, s44
	s_wait_alu 0xf1ff
	v_subrev_co_ci_u32_e64 v15, null, 0, v15, s2
	s_delay_alu instid0(VALU_DEP_2) | instskip(SKIP_2) | instid1(VALU_DEP_3)
	v_cmp_le_u32_e32 vcc_lo, s44, v18
	s_wait_alu 0xfffd
	v_cndmask_b32_e64 v13, 0, -1, vcc_lo
	v_cmp_le_u32_e32 vcc_lo, s45, v15
	s_wait_alu 0xfffd
	v_cndmask_b32_e64 v18, 0, -1, vcc_lo
	;; [unrolled: 3-line block ×4, first 2 shown]
	v_cmp_eq_u32_e32 vcc_lo, s45, v15
	s_wait_alu 0xfffd
	v_cndmask_b32_e32 v13, v18, v13, vcc_lo
	v_add_co_u32 v15, vcc_lo, v9, 1
	s_wait_alu 0xfffd
	v_add_co_ci_u32_e64 v18, null, 0, v11, vcc_lo
	v_cmp_eq_u32_e32 vcc_lo, s45, v7
	s_wait_alu 0xfffd
	v_cndmask_b32_e32 v5, v19, v5, vcc_lo
	v_cmp_ne_u32_e32 vcc_lo, 0, v13
	s_delay_alu instid0(VALU_DEP_2) | instskip(SKIP_4) | instid1(VALU_DEP_2)
	v_cmp_ne_u32_e64 s2, 0, v5
	s_wait_alu 0xfffd
	v_cndmask_b32_e32 v5, v15, v16, vcc_lo
	v_cndmask_b32_e32 v7, v18, v17, vcc_lo
	s_wait_alu 0xf1ff
	v_cndmask_b32_e64 v5, v9, v5, s2
	s_delay_alu instid0(VALU_DEP_2) | instskip(NEXT) | instid1(VALU_DEP_2)
	v_cndmask_b32_e64 v7, v11, v7, s2
	v_xor_b32_e32 v5, v5, v3
	s_delay_alu instid0(VALU_DEP_2) | instskip(NEXT) | instid1(VALU_DEP_2)
	v_xor_b32_e32 v7, v7, v3
	v_sub_co_u32 v16, vcc_lo, v5, v3
	s_wait_alu 0xfffd
	s_delay_alu instid0(VALU_DEP_2)
	v_sub_co_ci_u32_e64 v17, null, v7, v3, vcc_lo
.LBB80_40:                              ;   in Loop: Header=BB80_22 Depth=2
	s_wait_alu 0xfffe
	s_and_not1_saveexec_b32 s2, s27
	s_cbranch_execz .LBB80_42
; %bb.41:                               ;   in Loop: Header=BB80_22 Depth=2
	v_cvt_f32_u32_e32 v3, s38
	s_sub_co_i32 s18, 0, s38
	v_mov_b32_e32 v17, v2
	s_delay_alu instid0(VALU_DEP_2) | instskip(NEXT) | instid1(TRANS32_DEP_1)
	v_rcp_iflag_f32_e32 v3, v3
	v_mul_f32_e32 v3, 0x4f7ffffe, v3
	s_delay_alu instid0(VALU_DEP_1) | instskip(SKIP_1) | instid1(VALU_DEP_1)
	v_cvt_u32_f32_e32 v3, v3
	s_wait_alu 0xfffe
	v_mul_lo_u32 v5, s18, v3
	s_delay_alu instid0(VALU_DEP_1) | instskip(NEXT) | instid1(VALU_DEP_1)
	v_mul_hi_u32 v5, v3, v5
	v_add_nc_u32_e32 v3, v3, v5
	s_delay_alu instid0(VALU_DEP_1) | instskip(NEXT) | instid1(VALU_DEP_1)
	v_mul_hi_u32 v3, v14, v3
	v_mul_lo_u32 v5, v3, s38
	v_add_nc_u32_e32 v7, 1, v3
	s_delay_alu instid0(VALU_DEP_2) | instskip(NEXT) | instid1(VALU_DEP_1)
	v_sub_nc_u32_e32 v5, v14, v5
	v_cmp_le_u32_e32 vcc_lo, s38, v5
	v_subrev_nc_u32_e32 v9, s38, v5
	s_wait_alu 0xfffd
	v_cndmask_b32_e32 v3, v3, v7, vcc_lo
	s_delay_alu instid0(VALU_DEP_1) | instskip(NEXT) | instid1(VALU_DEP_3)
	v_add_nc_u32_e32 v7, 1, v3
	v_cndmask_b32_e32 v5, v5, v9, vcc_lo
	s_delay_alu instid0(VALU_DEP_1) | instskip(SKIP_1) | instid1(VALU_DEP_3)
	v_cmp_le_u32_e32 vcc_lo, s38, v5
	s_wait_alu 0xfffd
	v_cndmask_b32_e32 v16, v3, v7, vcc_lo
.LBB80_42:                              ;   in Loop: Header=BB80_22 Depth=2
	s_wait_alu 0xfffe
	s_or_b32 exec_lo, exec_lo, s2
	s_add_co_i32 s18, s26, 2
	s_add_nc_u64 s[42:43], s[0:1], s[42:43]
	s_wait_alu 0xfffe
	s_lshl_b64 s[44:45], s[18:19], 2
                                        ; implicit-def: $vgpr18_vgpr19
	s_mov_b32 s2, exec_lo
	s_wait_alu 0xfffe
	s_add_nc_u64 s[40:41], s[10:11], s[44:45]
	s_clause 0x1
	s_load_b32 s37, s[42:43], 0x6c
	s_load_b32 s40, s[40:41], 0x8
	s_wait_kmcnt 0x0
	s_ashr_i32 s41, s40, 31
	s_wait_alu 0xfffe
	v_or_b32_e32 v3, s41, v17
	s_delay_alu instid0(VALU_DEP_1)
	v_cmpx_ne_u64_e32 0, v[2:3]
	s_xor_b32 s27, exec_lo, s2
	s_cbranch_execz .LBB80_44
; %bb.43:                               ;   in Loop: Header=BB80_22 Depth=2
	s_ashr_i32 s42, s41, 31
	v_ashrrev_i32_e32 v3, 31, v17
	s_wait_alu 0xfffe
	s_mov_b32 s43, s42
	s_wait_alu 0xfffe
	s_add_nc_u64 s[46:47], s[40:41], s[42:43]
	v_add_co_u32 v5, vcc_lo, v16, v3
	s_wait_alu 0xfffe
	s_xor_b64 s[46:47], s[46:47], s[42:43]
	s_wait_alu 0xfffd
	v_add_co_ci_u32_e64 v7, null, v17, v3, vcc_lo
	s_wait_alu 0xfffe
	s_cvt_f32_u32 s2, s46
	s_cvt_f32_u32 s18, s47
	s_sub_nc_u64 s[50:51], 0, s[46:47]
	v_xor_b32_e32 v5, v5, v3
	v_xor_b32_e32 v7, v7, v3
	s_wait_alu 0xfffe
	s_fmamk_f32 s2, s18, 0x4f800000, s2
	v_xor_b32_e32 v3, s42, v3
	s_wait_alu 0xfffe
	s_delay_alu instid0(SALU_CYCLE_1) | instskip(NEXT) | instid1(TRANS32_DEP_1)
	v_s_rcp_f32 s2, s2
	s_mul_f32 s2, s2, 0x5f7ffffc
	s_wait_alu 0xfffe
	s_delay_alu instid0(SALU_CYCLE_2) | instskip(SKIP_1) | instid1(SALU_CYCLE_2)
	s_mul_f32 s18, s2, 0x2f800000
	s_wait_alu 0xfffe
	s_trunc_f32 s18, s18
	s_wait_alu 0xfffe
	s_delay_alu instid0(SALU_CYCLE_2) | instskip(SKIP_2) | instid1(SALU_CYCLE_1)
	s_fmamk_f32 s2, s18, 0xcf800000, s2
	s_cvt_u32_f32 s49, s18
	s_wait_alu 0xfffe
	s_cvt_u32_f32 s48, s2
	s_wait_alu 0xfffe
	s_delay_alu instid0(SALU_CYCLE_2) | instskip(NEXT) | instid1(SALU_CYCLE_1)
	s_mul_u64 s[58:59], s[50:51], s[48:49]
	s_mul_hi_u32 s61, s48, s59
	s_mul_i32 s60, s48, s59
	s_mul_hi_u32 s18, s48, s58
	s_mul_i32 s39, s49, s58
	s_wait_alu 0xfffe
	s_add_nc_u64 s[60:61], s[18:19], s[60:61]
	s_mul_hi_u32 s2, s49, s58
	s_mul_hi_u32 s41, s49, s59
	s_add_co_u32 s18, s60, s39
	s_wait_alu 0xfffe
	s_add_co_ci_u32 s18, s61, s2
	s_mul_i32 s58, s49, s59
	s_add_co_ci_u32 s59, s41, 0
	s_wait_alu 0xfffe
	s_add_nc_u64 s[58:59], s[18:19], s[58:59]
	s_delay_alu instid0(SALU_CYCLE_1)
	s_add_co_u32 s48, s48, s58
	s_cselect_b32 s2, -1, 0
	s_wait_alu 0xfffe
	s_cmp_lg_u32 s2, 0
	s_add_co_ci_u32 s49, s49, s59
	s_wait_alu 0xfffe
	s_mul_u64 s[50:51], s[50:51], s[48:49]
	s_wait_alu 0xfffe
	s_mul_hi_u32 s59, s48, s51
	s_mul_i32 s58, s48, s51
	s_mul_hi_u32 s18, s48, s50
	s_mul_i32 s39, s49, s50
	s_wait_alu 0xfffe
	s_add_nc_u64 s[58:59], s[18:19], s[58:59]
	s_mul_hi_u32 s2, s49, s50
	s_mul_hi_u32 s41, s49, s51
	s_add_co_u32 s18, s58, s39
	s_wait_alu 0xfffe
	s_add_co_ci_u32 s18, s59, s2
	s_mul_i32 s50, s49, s51
	s_add_co_ci_u32 s51, s41, 0
	s_wait_alu 0xfffe
	s_add_nc_u64 s[50:51], s[18:19], s[50:51]
	s_wait_alu 0xfffe
	s_add_co_u32 s2, s48, s50
	s_cselect_b32 s18, -1, 0
	s_wait_alu 0xfffe
	v_mul_hi_u32 v9, v5, s2
	s_cmp_lg_u32 s18, 0
	v_mad_co_u64_u32 v[19:20], null, v7, s2, 0
	s_add_co_ci_u32 s18, s49, s51
	s_wait_alu 0xfffe
	v_mad_co_u64_u32 v[17:18], null, v5, s18, 0
	v_mad_co_u64_u32 v[21:22], null, v7, s18, 0
	s_delay_alu instid0(VALU_DEP_2) | instskip(SKIP_1) | instid1(VALU_DEP_3)
	v_add_co_u32 v9, vcc_lo, v9, v17
	s_wait_alu 0xfffd
	v_add_co_ci_u32_e64 v11, null, 0, v18, vcc_lo
	s_delay_alu instid0(VALU_DEP_2) | instskip(SKIP_1) | instid1(VALU_DEP_2)
	v_add_co_u32 v9, vcc_lo, v9, v19
	s_wait_alu 0xfffd
	v_add_co_ci_u32_e32 v9, vcc_lo, v11, v20, vcc_lo
	s_wait_alu 0xfffd
	v_add_co_ci_u32_e32 v11, vcc_lo, 0, v22, vcc_lo
	s_delay_alu instid0(VALU_DEP_2) | instskip(SKIP_1) | instid1(VALU_DEP_2)
	v_add_co_u32 v9, vcc_lo, v9, v21
	s_wait_alu 0xfffd
	v_add_co_ci_u32_e64 v11, null, 0, v11, vcc_lo
	s_delay_alu instid0(VALU_DEP_2) | instskip(SKIP_1) | instid1(VALU_DEP_3)
	v_mul_lo_u32 v13, s47, v9
	v_mad_co_u64_u32 v[17:18], null, s46, v9, 0
	v_mul_lo_u32 v15, s46, v11
	s_delay_alu instid0(VALU_DEP_2) | instskip(NEXT) | instid1(VALU_DEP_2)
	v_sub_co_u32 v5, vcc_lo, v5, v17
	v_add3_u32 v13, v18, v15, v13
	v_add_co_u32 v17, s2, v9, 2
	s_wait_alu 0xf1ff
	v_add_co_ci_u32_e64 v18, null, 0, v11, s2
	s_delay_alu instid0(VALU_DEP_3) | instskip(SKIP_3) | instid1(VALU_DEP_3)
	v_sub_nc_u32_e32 v15, v7, v13
	v_sub_co_u32 v19, s2, v5, s46
	s_wait_alu 0xfffd
	v_sub_co_ci_u32_e64 v7, null, v7, v13, vcc_lo
	v_subrev_co_ci_u32_e64 v15, null, s47, v15, vcc_lo
	s_delay_alu instid0(VALU_DEP_3) | instskip(SKIP_1) | instid1(VALU_DEP_2)
	v_cmp_le_u32_e32 vcc_lo, s46, v19
	s_wait_alu 0xf1ff
	v_subrev_co_ci_u32_e64 v15, null, 0, v15, s2
	s_wait_alu 0xfffd
	v_cndmask_b32_e64 v13, 0, -1, vcc_lo
	s_delay_alu instid0(VALU_DEP_2)
	v_cmp_le_u32_e32 vcc_lo, s47, v15
	s_wait_alu 0xfffd
	v_cndmask_b32_e64 v19, 0, -1, vcc_lo
	v_cmp_le_u32_e32 vcc_lo, s46, v5
	s_wait_alu 0xfffd
	v_cndmask_b32_e64 v5, 0, -1, vcc_lo
	;; [unrolled: 3-line block ×3, first 2 shown]
	v_cmp_eq_u32_e32 vcc_lo, s47, v15
	s_wait_alu 0xfffd
	v_cndmask_b32_e32 v13, v19, v13, vcc_lo
	v_add_co_u32 v15, vcc_lo, v9, 1
	s_wait_alu 0xfffd
	v_add_co_ci_u32_e64 v19, null, 0, v11, vcc_lo
	v_cmp_eq_u32_e32 vcc_lo, s47, v7
	s_wait_alu 0xfffd
	v_cndmask_b32_e32 v5, v20, v5, vcc_lo
	v_cmp_ne_u32_e32 vcc_lo, 0, v13
	s_delay_alu instid0(VALU_DEP_2) | instskip(SKIP_4) | instid1(VALU_DEP_2)
	v_cmp_ne_u32_e64 s2, 0, v5
	s_wait_alu 0xfffd
	v_cndmask_b32_e32 v5, v15, v17, vcc_lo
	v_cndmask_b32_e32 v7, v19, v18, vcc_lo
	s_wait_alu 0xf1ff
	v_cndmask_b32_e64 v5, v9, v5, s2
	s_delay_alu instid0(VALU_DEP_2) | instskip(NEXT) | instid1(VALU_DEP_2)
	v_cndmask_b32_e64 v7, v11, v7, s2
	v_xor_b32_e32 v5, v5, v3
	s_delay_alu instid0(VALU_DEP_2) | instskip(NEXT) | instid1(VALU_DEP_2)
	v_xor_b32_e32 v7, v7, v3
	v_sub_co_u32 v18, vcc_lo, v5, v3
	s_wait_alu 0xfffd
	s_delay_alu instid0(VALU_DEP_2)
	v_sub_co_ci_u32_e64 v19, null, v7, v3, vcc_lo
.LBB80_44:                              ;   in Loop: Header=BB80_22 Depth=2
	s_wait_alu 0xfffe
	s_and_not1_saveexec_b32 s2, s27
	s_cbranch_execz .LBB80_46
; %bb.45:                               ;   in Loop: Header=BB80_22 Depth=2
	v_cvt_f32_u32_e32 v3, s40
	s_sub_co_i32 s18, 0, s40
	v_mov_b32_e32 v19, v2
	s_delay_alu instid0(VALU_DEP_2) | instskip(NEXT) | instid1(TRANS32_DEP_1)
	v_rcp_iflag_f32_e32 v3, v3
	v_mul_f32_e32 v3, 0x4f7ffffe, v3
	s_delay_alu instid0(VALU_DEP_1) | instskip(SKIP_1) | instid1(VALU_DEP_1)
	v_cvt_u32_f32_e32 v3, v3
	s_wait_alu 0xfffe
	v_mul_lo_u32 v5, s18, v3
	s_delay_alu instid0(VALU_DEP_1) | instskip(NEXT) | instid1(VALU_DEP_1)
	v_mul_hi_u32 v5, v3, v5
	v_add_nc_u32_e32 v3, v3, v5
	s_delay_alu instid0(VALU_DEP_1) | instskip(NEXT) | instid1(VALU_DEP_1)
	v_mul_hi_u32 v3, v16, v3
	v_mul_lo_u32 v5, v3, s40
	v_add_nc_u32_e32 v7, 1, v3
	s_delay_alu instid0(VALU_DEP_2) | instskip(NEXT) | instid1(VALU_DEP_1)
	v_sub_nc_u32_e32 v5, v16, v5
	v_cmp_le_u32_e32 vcc_lo, s40, v5
	v_subrev_nc_u32_e32 v9, s40, v5
	s_wait_alu 0xfffd
	v_cndmask_b32_e32 v3, v3, v7, vcc_lo
	s_delay_alu instid0(VALU_DEP_1) | instskip(NEXT) | instid1(VALU_DEP_3)
	v_add_nc_u32_e32 v7, 1, v3
	v_cndmask_b32_e32 v5, v5, v9, vcc_lo
	s_delay_alu instid0(VALU_DEP_1) | instskip(SKIP_1) | instid1(VALU_DEP_3)
	v_cmp_le_u32_e32 vcc_lo, s40, v5
	s_wait_alu 0xfffd
	v_cndmask_b32_e32 v18, v3, v7, vcc_lo
.LBB80_46:                              ;   in Loop: Header=BB80_22 Depth=2
	s_wait_alu 0xfffe
	s_or_b32 exec_lo, exec_lo, s2
	s_add_co_i32 s18, s26, 1
	s_add_nc_u64 s[44:45], s[0:1], s[44:45]
	s_wait_alu 0xfffe
	s_lshl_b64 s[48:49], s[18:19], 2
                                        ; implicit-def: $vgpr20_vgpr21
	s_mov_b32 s2, exec_lo
	s_wait_alu 0xfffe
	s_add_nc_u64 s[42:43], s[10:11], s[48:49]
	s_clause 0x1
	s_load_b32 s39, s[44:45], 0x6c
	s_load_b32 s42, s[42:43], 0x8
	s_wait_kmcnt 0x0
	s_ashr_i32 s43, s42, 31
	s_wait_alu 0xfffe
	v_or_b32_e32 v3, s43, v19
	s_delay_alu instid0(VALU_DEP_1)
	v_cmpx_ne_u64_e32 0, v[2:3]
	s_xor_b32 s27, exec_lo, s2
	s_cbranch_execz .LBB80_48
; %bb.47:                               ;   in Loop: Header=BB80_22 Depth=2
	s_ashr_i32 s44, s43, 31
	v_ashrrev_i32_e32 v3, 31, v19
	s_wait_alu 0xfffe
	s_mov_b32 s45, s44
	s_wait_alu 0xfffe
	s_add_nc_u64 s[46:47], s[42:43], s[44:45]
	v_add_co_u32 v5, vcc_lo, v18, v3
	s_wait_alu 0xfffe
	s_xor_b64 s[46:47], s[46:47], s[44:45]
	s_wait_alu 0xfffd
	v_add_co_ci_u32_e64 v7, null, v19, v3, vcc_lo
	s_wait_alu 0xfffe
	s_cvt_f32_u32 s2, s46
	s_cvt_f32_u32 s18, s47
	s_sub_nc_u64 s[58:59], 0, s[46:47]
	v_xor_b32_e32 v5, v5, v3
	v_xor_b32_e32 v7, v7, v3
	s_wait_alu 0xfffe
	s_fmamk_f32 s2, s18, 0x4f800000, s2
	v_xor_b32_e32 v3, s44, v3
	s_wait_alu 0xfffe
	s_delay_alu instid0(SALU_CYCLE_1) | instskip(NEXT) | instid1(TRANS32_DEP_1)
	v_s_rcp_f32 s2, s2
	s_mul_f32 s2, s2, 0x5f7ffffc
	s_wait_alu 0xfffe
	s_delay_alu instid0(SALU_CYCLE_2) | instskip(SKIP_1) | instid1(SALU_CYCLE_2)
	s_mul_f32 s18, s2, 0x2f800000
	s_wait_alu 0xfffe
	s_trunc_f32 s18, s18
	s_wait_alu 0xfffe
	s_delay_alu instid0(SALU_CYCLE_2) | instskip(SKIP_2) | instid1(SALU_CYCLE_1)
	s_fmamk_f32 s2, s18, 0xcf800000, s2
	s_cvt_u32_f32 s51, s18
	s_wait_alu 0xfffe
	s_cvt_u32_f32 s50, s2
	s_wait_alu 0xfffe
	s_delay_alu instid0(SALU_CYCLE_2) | instskip(NEXT) | instid1(SALU_CYCLE_1)
	s_mul_u64 s[60:61], s[58:59], s[50:51]
	s_mul_hi_u32 s63, s50, s61
	s_mul_i32 s62, s50, s61
	s_mul_hi_u32 s18, s50, s60
	s_mul_i32 s41, s51, s60
	s_wait_alu 0xfffe
	s_add_nc_u64 s[62:63], s[18:19], s[62:63]
	s_mul_hi_u32 s2, s51, s60
	s_mul_hi_u32 s43, s51, s61
	s_add_co_u32 s18, s62, s41
	s_wait_alu 0xfffe
	s_add_co_ci_u32 s18, s63, s2
	s_mul_i32 s60, s51, s61
	s_add_co_ci_u32 s61, s43, 0
	s_wait_alu 0xfffe
	s_add_nc_u64 s[60:61], s[18:19], s[60:61]
	s_delay_alu instid0(SALU_CYCLE_1)
	s_add_co_u32 s50, s50, s60
	s_cselect_b32 s2, -1, 0
	s_wait_alu 0xfffe
	s_cmp_lg_u32 s2, 0
	s_add_co_ci_u32 s51, s51, s61
	s_wait_alu 0xfffe
	s_mul_u64 s[58:59], s[58:59], s[50:51]
	s_delay_alu instid0(SALU_CYCLE_1)
	s_mul_hi_u32 s61, s50, s59
	s_mul_i32 s60, s50, s59
	s_mul_hi_u32 s18, s50, s58
	s_mul_i32 s41, s51, s58
	s_wait_alu 0xfffe
	s_add_nc_u64 s[60:61], s[18:19], s[60:61]
	s_mul_hi_u32 s2, s51, s58
	s_mul_hi_u32 s43, s51, s59
	s_add_co_u32 s18, s60, s41
	s_wait_alu 0xfffe
	s_add_co_ci_u32 s18, s61, s2
	s_mul_i32 s58, s51, s59
	s_add_co_ci_u32 s59, s43, 0
	s_wait_alu 0xfffe
	s_add_nc_u64 s[58:59], s[18:19], s[58:59]
	s_delay_alu instid0(SALU_CYCLE_1)
	s_add_co_u32 s2, s50, s58
	s_cselect_b32 s18, -1, 0
	s_wait_alu 0xfffe
	v_mul_hi_u32 v9, v5, s2
	s_cmp_lg_u32 s18, 0
	v_mad_co_u64_u32 v[21:22], null, v7, s2, 0
	s_add_co_ci_u32 s18, s51, s59
	s_wait_alu 0xfffe
	v_mad_co_u64_u32 v[19:20], null, v5, s18, 0
	v_mad_co_u64_u32 v[27:28], null, v7, s18, 0
	s_delay_alu instid0(VALU_DEP_2) | instskip(SKIP_1) | instid1(VALU_DEP_3)
	v_add_co_u32 v9, vcc_lo, v9, v19
	s_wait_alu 0xfffd
	v_add_co_ci_u32_e64 v11, null, 0, v20, vcc_lo
	s_delay_alu instid0(VALU_DEP_2) | instskip(SKIP_1) | instid1(VALU_DEP_2)
	v_add_co_u32 v9, vcc_lo, v9, v21
	s_wait_alu 0xfffd
	v_add_co_ci_u32_e32 v9, vcc_lo, v11, v22, vcc_lo
	s_wait_alu 0xfffd
	v_add_co_ci_u32_e32 v11, vcc_lo, 0, v28, vcc_lo
	s_delay_alu instid0(VALU_DEP_2) | instskip(SKIP_1) | instid1(VALU_DEP_2)
	v_add_co_u32 v9, vcc_lo, v9, v27
	s_wait_alu 0xfffd
	v_add_co_ci_u32_e64 v11, null, 0, v11, vcc_lo
	s_delay_alu instid0(VALU_DEP_2) | instskip(SKIP_1) | instid1(VALU_DEP_3)
	v_mul_lo_u32 v13, s47, v9
	v_mad_co_u64_u32 v[19:20], null, s46, v9, 0
	v_mul_lo_u32 v15, s46, v11
	v_add_co_u32 v17, s2, v9, 2
	s_delay_alu instid0(VALU_DEP_3) | instskip(NEXT) | instid1(VALU_DEP_3)
	v_sub_co_u32 v5, vcc_lo, v5, v19
	v_add3_u32 v13, v20, v15, v13
	s_wait_alu 0xf1ff
	v_add_co_ci_u32_e64 v19, null, 0, v11, s2
	s_delay_alu instid0(VALU_DEP_3) | instskip(NEXT) | instid1(VALU_DEP_3)
	v_sub_co_u32 v20, s2, v5, s46
	v_sub_nc_u32_e32 v15, v7, v13
	s_wait_alu 0xfffd
	v_sub_co_ci_u32_e64 v7, null, v7, v13, vcc_lo
	s_delay_alu instid0(VALU_DEP_2) | instskip(SKIP_2) | instid1(VALU_DEP_2)
	v_subrev_co_ci_u32_e64 v15, null, s47, v15, vcc_lo
	v_cmp_le_u32_e32 vcc_lo, s46, v20
	s_wait_alu 0xf1ff
	v_subrev_co_ci_u32_e64 v15, null, 0, v15, s2
	s_wait_alu 0xfffd
	v_cndmask_b32_e64 v13, 0, -1, vcc_lo
	s_delay_alu instid0(VALU_DEP_2)
	v_cmp_le_u32_e32 vcc_lo, s47, v15
	s_wait_alu 0xfffd
	v_cndmask_b32_e64 v20, 0, -1, vcc_lo
	v_cmp_le_u32_e32 vcc_lo, s46, v5
	s_wait_alu 0xfffd
	v_cndmask_b32_e64 v5, 0, -1, vcc_lo
	;; [unrolled: 3-line block ×3, first 2 shown]
	v_cmp_eq_u32_e32 vcc_lo, s47, v15
	s_wait_alu 0xfffd
	v_cndmask_b32_e32 v13, v20, v13, vcc_lo
	v_add_co_u32 v15, vcc_lo, v9, 1
	s_wait_alu 0xfffd
	v_add_co_ci_u32_e64 v20, null, 0, v11, vcc_lo
	v_cmp_eq_u32_e32 vcc_lo, s47, v7
	s_wait_alu 0xfffd
	v_cndmask_b32_e32 v5, v21, v5, vcc_lo
	v_cmp_ne_u32_e32 vcc_lo, 0, v13
	s_delay_alu instid0(VALU_DEP_2) | instskip(SKIP_4) | instid1(VALU_DEP_2)
	v_cmp_ne_u32_e64 s2, 0, v5
	s_wait_alu 0xfffd
	v_cndmask_b32_e32 v5, v15, v17, vcc_lo
	v_cndmask_b32_e32 v7, v20, v19, vcc_lo
	s_wait_alu 0xf1ff
	v_cndmask_b32_e64 v5, v9, v5, s2
	s_delay_alu instid0(VALU_DEP_2) | instskip(NEXT) | instid1(VALU_DEP_2)
	v_cndmask_b32_e64 v7, v11, v7, s2
	v_xor_b32_e32 v5, v5, v3
	s_delay_alu instid0(VALU_DEP_2) | instskip(NEXT) | instid1(VALU_DEP_2)
	v_xor_b32_e32 v7, v7, v3
	v_sub_co_u32 v20, vcc_lo, v5, v3
	s_wait_alu 0xfffd
	s_delay_alu instid0(VALU_DEP_2)
	v_sub_co_ci_u32_e64 v21, null, v7, v3, vcc_lo
.LBB80_48:                              ;   in Loop: Header=BB80_22 Depth=2
	s_wait_alu 0xfffe
	s_and_not1_saveexec_b32 s2, s27
	s_cbranch_execz .LBB80_50
; %bb.49:                               ;   in Loop: Header=BB80_22 Depth=2
	v_cvt_f32_u32_e32 v3, s42
	s_sub_co_i32 s18, 0, s42
	v_mov_b32_e32 v21, v2
	s_delay_alu instid0(VALU_DEP_2) | instskip(NEXT) | instid1(TRANS32_DEP_1)
	v_rcp_iflag_f32_e32 v3, v3
	v_mul_f32_e32 v3, 0x4f7ffffe, v3
	s_delay_alu instid0(VALU_DEP_1) | instskip(SKIP_1) | instid1(VALU_DEP_1)
	v_cvt_u32_f32_e32 v3, v3
	s_wait_alu 0xfffe
	v_mul_lo_u32 v5, s18, v3
	s_delay_alu instid0(VALU_DEP_1) | instskip(NEXT) | instid1(VALU_DEP_1)
	v_mul_hi_u32 v5, v3, v5
	v_add_nc_u32_e32 v3, v3, v5
	s_delay_alu instid0(VALU_DEP_1) | instskip(NEXT) | instid1(VALU_DEP_1)
	v_mul_hi_u32 v3, v18, v3
	v_mul_lo_u32 v5, v3, s42
	v_add_nc_u32_e32 v7, 1, v3
	s_delay_alu instid0(VALU_DEP_2) | instskip(NEXT) | instid1(VALU_DEP_1)
	v_sub_nc_u32_e32 v5, v18, v5
	v_cmp_le_u32_e32 vcc_lo, s42, v5
	v_subrev_nc_u32_e32 v9, s42, v5
	s_wait_alu 0xfffd
	v_cndmask_b32_e32 v3, v3, v7, vcc_lo
	s_delay_alu instid0(VALU_DEP_1) | instskip(NEXT) | instid1(VALU_DEP_3)
	v_add_nc_u32_e32 v7, 1, v3
	v_cndmask_b32_e32 v5, v5, v9, vcc_lo
	s_delay_alu instid0(VALU_DEP_1) | instskip(SKIP_1) | instid1(VALU_DEP_3)
	v_cmp_le_u32_e32 vcc_lo, s42, v5
	s_wait_alu 0xfffd
	v_cndmask_b32_e32 v20, v3, v7, vcc_lo
.LBB80_50:                              ;   in Loop: Header=BB80_22 Depth=2
	s_wait_alu 0xfffe
	s_or_b32 exec_lo, exec_lo, s2
	s_mov_b32 s27, s19
	s_add_nc_u64 s[48:49], s[0:1], s[48:49]
	s_wait_alu 0xfffe
	s_lshl_b64 s[46:47], s[26:27], 2
                                        ; implicit-def: $vgpr22_vgpr23
	s_mov_b32 s2, exec_lo
	s_wait_alu 0xfffe
	s_add_nc_u64 s[44:45], s[10:11], s[46:47]
	s_clause 0x1
	s_load_b32 s27, s[48:49], 0x6c
	s_load_b32 s44, s[44:45], 0x8
	s_wait_kmcnt 0x0
	s_ashr_i32 s45, s44, 31
	s_wait_alu 0xfffe
	v_or_b32_e32 v3, s45, v21
	s_delay_alu instid0(VALU_DEP_1)
	v_cmpx_ne_u64_e32 0, v[2:3]
	s_xor_b32 s41, exec_lo, s2
	s_cbranch_execz .LBB80_52
; %bb.51:                               ;   in Loop: Header=BB80_22 Depth=2
	s_ashr_i32 s48, s45, 31
	v_ashrrev_i32_e32 v3, 31, v21
	s_wait_alu 0xfffe
	s_mov_b32 s49, s48
	s_wait_alu 0xfffe
	s_add_nc_u64 s[50:51], s[44:45], s[48:49]
	v_add_co_u32 v5, vcc_lo, v20, v3
	s_wait_alu 0xfffe
	s_xor_b64 s[50:51], s[50:51], s[48:49]
	s_wait_alu 0xfffd
	v_add_co_ci_u32_e64 v7, null, v21, v3, vcc_lo
	s_wait_alu 0xfffe
	s_cvt_f32_u32 s2, s50
	s_cvt_f32_u32 s18, s51
	s_sub_nc_u64 s[60:61], 0, s[50:51]
	v_xor_b32_e32 v5, v5, v3
	v_xor_b32_e32 v7, v7, v3
	s_wait_alu 0xfffe
	s_fmamk_f32 s2, s18, 0x4f800000, s2
	v_xor_b32_e32 v3, s48, v3
	s_wait_alu 0xfffe
	s_delay_alu instid0(SALU_CYCLE_1) | instskip(NEXT) | instid1(TRANS32_DEP_1)
	v_s_rcp_f32 s2, s2
	s_mul_f32 s2, s2, 0x5f7ffffc
	s_wait_alu 0xfffe
	s_delay_alu instid0(SALU_CYCLE_2) | instskip(SKIP_1) | instid1(SALU_CYCLE_2)
	s_mul_f32 s18, s2, 0x2f800000
	s_wait_alu 0xfffe
	s_trunc_f32 s18, s18
	s_wait_alu 0xfffe
	s_delay_alu instid0(SALU_CYCLE_2) | instskip(SKIP_2) | instid1(SALU_CYCLE_1)
	s_fmamk_f32 s2, s18, 0xcf800000, s2
	s_cvt_u32_f32 s59, s18
	s_wait_alu 0xfffe
	s_cvt_u32_f32 s58, s2
	s_delay_alu instid0(SALU_CYCLE_3) | instskip(NEXT) | instid1(SALU_CYCLE_1)
	s_mul_u64 s[62:63], s[60:61], s[58:59]
	s_mul_hi_u32 s65, s58, s63
	s_mul_i32 s64, s58, s63
	s_mul_hi_u32 s18, s58, s62
	s_mul_i32 s43, s59, s62
	s_wait_alu 0xfffe
	s_add_nc_u64 s[64:65], s[18:19], s[64:65]
	s_mul_hi_u32 s2, s59, s62
	s_mul_hi_u32 s45, s59, s63
	s_add_co_u32 s18, s64, s43
	s_wait_alu 0xfffe
	s_add_co_ci_u32 s18, s65, s2
	s_mul_i32 s62, s59, s63
	s_add_co_ci_u32 s63, s45, 0
	s_wait_alu 0xfffe
	s_add_nc_u64 s[62:63], s[18:19], s[62:63]
	s_delay_alu instid0(SALU_CYCLE_1) | instskip(SKIP_4) | instid1(SALU_CYCLE_1)
	s_add_co_u32 s58, s58, s62
	s_cselect_b32 s2, -1, 0
	s_wait_alu 0xfffe
	s_cmp_lg_u32 s2, 0
	s_add_co_ci_u32 s59, s59, s63
	s_mul_u64 s[60:61], s[60:61], s[58:59]
	s_delay_alu instid0(SALU_CYCLE_1)
	s_mul_hi_u32 s63, s58, s61
	s_mul_i32 s62, s58, s61
	s_mul_hi_u32 s18, s58, s60
	s_mul_i32 s43, s59, s60
	s_wait_alu 0xfffe
	s_add_nc_u64 s[62:63], s[18:19], s[62:63]
	s_mul_hi_u32 s2, s59, s60
	s_mul_hi_u32 s45, s59, s61
	s_add_co_u32 s18, s62, s43
	s_wait_alu 0xfffe
	s_add_co_ci_u32 s18, s63, s2
	s_mul_i32 s60, s59, s61
	s_add_co_ci_u32 s61, s45, 0
	s_wait_alu 0xfffe
	s_add_nc_u64 s[60:61], s[18:19], s[60:61]
	s_delay_alu instid0(SALU_CYCLE_1)
	s_add_co_u32 s2, s58, s60
	s_cselect_b32 s18, -1, 0
	s_wait_alu 0xfffe
	v_mul_hi_u32 v9, v5, s2
	s_cmp_lg_u32 s18, 0
	v_mad_co_u64_u32 v[27:28], null, v7, s2, 0
	s_add_co_ci_u32 s18, s59, s61
	s_wait_alu 0xfffe
	v_mad_co_u64_u32 v[21:22], null, v5, s18, 0
	v_mad_co_u64_u32 v[29:30], null, v7, s18, 0
	s_delay_alu instid0(VALU_DEP_2) | instskip(SKIP_1) | instid1(VALU_DEP_3)
	v_add_co_u32 v9, vcc_lo, v9, v21
	s_wait_alu 0xfffd
	v_add_co_ci_u32_e64 v11, null, 0, v22, vcc_lo
	s_delay_alu instid0(VALU_DEP_2) | instskip(SKIP_1) | instid1(VALU_DEP_2)
	v_add_co_u32 v9, vcc_lo, v9, v27
	s_wait_alu 0xfffd
	v_add_co_ci_u32_e32 v9, vcc_lo, v11, v28, vcc_lo
	s_wait_alu 0xfffd
	v_add_co_ci_u32_e32 v11, vcc_lo, 0, v30, vcc_lo
	s_delay_alu instid0(VALU_DEP_2) | instskip(SKIP_1) | instid1(VALU_DEP_2)
	v_add_co_u32 v9, vcc_lo, v9, v29
	s_wait_alu 0xfffd
	v_add_co_ci_u32_e64 v11, null, 0, v11, vcc_lo
	s_delay_alu instid0(VALU_DEP_2) | instskip(SKIP_1) | instid1(VALU_DEP_3)
	v_mul_lo_u32 v13, s51, v9
	v_mad_co_u64_u32 v[21:22], null, s50, v9, 0
	v_mul_lo_u32 v15, s50, v11
	v_add_co_u32 v17, s2, v9, 2
	s_wait_alu 0xf1ff
	v_add_co_ci_u32_e64 v19, null, 0, v11, s2
	s_delay_alu instid0(VALU_DEP_4) | instskip(NEXT) | instid1(VALU_DEP_4)
	v_sub_co_u32 v5, vcc_lo, v5, v21
	v_add3_u32 v13, v22, v15, v13
	s_delay_alu instid0(VALU_DEP_2) | instskip(NEXT) | instid1(VALU_DEP_2)
	v_sub_co_u32 v21, s2, v5, s50
	v_sub_nc_u32_e32 v15, v7, v13
	s_wait_alu 0xfffd
	v_sub_co_ci_u32_e64 v7, null, v7, v13, vcc_lo
	s_delay_alu instid0(VALU_DEP_2) | instskip(SKIP_2) | instid1(VALU_DEP_2)
	v_subrev_co_ci_u32_e64 v15, null, s51, v15, vcc_lo
	v_cmp_le_u32_e32 vcc_lo, s50, v21
	s_wait_alu 0xf1ff
	v_subrev_co_ci_u32_e64 v15, null, 0, v15, s2
	s_wait_alu 0xfffd
	v_cndmask_b32_e64 v13, 0, -1, vcc_lo
	s_delay_alu instid0(VALU_DEP_2)
	v_cmp_le_u32_e32 vcc_lo, s51, v15
	s_wait_alu 0xfffd
	v_cndmask_b32_e64 v21, 0, -1, vcc_lo
	v_cmp_le_u32_e32 vcc_lo, s50, v5
	s_wait_alu 0xfffd
	v_cndmask_b32_e64 v5, 0, -1, vcc_lo
	;; [unrolled: 3-line block ×3, first 2 shown]
	v_cmp_eq_u32_e32 vcc_lo, s51, v15
	s_wait_alu 0xfffd
	v_cndmask_b32_e32 v13, v21, v13, vcc_lo
	v_add_co_u32 v15, vcc_lo, v9, 1
	s_wait_alu 0xfffd
	v_add_co_ci_u32_e64 v21, null, 0, v11, vcc_lo
	v_cmp_eq_u32_e32 vcc_lo, s51, v7
	s_wait_alu 0xfffd
	v_cndmask_b32_e32 v5, v22, v5, vcc_lo
	v_cmp_ne_u32_e32 vcc_lo, 0, v13
	s_delay_alu instid0(VALU_DEP_2) | instskip(SKIP_4) | instid1(VALU_DEP_2)
	v_cmp_ne_u32_e64 s2, 0, v5
	s_wait_alu 0xfffd
	v_cndmask_b32_e32 v5, v15, v17, vcc_lo
	v_cndmask_b32_e32 v7, v21, v19, vcc_lo
	s_wait_alu 0xf1ff
	v_cndmask_b32_e64 v5, v9, v5, s2
	s_delay_alu instid0(VALU_DEP_2) | instskip(NEXT) | instid1(VALU_DEP_2)
	v_cndmask_b32_e64 v7, v11, v7, s2
	v_xor_b32_e32 v5, v5, v3
	s_delay_alu instid0(VALU_DEP_2) | instskip(NEXT) | instid1(VALU_DEP_2)
	v_xor_b32_e32 v7, v7, v3
	v_sub_co_u32 v22, vcc_lo, v5, v3
	s_wait_alu 0xfffd
	s_delay_alu instid0(VALU_DEP_2)
	v_sub_co_ci_u32_e64 v23, null, v7, v3, vcc_lo
.LBB80_52:                              ;   in Loop: Header=BB80_22 Depth=2
	s_wait_alu 0xfffe
	s_and_not1_saveexec_b32 s2, s41
	s_cbranch_execz .LBB80_54
; %bb.53:                               ;   in Loop: Header=BB80_22 Depth=2
	v_cvt_f32_u32_e32 v3, s44
	s_sub_co_i32 s18, 0, s44
	v_mov_b32_e32 v23, v2
	s_delay_alu instid0(VALU_DEP_2) | instskip(NEXT) | instid1(TRANS32_DEP_1)
	v_rcp_iflag_f32_e32 v3, v3
	v_mul_f32_e32 v3, 0x4f7ffffe, v3
	s_delay_alu instid0(VALU_DEP_1) | instskip(SKIP_1) | instid1(VALU_DEP_1)
	v_cvt_u32_f32_e32 v3, v3
	s_wait_alu 0xfffe
	v_mul_lo_u32 v5, s18, v3
	s_delay_alu instid0(VALU_DEP_1) | instskip(NEXT) | instid1(VALU_DEP_1)
	v_mul_hi_u32 v5, v3, v5
	v_add_nc_u32_e32 v3, v3, v5
	s_delay_alu instid0(VALU_DEP_1) | instskip(NEXT) | instid1(VALU_DEP_1)
	v_mul_hi_u32 v3, v20, v3
	v_mul_lo_u32 v5, v3, s44
	v_add_nc_u32_e32 v7, 1, v3
	s_delay_alu instid0(VALU_DEP_2) | instskip(NEXT) | instid1(VALU_DEP_1)
	v_sub_nc_u32_e32 v5, v20, v5
	v_cmp_le_u32_e32 vcc_lo, s44, v5
	v_subrev_nc_u32_e32 v9, s44, v5
	s_wait_alu 0xfffd
	v_cndmask_b32_e32 v3, v3, v7, vcc_lo
	s_delay_alu instid0(VALU_DEP_1) | instskip(NEXT) | instid1(VALU_DEP_3)
	v_add_nc_u32_e32 v7, 1, v3
	v_cndmask_b32_e32 v5, v5, v9, vcc_lo
	s_delay_alu instid0(VALU_DEP_1) | instskip(SKIP_1) | instid1(VALU_DEP_3)
	v_cmp_le_u32_e32 vcc_lo, s44, v5
	s_wait_alu 0xfffd
	v_cndmask_b32_e32 v22, v3, v7, vcc_lo
.LBB80_54:                              ;   in Loop: Header=BB80_22 Depth=2
	s_wait_alu 0xfffe
	s_or_b32 exec_lo, exec_lo, s2
	v_mul_lo_u32 v3, v8, s28
	v_mul_lo_u32 v5, v10, s30
	;; [unrolled: 1-line block ×5, first 2 shown]
	s_add_nc_u64 s[40:41], s[0:1], s[46:47]
	v_mul_lo_u32 v11, v16, s38
	s_load_b32 s2, s[40:41], 0x6c
	v_sub_nc_u32_e32 v3, v6, v3
	v_sub_nc_u32_e32 v5, v8, v5
	;; [unrolled: 1-line block ×4, first 2 shown]
	v_mul_lo_u32 v8, v20, s42
	v_mul_lo_u32 v3, s25, v3
	;; [unrolled: 1-line block ×4, first 2 shown]
	v_sub_nc_u32_e32 v10, v14, v11
	v_sub_nc_u32_e32 v11, v16, v13
	v_mul_lo_u32 v6, s31, v6
	v_mul_lo_u32 v7, s35, v7
	s_add_co_i32 s26, s26, -8
	v_mul_lo_u32 v10, s37, v10
	v_add3_u32 v3, v3, v4, v5
	v_sub_nc_u32_e32 v4, v18, v8
	v_sub_nc_u32_e32 v5, v20, v9
	v_mul_lo_u32 v8, s39, v11
	s_wait_alu 0xfffe
	s_cmp_eq_u32 s26, -8
	v_add3_u32 v3, v6, v3, v7
	v_mul_lo_u32 v4, s27, v4
	s_wait_kmcnt 0x0
	v_mul_lo_u32 v5, s2, v5
	s_delay_alu instid0(VALU_DEP_3) | instskip(NEXT) | instid1(VALU_DEP_1)
	v_add3_u32 v3, v10, v3, v8
	v_add3_u32 v4, v4, v3, v5
	s_cbranch_scc1 .LBB80_56
; %bb.55:                               ;   in Loop: Header=BB80_22 Depth=2
	v_dual_mov_b32 v6, v22 :: v_dual_mov_b32 v7, v23
	s_branch .LBB80_22
.LBB80_56:                              ;   in Loop: Header=BB80_3 Depth=1
	s_load_b32 s2, s[12:13], 0x4
	s_wait_kmcnt 0x0
	v_cmp_gt_i32_e32 vcc_lo, s2, v26
	s_and_b32 exec_lo, exec_lo, vcc_lo
	s_cbranch_execz .LBB80_2
; %bb.57:                               ;   in Loop: Header=BB80_3 Depth=1
	v_ashrrev_i32_e32 v5, 31, v4
	v_mov_b32_e32 v3, v2
	s_delay_alu instid0(VALU_DEP_2) | instskip(SKIP_1) | instid1(VALU_DEP_2)
	v_lshlrev_b64_e32 v[5:6], 4, v[4:5]
	v_mov_b32_e32 v4, v2
	v_add_co_u32 v7, vcc_lo, s16, v5
	s_wait_alu 0xfffd
	s_delay_alu instid0(VALU_DEP_3)
	v_add_co_ci_u32_e64 v8, null, s17, v6, vcc_lo
	v_mov_b32_e32 v5, v2
	global_store_b128 v[7:8], v[2:5], off
	s_branch .LBB80_2
.LBB80_58:
	s_endpgm
	.section	.rodata,"a",@progbits
	.p2align	6, 0x0
	.amdhsa_kernel _ZN2at6native16triu_tril_kernelIN3c107complexIdEEiLb1ELi1ELb1EEEvNS_4cuda6detail10TensorInfoIT_T0_EENS7_IKS8_S9_EEllS9_
		.amdhsa_group_segment_fixed_size 0
		.amdhsa_private_segment_fixed_size 0
		.amdhsa_kernarg_size 712
		.amdhsa_user_sgpr_count 2
		.amdhsa_user_sgpr_dispatch_ptr 0
		.amdhsa_user_sgpr_queue_ptr 0
		.amdhsa_user_sgpr_kernarg_segment_ptr 1
		.amdhsa_user_sgpr_dispatch_id 0
		.amdhsa_user_sgpr_private_segment_size 0
		.amdhsa_wavefront_size32 1
		.amdhsa_uses_dynamic_stack 0
		.amdhsa_enable_private_segment 0
		.amdhsa_system_sgpr_workgroup_id_x 1
		.amdhsa_system_sgpr_workgroup_id_y 0
		.amdhsa_system_sgpr_workgroup_id_z 0
		.amdhsa_system_sgpr_workgroup_info 0
		.amdhsa_system_vgpr_workitem_id 0
		.amdhsa_next_free_vgpr 31
		.amdhsa_next_free_sgpr 66
		.amdhsa_reserve_vcc 1
		.amdhsa_float_round_mode_32 0
		.amdhsa_float_round_mode_16_64 0
		.amdhsa_float_denorm_mode_32 3
		.amdhsa_float_denorm_mode_16_64 3
		.amdhsa_fp16_overflow 0
		.amdhsa_workgroup_processor_mode 1
		.amdhsa_memory_ordered 1
		.amdhsa_forward_progress 1
		.amdhsa_inst_pref_size 95
		.amdhsa_round_robin_scheduling 0
		.amdhsa_exception_fp_ieee_invalid_op 0
		.amdhsa_exception_fp_denorm_src 0
		.amdhsa_exception_fp_ieee_div_zero 0
		.amdhsa_exception_fp_ieee_overflow 0
		.amdhsa_exception_fp_ieee_underflow 0
		.amdhsa_exception_fp_ieee_inexact 0
		.amdhsa_exception_int_div_zero 0
	.end_amdhsa_kernel
	.section	.text._ZN2at6native16triu_tril_kernelIN3c107complexIdEEiLb1ELi1ELb1EEEvNS_4cuda6detail10TensorInfoIT_T0_EENS7_IKS8_S9_EEllS9_,"axG",@progbits,_ZN2at6native16triu_tril_kernelIN3c107complexIdEEiLb1ELi1ELb1EEEvNS_4cuda6detail10TensorInfoIT_T0_EENS7_IKS8_S9_EEllS9_,comdat
.Lfunc_end80:
	.size	_ZN2at6native16triu_tril_kernelIN3c107complexIdEEiLb1ELi1ELb1EEEvNS_4cuda6detail10TensorInfoIT_T0_EENS7_IKS8_S9_EEllS9_, .Lfunc_end80-_ZN2at6native16triu_tril_kernelIN3c107complexIdEEiLb1ELi1ELb1EEEvNS_4cuda6detail10TensorInfoIT_T0_EENS7_IKS8_S9_EEllS9_
                                        ; -- End function
	.set _ZN2at6native16triu_tril_kernelIN3c107complexIdEEiLb1ELi1ELb1EEEvNS_4cuda6detail10TensorInfoIT_T0_EENS7_IKS8_S9_EEllS9_.num_vgpr, 31
	.set _ZN2at6native16triu_tril_kernelIN3c107complexIdEEiLb1ELi1ELb1EEEvNS_4cuda6detail10TensorInfoIT_T0_EENS7_IKS8_S9_EEllS9_.num_agpr, 0
	.set _ZN2at6native16triu_tril_kernelIN3c107complexIdEEiLb1ELi1ELb1EEEvNS_4cuda6detail10TensorInfoIT_T0_EENS7_IKS8_S9_EEllS9_.numbered_sgpr, 66
	.set _ZN2at6native16triu_tril_kernelIN3c107complexIdEEiLb1ELi1ELb1EEEvNS_4cuda6detail10TensorInfoIT_T0_EENS7_IKS8_S9_EEllS9_.num_named_barrier, 0
	.set _ZN2at6native16triu_tril_kernelIN3c107complexIdEEiLb1ELi1ELb1EEEvNS_4cuda6detail10TensorInfoIT_T0_EENS7_IKS8_S9_EEllS9_.private_seg_size, 0
	.set _ZN2at6native16triu_tril_kernelIN3c107complexIdEEiLb1ELi1ELb1EEEvNS_4cuda6detail10TensorInfoIT_T0_EENS7_IKS8_S9_EEllS9_.uses_vcc, 1
	.set _ZN2at6native16triu_tril_kernelIN3c107complexIdEEiLb1ELi1ELb1EEEvNS_4cuda6detail10TensorInfoIT_T0_EENS7_IKS8_S9_EEllS9_.uses_flat_scratch, 0
	.set _ZN2at6native16triu_tril_kernelIN3c107complexIdEEiLb1ELi1ELb1EEEvNS_4cuda6detail10TensorInfoIT_T0_EENS7_IKS8_S9_EEllS9_.has_dyn_sized_stack, 0
	.set _ZN2at6native16triu_tril_kernelIN3c107complexIdEEiLb1ELi1ELb1EEEvNS_4cuda6detail10TensorInfoIT_T0_EENS7_IKS8_S9_EEllS9_.has_recursion, 0
	.set _ZN2at6native16triu_tril_kernelIN3c107complexIdEEiLb1ELi1ELb1EEEvNS_4cuda6detail10TensorInfoIT_T0_EENS7_IKS8_S9_EEllS9_.has_indirect_call, 0
	.section	.AMDGPU.csdata,"",@progbits
; Kernel info:
; codeLenInByte = 12056
; TotalNumSgprs: 68
; NumVgprs: 31
; ScratchSize: 0
; MemoryBound: 0
; FloatMode: 240
; IeeeMode: 1
; LDSByteSize: 0 bytes/workgroup (compile time only)
; SGPRBlocks: 0
; VGPRBlocks: 3
; NumSGPRsForWavesPerEU: 68
; NumVGPRsForWavesPerEU: 31
; Occupancy: 16
; WaveLimiterHint : 0
; COMPUTE_PGM_RSRC2:SCRATCH_EN: 0
; COMPUTE_PGM_RSRC2:USER_SGPR: 2
; COMPUTE_PGM_RSRC2:TRAP_HANDLER: 0
; COMPUTE_PGM_RSRC2:TGID_X_EN: 1
; COMPUTE_PGM_RSRC2:TGID_Y_EN: 0
; COMPUTE_PGM_RSRC2:TGID_Z_EN: 0
; COMPUTE_PGM_RSRC2:TIDIG_COMP_CNT: 0
	.section	.text._ZN2at6native16triu_tril_kernelIN3c107complexIdEEiLb1ELi1ELb0EEEvNS_4cuda6detail10TensorInfoIT_T0_EENS7_IKS8_S9_EEllS9_,"axG",@progbits,_ZN2at6native16triu_tril_kernelIN3c107complexIdEEiLb1ELi1ELb0EEEvNS_4cuda6detail10TensorInfoIT_T0_EENS7_IKS8_S9_EEllS9_,comdat
	.protected	_ZN2at6native16triu_tril_kernelIN3c107complexIdEEiLb1ELi1ELb0EEEvNS_4cuda6detail10TensorInfoIT_T0_EENS7_IKS8_S9_EEllS9_ ; -- Begin function _ZN2at6native16triu_tril_kernelIN3c107complexIdEEiLb1ELi1ELb0EEEvNS_4cuda6detail10TensorInfoIT_T0_EENS7_IKS8_S9_EEllS9_
	.globl	_ZN2at6native16triu_tril_kernelIN3c107complexIdEEiLb1ELi1ELb0EEEvNS_4cuda6detail10TensorInfoIT_T0_EENS7_IKS8_S9_EEllS9_
	.p2align	8
	.type	_ZN2at6native16triu_tril_kernelIN3c107complexIdEEiLb1ELi1ELb0EEEvNS_4cuda6detail10TensorInfoIT_T0_EENS7_IKS8_S9_EEllS9_,@function
_ZN2at6native16triu_tril_kernelIN3c107complexIdEEiLb1ELi1ELb0EEEvNS_4cuda6detail10TensorInfoIT_T0_EENS7_IKS8_S9_EEllS9_: ; @_ZN2at6native16triu_tril_kernelIN3c107complexIdEEiLb1ELi1ELb0EEEvNS_4cuda6detail10TensorInfoIT_T0_EENS7_IKS8_S9_EEllS9_
; %bb.0:
	s_clause 0x1
	s_load_b32 s2, s[0:1], 0x1d4
	s_load_b128 s[4:7], s[0:1], 0x1b0
	v_mov_b32_e32 v4, 0
	s_delay_alu instid0(VALU_DEP_1) | instskip(SKIP_3) | instid1(VALU_DEP_1)
	v_mov_b32_e32 v1, v4
	s_wait_kmcnt 0x0
	s_and_b32 s22, s2, 0xffff
	s_mov_b32 s2, exec_lo
	v_mad_co_u64_u32 v[6:7], null, s22, ttmp9, v[0:1]
	s_delay_alu instid0(VALU_DEP_1)
	v_cmpx_gt_i64_e64 s[6:7], v[6:7]
	s_cbranch_execz .LBB81_44
; %bb.1:
	s_clause 0x2
	s_load_b32 s24, s[0:1], 0x1a8
	s_load_b32 s8, s[0:1], 0x1c0
	s_load_b64 s[10:11], s[0:1], 0xd8
	s_add_nc_u64 s[12:13], s[0:1], 0xd8
	s_add_nc_u64 s[18:19], s[0:1], 0x1c8
	s_mov_b32 s23, 0
	s_load_b32 s26, s[18:19], 0x0
	s_mov_b32 s51, 0
	s_load_b64 s[20:21], s[0:1], 0x0
	s_wait_kmcnt 0x0
	s_ashr_i32 s25, s24, 31
	v_cvt_f32_u32_e32 v0, s8
	s_lshl_b64 s[14:15], s[24:25], 2
	s_and_b32 s46, s24, 3
	s_add_nc_u64 s[16:17], s[12:13], s[14:15]
	s_add_nc_u64 s[18:19], s[0:1], s[14:15]
	s_clause 0x2
	s_load_b64 s[2:3], s[16:17], 0x0
	s_load_b64 s[14:15], s[16:17], 0x64
	;; [unrolled: 1-line block ×3, first 2 shown]
	v_rcp_iflag_f32_e32 v0, v0
	s_ashr_i32 s9, s8, 31
	s_add_co_i32 s33, s24, -3
	v_cmp_gt_i64_e64 s50, s[24:25], 2
	s_mul_i32 s49, s26, s22
	s_wait_kmcnt 0x0
	s_mov_b32 s18, s2
	s_ashr_i32 s19, s2, 31
	v_cvt_f32_u32_e32 v1, s18
	s_cmp_lg_u32 s46, 2
	s_cselect_b32 s47, -1, 0
	s_cmp_gt_u32 s33, 2
	s_delay_alu instid0(VALU_DEP_1)
	v_rcp_iflag_f32_e32 v1, v1
	v_mul_f32_e32 v0, 0x4f7ffffe, v0
	s_cselect_b32 s48, -1, 0
	s_sub_co_i32 s2, 0, s8
	s_wait_alu 0xfffe
	s_ashr_i32 s24, s9, 31
	s_ashr_i32 s26, s19, 31
	s_delay_alu instid0(TRANS32_DEP_1) | instskip(SKIP_1) | instid1(VALU_DEP_2)
	v_mul_f32_e32 v1, 0x4f7ffffe, v1
	v_cvt_u32_f32_e32 v0, v0
	v_cvt_u32_f32_e32 v17, v1
	s_delay_alu instid0(VALU_DEP_2) | instskip(NEXT) | instid1(VALU_DEP_1)
	v_mul_lo_u32 v2, s2, v0
	v_mul_hi_u32 v2, v0, v2
	s_delay_alu instid0(VALU_DEP_1)
	v_add_nc_u32_e32 v18, v0, v2
	s_branch .LBB81_3
.LBB81_2:                               ;   in Loop: Header=BB81_3 Depth=1
	s_wait_alu 0xfffe
	s_or_b32 exec_lo, exec_lo, s2
	v_add_co_u32 v6, vcc_lo, v6, s49
	s_wait_alu 0xfffd
	v_add_co_ci_u32_e64 v7, null, 0, v7, vcc_lo
	s_delay_alu instid0(VALU_DEP_1) | instskip(SKIP_1) | instid1(SALU_CYCLE_1)
	v_cmp_le_i64_e32 vcc_lo, s[6:7], v[6:7]
	s_or_b32 s51, vcc_lo, s51
	s_and_not1_b32 exec_lo, exec_lo, s51
	s_cbranch_execz .LBB81_44
.LBB81_3:                               ; =>This Loop Header: Depth=1
                                        ;     Child Loop BB81_15 Depth 2
                                        ;     Child Loop BB81_20 Depth 2
	v_or_b32_e32 v5, s9, v7
                                        ; implicit-def: $vgpr2_vgpr3
	s_mov_b32 s2, exec_lo
	s_delay_alu instid0(VALU_DEP_1)
	v_cmpx_ne_u64_e32 0, v[4:5]
	s_wait_alu 0xfffe
	s_xor_b32 s27, exec_lo, s2
	s_cbranch_execz .LBB81_5
; %bb.4:                                ;   in Loop: Header=BB81_3 Depth=1
	s_mov_b32 s25, s24
	v_ashrrev_i32_e32 v5, 31, v7
	s_wait_alu 0xfffe
	s_add_nc_u64 s[28:29], s[8:9], s[24:25]
	s_wait_alu 0xfffe
	s_xor_b64 s[28:29], s[28:29], s[24:25]
	v_add_co_u32 v0, vcc_lo, v6, v5
	s_wait_alu 0xfffe
	s_cvt_f32_u32 s2, s28
	s_cvt_f32_u32 s22, s29
	s_sub_nc_u64 s[34:35], 0, s[28:29]
	s_wait_alu 0xfffd
	v_add_co_ci_u32_e64 v1, null, v7, v5, vcc_lo
	s_wait_alu 0xfffe
	s_fmamk_f32 s2, s22, 0x4f800000, s2
	v_xor_b32_e32 v10, v0, v5
	s_delay_alu instid0(VALU_DEP_2) | instskip(SKIP_3) | instid1(TRANS32_DEP_1)
	v_xor_b32_e32 v11, v1, v5
	s_wait_alu 0xfffe
	v_s_rcp_f32 s2, s2
	v_xor_b32_e32 v5, s24, v5
	s_mul_f32 s2, s2, 0x5f7ffffc
	s_wait_alu 0xfffe
	s_delay_alu instid0(SALU_CYCLE_2) | instskip(SKIP_1) | instid1(SALU_CYCLE_2)
	s_mul_f32 s22, s2, 0x2f800000
	s_wait_alu 0xfffe
	s_trunc_f32 s22, s22
	s_wait_alu 0xfffe
	s_delay_alu instid0(SALU_CYCLE_2) | instskip(SKIP_2) | instid1(SALU_CYCLE_1)
	s_fmamk_f32 s2, s22, 0xcf800000, s2
	s_cvt_u32_f32 s31, s22
	s_wait_alu 0xfffe
	s_cvt_u32_f32 s30, s2
	s_wait_alu 0xfffe
	s_delay_alu instid0(SALU_CYCLE_2)
	s_mul_u64 s[36:37], s[34:35], s[30:31]
	s_wait_alu 0xfffe
	s_mul_hi_u32 s39, s30, s37
	s_mul_i32 s38, s30, s37
	s_mul_hi_u32 s22, s30, s36
	s_mul_i32 s25, s31, s36
	s_wait_alu 0xfffe
	s_add_nc_u64 s[38:39], s[22:23], s[38:39]
	s_mul_hi_u32 s2, s31, s36
	s_mul_hi_u32 s40, s31, s37
	s_wait_alu 0xfffe
	s_add_co_u32 s22, s38, s25
	s_add_co_ci_u32 s22, s39, s2
	s_mul_i32 s36, s31, s37
	s_add_co_ci_u32 s37, s40, 0
	s_wait_alu 0xfffe
	s_add_nc_u64 s[36:37], s[22:23], s[36:37]
	s_wait_alu 0xfffe
	s_add_co_u32 s30, s30, s36
	s_cselect_b32 s2, -1, 0
	s_wait_alu 0xfffe
	s_cmp_lg_u32 s2, 0
	s_add_co_ci_u32 s31, s31, s37
	s_wait_alu 0xfffe
	s_mul_u64 s[34:35], s[34:35], s[30:31]
	s_wait_alu 0xfffe
	s_mul_hi_u32 s37, s30, s35
	s_mul_i32 s36, s30, s35
	s_mul_hi_u32 s22, s30, s34
	s_mul_i32 s25, s31, s34
	s_wait_alu 0xfffe
	s_add_nc_u64 s[36:37], s[22:23], s[36:37]
	s_mul_hi_u32 s2, s31, s34
	s_mul_hi_u32 s38, s31, s35
	s_wait_alu 0xfffe
	s_add_co_u32 s22, s36, s25
	s_add_co_ci_u32 s22, s37, s2
	s_mul_i32 s34, s31, s35
	s_add_co_ci_u32 s35, s38, 0
	s_wait_alu 0xfffe
	s_add_nc_u64 s[34:35], s[22:23], s[34:35]
	s_wait_alu 0xfffe
	s_add_co_u32 s2, s30, s34
	s_cselect_b32 s22, -1, 0
	s_wait_alu 0xfffe
	v_mul_hi_u32 v12, v10, s2
	s_cmp_lg_u32 s22, 0
	v_mad_co_u64_u32 v[2:3], null, v11, s2, 0
	s_add_co_ci_u32 s22, s31, s35
	s_wait_alu 0xfffe
	v_mad_co_u64_u32 v[0:1], null, v10, s22, 0
	v_mad_co_u64_u32 v[8:9], null, v11, s22, 0
	s_delay_alu instid0(VALU_DEP_2) | instskip(SKIP_1) | instid1(VALU_DEP_3)
	v_add_co_u32 v0, vcc_lo, v12, v0
	s_wait_alu 0xfffd
	v_add_co_ci_u32_e64 v1, null, 0, v1, vcc_lo
	s_delay_alu instid0(VALU_DEP_2) | instskip(SKIP_1) | instid1(VALU_DEP_2)
	v_add_co_u32 v0, vcc_lo, v0, v2
	s_wait_alu 0xfffd
	v_add_co_ci_u32_e32 v0, vcc_lo, v1, v3, vcc_lo
	s_wait_alu 0xfffd
	v_add_co_ci_u32_e32 v1, vcc_lo, 0, v9, vcc_lo
	s_delay_alu instid0(VALU_DEP_2) | instskip(SKIP_1) | instid1(VALU_DEP_2)
	v_add_co_u32 v2, vcc_lo, v0, v8
	s_wait_alu 0xfffd
	v_add_co_ci_u32_e64 v3, null, 0, v1, vcc_lo
	s_delay_alu instid0(VALU_DEP_2) | instskip(SKIP_1) | instid1(VALU_DEP_3)
	v_mul_lo_u32 v8, s29, v2
	v_mad_co_u64_u32 v[0:1], null, s28, v2, 0
	v_mul_lo_u32 v9, s28, v3
	s_delay_alu instid0(VALU_DEP_2) | instskip(NEXT) | instid1(VALU_DEP_2)
	v_sub_co_u32 v0, vcc_lo, v10, v0
	v_add3_u32 v1, v1, v9, v8
	v_add_co_u32 v9, s2, v2, 2
	s_wait_alu 0xf1ff
	v_add_co_ci_u32_e64 v10, null, 0, v3, s2
	s_delay_alu instid0(VALU_DEP_3) | instskip(SKIP_3) | instid1(VALU_DEP_3)
	v_sub_nc_u32_e32 v8, v11, v1
	v_sub_co_u32 v12, s2, v0, s28
	s_wait_alu 0xfffd
	v_sub_co_ci_u32_e64 v1, null, v11, v1, vcc_lo
	v_subrev_co_ci_u32_e64 v8, null, s29, v8, vcc_lo
	s_delay_alu instid0(VALU_DEP_3) | instskip(SKIP_1) | instid1(VALU_DEP_2)
	v_cmp_le_u32_e32 vcc_lo, s28, v12
	s_wait_alu 0xf1ff
	v_subrev_co_ci_u32_e64 v8, null, 0, v8, s2
	s_wait_alu 0xfffd
	v_cndmask_b32_e64 v11, 0, -1, vcc_lo
	s_delay_alu instid0(VALU_DEP_2)
	v_cmp_le_u32_e32 vcc_lo, s29, v8
	s_wait_alu 0xfffd
	v_cndmask_b32_e64 v12, 0, -1, vcc_lo
	v_cmp_le_u32_e32 vcc_lo, s28, v0
	s_wait_alu 0xfffd
	v_cndmask_b32_e64 v0, 0, -1, vcc_lo
	;; [unrolled: 3-line block ×3, first 2 shown]
	v_cmp_eq_u32_e32 vcc_lo, s29, v8
	s_wait_alu 0xfffd
	v_cndmask_b32_e32 v8, v12, v11, vcc_lo
	v_add_co_u32 v11, vcc_lo, v2, 1
	s_wait_alu 0xfffd
	v_add_co_ci_u32_e64 v12, null, 0, v3, vcc_lo
	v_cmp_eq_u32_e32 vcc_lo, s29, v1
	s_wait_alu 0xfffd
	v_cndmask_b32_e32 v0, v13, v0, vcc_lo
	v_cmp_ne_u32_e32 vcc_lo, 0, v8
	s_wait_alu 0xfffd
	v_cndmask_b32_e32 v1, v12, v10, vcc_lo
	s_delay_alu instid0(VALU_DEP_3) | instskip(SKIP_2) | instid1(VALU_DEP_2)
	v_cmp_ne_u32_e64 s2, 0, v0
	v_cndmask_b32_e32 v0, v11, v9, vcc_lo
	s_wait_alu 0xf1ff
	v_cndmask_b32_e64 v1, v3, v1, s2
	s_delay_alu instid0(VALU_DEP_2) | instskip(NEXT) | instid1(VALU_DEP_2)
	v_cndmask_b32_e64 v0, v2, v0, s2
	v_xor_b32_e32 v1, v1, v5
	s_delay_alu instid0(VALU_DEP_2) | instskip(NEXT) | instid1(VALU_DEP_1)
	v_xor_b32_e32 v0, v0, v5
	v_sub_co_u32 v2, vcc_lo, v0, v5
	s_wait_alu 0xfffd
	s_delay_alu instid0(VALU_DEP_3)
	v_sub_co_ci_u32_e64 v3, null, v1, v5, vcc_lo
.LBB81_5:                               ;   in Loop: Header=BB81_3 Depth=1
	s_wait_alu 0xfffe
	s_and_not1_saveexec_b32 s2, s27
	s_cbranch_execz .LBB81_7
; %bb.6:                                ;   in Loop: Header=BB81_3 Depth=1
	v_mul_hi_u32 v0, v6, v18
	s_delay_alu instid0(VALU_DEP_1) | instskip(NEXT) | instid1(VALU_DEP_1)
	v_mul_lo_u32 v1, v0, s8
	v_sub_nc_u32_e32 v1, v6, v1
	s_delay_alu instid0(VALU_DEP_1) | instskip(SKIP_2) | instid1(VALU_DEP_2)
	v_subrev_nc_u32_e32 v3, s8, v1
	v_cmp_le_u32_e32 vcc_lo, s8, v1
	s_wait_alu 0xfffd
	v_dual_cndmask_b32 v1, v1, v3 :: v_dual_add_nc_u32 v2, 1, v0
	s_delay_alu instid0(VALU_DEP_1) | instskip(SKIP_1) | instid1(VALU_DEP_3)
	v_cndmask_b32_e32 v0, v0, v2, vcc_lo
	v_mov_b32_e32 v3, v4
	v_cmp_le_u32_e32 vcc_lo, s8, v1
	s_delay_alu instid0(VALU_DEP_3) | instskip(SKIP_1) | instid1(VALU_DEP_1)
	v_add_nc_u32_e32 v2, 1, v0
	s_wait_alu 0xfffd
	v_cndmask_b32_e32 v2, v0, v2, vcc_lo
.LBB81_7:                               ;   in Loop: Header=BB81_3 Depth=1
	s_wait_alu 0xfffe
	s_or_b32 exec_lo, exec_lo, s2
	v_or_b32_e32 v5, s19, v3
                                        ; implicit-def: $vgpr0_vgpr1
	s_mov_b32 s2, exec_lo
	s_delay_alu instid0(VALU_DEP_1)
	v_cmpx_ne_u64_e32 0, v[4:5]
	s_wait_alu 0xfffe
	s_xor_b32 s25, exec_lo, s2
	s_cbranch_execz .LBB81_9
; %bb.8:                                ;   in Loop: Header=BB81_3 Depth=1
	s_mov_b32 s27, s26
	v_ashrrev_i32_e32 v5, 31, v3
	s_wait_alu 0xfffe
	s_add_nc_u64 s[28:29], s[18:19], s[26:27]
	s_wait_alu 0xfffe
	s_xor_b64 s[28:29], s[28:29], s[26:27]
	v_add_co_u32 v0, vcc_lo, v2, v5
	s_wait_alu 0xfffe
	s_cvt_f32_u32 s2, s28
	s_cvt_f32_u32 s22, s29
	s_sub_nc_u64 s[34:35], 0, s[28:29]
	s_wait_alu 0xfffd
	v_add_co_ci_u32_e64 v1, null, v3, v5, vcc_lo
	s_wait_alu 0xfffe
	s_fmamk_f32 s2, s22, 0x4f800000, s2
	v_xor_b32_e32 v3, v0, v5
	s_delay_alu instid0(VALU_DEP_2) | instskip(SKIP_2) | instid1(TRANS32_DEP_1)
	v_xor_b32_e32 v12, v1, v5
	s_wait_alu 0xfffe
	v_s_rcp_f32 s2, s2
	s_mul_f32 s2, s2, 0x5f7ffffc
	s_wait_alu 0xfffe
	s_delay_alu instid0(SALU_CYCLE_2) | instskip(SKIP_1) | instid1(SALU_CYCLE_2)
	s_mul_f32 s22, s2, 0x2f800000
	s_wait_alu 0xfffe
	s_trunc_f32 s22, s22
	s_wait_alu 0xfffe
	s_delay_alu instid0(SALU_CYCLE_2) | instskip(SKIP_2) | instid1(SALU_CYCLE_1)
	s_fmamk_f32 s2, s22, 0xcf800000, s2
	s_cvt_u32_f32 s31, s22
	s_wait_alu 0xfffe
	s_cvt_u32_f32 s30, s2
	s_wait_alu 0xfffe
	s_delay_alu instid0(SALU_CYCLE_2)
	s_mul_u64 s[36:37], s[34:35], s[30:31]
	s_wait_alu 0xfffe
	s_mul_hi_u32 s39, s30, s37
	s_mul_i32 s38, s30, s37
	s_mul_hi_u32 s22, s30, s36
	s_mul_i32 s27, s31, s36
	s_wait_alu 0xfffe
	s_add_nc_u64 s[38:39], s[22:23], s[38:39]
	s_mul_hi_u32 s2, s31, s36
	s_mul_hi_u32 s40, s31, s37
	s_wait_alu 0xfffe
	s_add_co_u32 s22, s38, s27
	s_add_co_ci_u32 s22, s39, s2
	s_mul_i32 s36, s31, s37
	s_add_co_ci_u32 s37, s40, 0
	s_wait_alu 0xfffe
	s_add_nc_u64 s[36:37], s[22:23], s[36:37]
	s_wait_alu 0xfffe
	s_add_co_u32 s30, s30, s36
	s_cselect_b32 s2, -1, 0
	s_wait_alu 0xfffe
	s_cmp_lg_u32 s2, 0
	s_add_co_ci_u32 s31, s31, s37
	s_wait_alu 0xfffe
	s_mul_u64 s[34:35], s[34:35], s[30:31]
	s_wait_alu 0xfffe
	s_mul_hi_u32 s37, s30, s35
	s_mul_i32 s36, s30, s35
	s_mul_hi_u32 s22, s30, s34
	s_mul_i32 s27, s31, s34
	s_wait_alu 0xfffe
	s_add_nc_u64 s[36:37], s[22:23], s[36:37]
	s_mul_hi_u32 s2, s31, s34
	s_mul_hi_u32 s38, s31, s35
	s_wait_alu 0xfffe
	s_add_co_u32 s22, s36, s27
	s_add_co_ci_u32 s22, s37, s2
	s_mul_i32 s34, s31, s35
	s_add_co_ci_u32 s35, s38, 0
	s_wait_alu 0xfffe
	s_add_nc_u64 s[34:35], s[22:23], s[34:35]
	s_wait_alu 0xfffe
	s_add_co_u32 s2, s30, s34
	s_cselect_b32 s22, -1, 0
	s_wait_alu 0xfffe
	v_mul_hi_u32 v13, v3, s2
	s_cmp_lg_u32 s22, 0
	v_mad_co_u64_u32 v[8:9], null, v12, s2, 0
	s_add_co_ci_u32 s22, s31, s35
	s_wait_alu 0xfffe
	v_mad_co_u64_u32 v[0:1], null, v3, s22, 0
	v_mad_co_u64_u32 v[10:11], null, v12, s22, 0
	s_delay_alu instid0(VALU_DEP_2) | instskip(SKIP_1) | instid1(VALU_DEP_3)
	v_add_co_u32 v0, vcc_lo, v13, v0
	s_wait_alu 0xfffd
	v_add_co_ci_u32_e64 v1, null, 0, v1, vcc_lo
	s_delay_alu instid0(VALU_DEP_2) | instskip(SKIP_1) | instid1(VALU_DEP_2)
	v_add_co_u32 v0, vcc_lo, v0, v8
	s_wait_alu 0xfffd
	v_add_co_ci_u32_e32 v0, vcc_lo, v1, v9, vcc_lo
	s_wait_alu 0xfffd
	v_add_co_ci_u32_e32 v1, vcc_lo, 0, v11, vcc_lo
	s_delay_alu instid0(VALU_DEP_2) | instskip(SKIP_1) | instid1(VALU_DEP_2)
	v_add_co_u32 v8, vcc_lo, v0, v10
	s_wait_alu 0xfffd
	v_add_co_ci_u32_e64 v9, null, 0, v1, vcc_lo
	s_delay_alu instid0(VALU_DEP_2) | instskip(SKIP_1) | instid1(VALU_DEP_3)
	v_mul_lo_u32 v10, s29, v8
	v_mad_co_u64_u32 v[0:1], null, s28, v8, 0
	v_mul_lo_u32 v11, s28, v9
	s_delay_alu instid0(VALU_DEP_2) | instskip(NEXT) | instid1(VALU_DEP_2)
	v_sub_co_u32 v0, vcc_lo, v3, v0
	v_add3_u32 v1, v1, v11, v10
	s_delay_alu instid0(VALU_DEP_1) | instskip(SKIP_2) | instid1(VALU_DEP_2)
	v_sub_nc_u32_e32 v10, v12, v1
	s_wait_alu 0xfffd
	v_sub_co_ci_u32_e64 v1, null, v12, v1, vcc_lo
	v_subrev_co_ci_u32_e64 v3, null, s29, v10, vcc_lo
	v_add_co_u32 v10, s2, v8, 2
	s_wait_alu 0xf1ff
	v_add_co_ci_u32_e64 v11, null, 0, v9, s2
	v_sub_co_u32 v13, s2, v0, s28
	s_wait_alu 0xf1ff
	v_subrev_co_ci_u32_e64 v3, null, 0, v3, s2
	s_delay_alu instid0(VALU_DEP_2) | instskip(SKIP_2) | instid1(VALU_DEP_3)
	v_cmp_le_u32_e32 vcc_lo, s28, v13
	s_wait_alu 0xfffd
	v_cndmask_b32_e64 v12, 0, -1, vcc_lo
	v_cmp_le_u32_e32 vcc_lo, s29, v3
	s_wait_alu 0xfffd
	v_cndmask_b32_e64 v13, 0, -1, vcc_lo
	;; [unrolled: 3-line block ×4, first 2 shown]
	v_cmp_eq_u32_e32 vcc_lo, s29, v3
	s_wait_alu 0xfffd
	v_cndmask_b32_e32 v3, v13, v12, vcc_lo
	v_add_co_u32 v12, vcc_lo, v8, 1
	s_wait_alu 0xfffd
	v_add_co_ci_u32_e64 v13, null, 0, v9, vcc_lo
	v_cmp_eq_u32_e32 vcc_lo, s29, v1
	s_wait_alu 0xfffd
	v_cndmask_b32_e32 v0, v14, v0, vcc_lo
	v_cmp_ne_u32_e32 vcc_lo, 0, v3
	v_xor_b32_e32 v3, s26, v5
	s_wait_alu 0xfffd
	v_cndmask_b32_e32 v1, v13, v11, vcc_lo
	v_cmp_ne_u32_e64 s2, 0, v0
	v_cndmask_b32_e32 v0, v12, v10, vcc_lo
	s_wait_alu 0xf1ff
	s_delay_alu instid0(VALU_DEP_2) | instskip(NEXT) | instid1(VALU_DEP_2)
	v_cndmask_b32_e64 v1, v9, v1, s2
	v_cndmask_b32_e64 v0, v8, v0, s2
	s_delay_alu instid0(VALU_DEP_2) | instskip(NEXT) | instid1(VALU_DEP_2)
	v_xor_b32_e32 v1, v1, v3
	v_xor_b32_e32 v0, v0, v3
	s_delay_alu instid0(VALU_DEP_1) | instskip(SKIP_1) | instid1(VALU_DEP_3)
	v_sub_co_u32 v0, vcc_lo, v0, v3
	s_wait_alu 0xfffd
	v_sub_co_ci_u32_e64 v1, null, v1, v3, vcc_lo
.LBB81_9:                               ;   in Loop: Header=BB81_3 Depth=1
	s_wait_alu 0xfffe
	s_and_not1_saveexec_b32 s2, s25
	s_cbranch_execz .LBB81_11
; %bb.10:                               ;   in Loop: Header=BB81_3 Depth=1
	s_sub_co_i32 s22, 0, s18
	s_wait_alu 0xfffe
	v_mul_lo_u32 v0, s22, v17
	s_delay_alu instid0(VALU_DEP_1) | instskip(NEXT) | instid1(VALU_DEP_1)
	v_mul_hi_u32 v0, v17, v0
	v_add_nc_u32_e32 v0, v17, v0
	s_delay_alu instid0(VALU_DEP_1) | instskip(NEXT) | instid1(VALU_DEP_1)
	v_mul_hi_u32 v0, v2, v0
	v_mul_lo_u32 v1, v0, s18
	v_add_nc_u32_e32 v3, 1, v0
	s_delay_alu instid0(VALU_DEP_2) | instskip(NEXT) | instid1(VALU_DEP_1)
	v_sub_nc_u32_e32 v1, v2, v1
	v_subrev_nc_u32_e32 v5, s18, v1
	v_cmp_le_u32_e32 vcc_lo, s18, v1
	s_wait_alu 0xfffd
	s_delay_alu instid0(VALU_DEP_2) | instskip(NEXT) | instid1(VALU_DEP_1)
	v_dual_cndmask_b32 v1, v1, v5 :: v_dual_cndmask_b32 v0, v0, v3
	v_cmp_le_u32_e32 vcc_lo, s18, v1
	s_delay_alu instid0(VALU_DEP_2) | instskip(SKIP_2) | instid1(VALU_DEP_2)
	v_add_nc_u32_e32 v3, 1, v0
	v_mov_b32_e32 v1, v4
	s_wait_alu 0xfffd
	v_cndmask_b32_e32 v0, v0, v3, vcc_lo
.LBB81_11:                              ;   in Loop: Header=BB81_3 Depth=1
	s_wait_alu 0xfffe
	s_or_b32 exec_lo, exec_lo, s2
	v_mad_co_u64_u32 v[8:9], null, v2, s8, 0
	s_delay_alu instid0(VALU_DEP_2) | instskip(SKIP_3) | instid1(VALU_DEP_2)
	v_mad_co_u64_u32 v[9:10], null, v0, s18, 0
	s_and_not1_b32 vcc_lo, exec_lo, s50
	v_sub_co_u32 v19, null, v6, v8
	v_sub_co_u32 v20, null, v2, v9
	v_mul_lo_u32 v3, s15, v19
	v_mul_lo_u32 v5, s17, v19
	s_delay_alu instid0(VALU_DEP_2) | instskip(NEXT) | instid1(VALU_DEP_2)
	v_mad_co_u64_u32 v[10:11], null, s14, v20, v[3:4]
	v_mad_co_u64_u32 v[8:9], null, s16, v20, v[5:6]
	s_wait_alu 0xfffe
	s_cbranch_vccnz .LBB81_38
; %bb.12:                               ;   in Loop: Header=BB81_3 Depth=1
	s_mov_b32 s25, 1
	s_and_not1_b32 vcc_lo, exec_lo, s47
	s_mov_b32 s22, s33
	s_mov_b32 s2, s33
	s_wait_alu 0xfffe
	s_cbranch_vccz .LBB81_15
; %bb.13:                               ;   in Loop: Header=BB81_3 Depth=1
	s_and_b32 vcc_lo, exec_lo, s48
	s_mov_b32 s22, s2
	s_wait_alu 0xfffe
	s_cbranch_vccnz .LBB81_20
	s_branch .LBB81_38
.LBB81_14:                              ;   in Loop: Header=BB81_15 Depth=2
	s_wait_alu 0xfffe
	s_or_b32 exec_lo, exec_lo, s2
	s_add_nc_u64 s[34:35], s[0:1], s[34:35]
	s_clause 0x1
	s_load_b32 s2, s[30:31], 0x6c
	s_load_b32 s27, s[34:35], 0x6c
	v_mul_lo_u32 v1, v2, s28
	s_add_co_i32 s22, s22, -1
	s_delay_alu instid0(VALU_DEP_1) | instskip(SKIP_1) | instid1(VALU_DEP_1)
	v_sub_nc_u32_e32 v0, v0, v1
	s_wait_kmcnt 0x0
	v_mad_co_u64_u32 v[10:11], null, s2, v0, v[10:11]
	v_mad_co_u64_u32 v[8:9], null, s27, v0, v[8:9]
	v_dual_mov_b32 v0, v2 :: v_dual_mov_b32 v1, v3
	s_xor_b32 s2, s46, s25
	s_add_co_i32 s25, s25, 1
	s_wait_alu 0xfffe
	s_cmp_lg_u32 s2, 2
	s_cbranch_scc0 .LBB81_19
.LBB81_15:                              ;   Parent Loop BB81_3 Depth=1
                                        ; =>  This Inner Loop Header: Depth=2
	s_lshl_b64 s[34:35], s[22:23], 2
                                        ; implicit-def: $vgpr2_vgpr3
	s_mov_b32 s2, exec_lo
	s_wait_alu 0xfffe
	s_add_nc_u64 s[30:31], s[12:13], s[34:35]
	s_load_b32 s28, s[30:31], 0x8
	s_wait_kmcnt 0x0
	s_ashr_i32 s29, s28, 31
	s_wait_alu 0xfffe
	v_or_b32_e32 v5, s29, v1
	s_delay_alu instid0(VALU_DEP_1)
	v_cmpx_ne_u64_e32 0, v[4:5]
	s_xor_b32 s27, exec_lo, s2
	s_cbranch_execz .LBB81_17
; %bb.16:                               ;   in Loop: Header=BB81_15 Depth=2
	s_ashr_i32 s36, s29, 31
	s_mov_b32 s45, s23
	s_wait_alu 0xfffe
	s_mov_b32 s37, s36
	s_mov_b32 s55, s23
	s_wait_alu 0xfffe
	s_add_nc_u64 s[38:39], s[28:29], s[36:37]
	v_ashrrev_i32_e32 v3, 31, v1
	s_wait_alu 0xfffe
	s_xor_b64 s[38:39], s[38:39], s[36:37]
	s_wait_alu 0xfffe
	s_cvt_f32_u32 s2, s38
	s_cvt_f32_u32 s29, s39
	s_sub_nc_u64 s[42:43], 0, s[38:39]
	v_add_co_u32 v2, vcc_lo, v0, v3
	s_wait_alu 0xfffe
	s_fmamk_f32 s2, s29, 0x4f800000, s2
	s_wait_alu 0xfffd
	v_add_co_ci_u32_e64 v1, null, v1, v3, vcc_lo
	v_xor_b32_e32 v5, v2, v3
	s_wait_alu 0xfffe
	v_s_rcp_f32 s2, s2
	s_delay_alu instid0(VALU_DEP_2) | instskip(SKIP_1) | instid1(TRANS32_DEP_1)
	v_xor_b32_e32 v9, v1, v3
	v_xor_b32_e32 v3, s36, v3
	s_mul_f32 s2, s2, 0x5f7ffffc
	s_wait_alu 0xfffe
	s_delay_alu instid0(SALU_CYCLE_2) | instskip(SKIP_1) | instid1(SALU_CYCLE_2)
	s_mul_f32 s29, s2, 0x2f800000
	s_wait_alu 0xfffe
	s_trunc_f32 s29, s29
	s_wait_alu 0xfffe
	s_delay_alu instid0(SALU_CYCLE_2) | instskip(SKIP_2) | instid1(SALU_CYCLE_1)
	s_fmamk_f32 s2, s29, 0xcf800000, s2
	s_cvt_u32_f32 s41, s29
	s_wait_alu 0xfffe
	s_cvt_u32_f32 s40, s2
	s_wait_alu 0xfffe
	s_delay_alu instid0(SALU_CYCLE_2)
	s_mul_u64 s[52:53], s[42:43], s[40:41]
	s_wait_alu 0xfffe
	s_mul_hi_u32 s57, s40, s53
	s_mul_i32 s56, s40, s53
	s_mul_hi_u32 s44, s40, s52
	s_mul_i32 s29, s41, s52
	s_wait_alu 0xfffe
	s_add_nc_u64 s[44:45], s[44:45], s[56:57]
	s_mul_hi_u32 s2, s41, s52
	s_mul_hi_u32 s37, s41, s53
	s_wait_alu 0xfffe
	s_add_co_u32 s29, s44, s29
	s_add_co_ci_u32 s54, s45, s2
	s_mul_i32 s52, s41, s53
	s_add_co_ci_u32 s53, s37, 0
	s_wait_alu 0xfffe
	s_add_nc_u64 s[44:45], s[54:55], s[52:53]
	s_mov_b32 s53, s23
	s_wait_alu 0xfffe
	s_add_co_u32 s40, s40, s44
	s_cselect_b32 s2, -1, 0
	s_wait_alu 0xfffe
	s_cmp_lg_u32 s2, 0
	s_add_co_ci_u32 s41, s41, s45
	s_mov_b32 s45, s23
	s_wait_alu 0xfffe
	s_mul_u64 s[42:43], s[42:43], s[40:41]
	s_wait_alu 0xfffe
	s_mul_hi_u32 s55, s40, s43
	s_mul_i32 s54, s40, s43
	s_mul_hi_u32 s52, s40, s42
	s_mul_i32 s29, s41, s42
	s_wait_alu 0xfffe
	s_add_nc_u64 s[52:53], s[52:53], s[54:55]
	s_mul_hi_u32 s2, s41, s42
	s_mul_hi_u32 s37, s41, s43
	s_wait_alu 0xfffe
	s_add_co_u32 s29, s52, s29
	s_add_co_ci_u32 s44, s53, s2
	s_mul_i32 s42, s41, s43
	s_add_co_ci_u32 s43, s37, 0
	s_wait_alu 0xfffe
	s_add_nc_u64 s[42:43], s[44:45], s[42:43]
	s_wait_alu 0xfffe
	s_add_co_u32 s2, s40, s42
	s_cselect_b32 s29, -1, 0
	s_wait_alu 0xfffe
	v_mul_hi_u32 v15, v5, s2
	s_cmp_lg_u32 s29, 0
	v_mad_co_u64_u32 v[11:12], null, v9, s2, 0
	s_add_co_ci_u32 s29, s41, s43
	s_wait_alu 0xfffe
	v_mad_co_u64_u32 v[1:2], null, v5, s29, 0
	v_mad_co_u64_u32 v[13:14], null, v9, s29, 0
	s_delay_alu instid0(VALU_DEP_2) | instskip(SKIP_1) | instid1(VALU_DEP_3)
	v_add_co_u32 v1, vcc_lo, v15, v1
	s_wait_alu 0xfffd
	v_add_co_ci_u32_e64 v2, null, 0, v2, vcc_lo
	s_delay_alu instid0(VALU_DEP_2) | instskip(SKIP_1) | instid1(VALU_DEP_2)
	v_add_co_u32 v1, vcc_lo, v1, v11
	s_wait_alu 0xfffd
	v_add_co_ci_u32_e32 v1, vcc_lo, v2, v12, vcc_lo
	s_wait_alu 0xfffd
	v_add_co_ci_u32_e32 v2, vcc_lo, 0, v14, vcc_lo
	s_delay_alu instid0(VALU_DEP_2) | instskip(SKIP_1) | instid1(VALU_DEP_2)
	v_add_co_u32 v11, vcc_lo, v1, v13
	s_wait_alu 0xfffd
	v_add_co_ci_u32_e64 v12, null, 0, v2, vcc_lo
	s_delay_alu instid0(VALU_DEP_2) | instskip(SKIP_1) | instid1(VALU_DEP_3)
	v_mul_lo_u32 v13, s39, v11
	v_mad_co_u64_u32 v[1:2], null, s38, v11, 0
	v_mul_lo_u32 v14, s38, v12
	s_delay_alu instid0(VALU_DEP_2) | instskip(NEXT) | instid1(VALU_DEP_2)
	v_sub_co_u32 v1, vcc_lo, v5, v1
	v_add3_u32 v2, v2, v14, v13
	s_delay_alu instid0(VALU_DEP_1) | instskip(SKIP_2) | instid1(VALU_DEP_2)
	v_sub_nc_u32_e32 v13, v9, v2
	s_wait_alu 0xfffd
	v_sub_co_ci_u32_e64 v2, null, v9, v2, vcc_lo
	v_subrev_co_ci_u32_e64 v5, null, s39, v13, vcc_lo
	v_add_co_u32 v13, s2, v11, 2
	s_wait_alu 0xf1ff
	v_add_co_ci_u32_e64 v14, null, 0, v12, s2
	v_sub_co_u32 v15, s2, v1, s38
	s_wait_alu 0xf1ff
	v_subrev_co_ci_u32_e64 v5, null, 0, v5, s2
	s_delay_alu instid0(VALU_DEP_2) | instskip(SKIP_2) | instid1(VALU_DEP_3)
	v_cmp_le_u32_e32 vcc_lo, s38, v15
	s_wait_alu 0xfffd
	v_cndmask_b32_e64 v9, 0, -1, vcc_lo
	v_cmp_le_u32_e32 vcc_lo, s39, v5
	s_wait_alu 0xfffd
	v_cndmask_b32_e64 v15, 0, -1, vcc_lo
	;; [unrolled: 3-line block ×4, first 2 shown]
	v_cmp_eq_u32_e32 vcc_lo, s39, v5
	s_wait_alu 0xfffd
	v_cndmask_b32_e32 v5, v15, v9, vcc_lo
	v_add_co_u32 v9, vcc_lo, v11, 1
	s_wait_alu 0xfffd
	v_add_co_ci_u32_e64 v15, null, 0, v12, vcc_lo
	v_cmp_eq_u32_e32 vcc_lo, s39, v2
	s_wait_alu 0xfffd
	v_cndmask_b32_e32 v1, v16, v1, vcc_lo
	v_cmp_ne_u32_e32 vcc_lo, 0, v5
	s_wait_alu 0xfffd
	v_cndmask_b32_e32 v2, v15, v14, vcc_lo
	s_delay_alu instid0(VALU_DEP_3) | instskip(SKIP_2) | instid1(VALU_DEP_2)
	v_cmp_ne_u32_e64 s2, 0, v1
	v_cndmask_b32_e32 v1, v9, v13, vcc_lo
	s_wait_alu 0xf1ff
	v_cndmask_b32_e64 v2, v12, v2, s2
	s_delay_alu instid0(VALU_DEP_2) | instskip(NEXT) | instid1(VALU_DEP_2)
	v_cndmask_b32_e64 v1, v11, v1, s2
	v_xor_b32_e32 v5, v2, v3
	s_delay_alu instid0(VALU_DEP_2) | instskip(NEXT) | instid1(VALU_DEP_1)
	v_xor_b32_e32 v1, v1, v3
	v_sub_co_u32 v2, vcc_lo, v1, v3
	s_wait_alu 0xfffd
	s_delay_alu instid0(VALU_DEP_3)
	v_sub_co_ci_u32_e64 v3, null, v5, v3, vcc_lo
.LBB81_17:                              ;   in Loop: Header=BB81_15 Depth=2
	s_wait_alu 0xfffe
	s_and_not1_saveexec_b32 s2, s27
	s_cbranch_execz .LBB81_14
; %bb.18:                               ;   in Loop: Header=BB81_15 Depth=2
	v_cvt_f32_u32_e32 v1, s28
	s_sub_co_i32 s27, 0, s28
	s_delay_alu instid0(VALU_DEP_1) | instskip(NEXT) | instid1(TRANS32_DEP_1)
	v_rcp_iflag_f32_e32 v1, v1
	v_mul_f32_e32 v1, 0x4f7ffffe, v1
	s_delay_alu instid0(VALU_DEP_1) | instskip(SKIP_1) | instid1(VALU_DEP_1)
	v_cvt_u32_f32_e32 v1, v1
	s_wait_alu 0xfffe
	v_mul_lo_u32 v2, s27, v1
	s_delay_alu instid0(VALU_DEP_1) | instskip(NEXT) | instid1(VALU_DEP_1)
	v_mul_hi_u32 v2, v1, v2
	v_add_nc_u32_e32 v1, v1, v2
	s_delay_alu instid0(VALU_DEP_1) | instskip(NEXT) | instid1(VALU_DEP_1)
	v_mul_hi_u32 v1, v0, v1
	v_mul_lo_u32 v2, v1, s28
	v_add_nc_u32_e32 v3, 1, v1
	s_delay_alu instid0(VALU_DEP_2) | instskip(NEXT) | instid1(VALU_DEP_1)
	v_sub_nc_u32_e32 v2, v0, v2
	v_subrev_nc_u32_e32 v5, s28, v2
	v_cmp_le_u32_e32 vcc_lo, s28, v2
	s_wait_alu 0xfffd
	s_delay_alu instid0(VALU_DEP_2) | instskip(NEXT) | instid1(VALU_DEP_1)
	v_dual_cndmask_b32 v2, v2, v5 :: v_dual_cndmask_b32 v1, v1, v3
	v_cmp_le_u32_e32 vcc_lo, s28, v2
	s_delay_alu instid0(VALU_DEP_2) | instskip(SKIP_1) | instid1(VALU_DEP_1)
	v_add_nc_u32_e32 v3, 1, v1
	s_wait_alu 0xfffd
	v_dual_cndmask_b32 v2, v1, v3 :: v_dual_mov_b32 v3, v4
	s_branch .LBB81_14
.LBB81_19:                              ;   in Loop: Header=BB81_3 Depth=1
	s_mov_b32 s2, s22
	s_and_b32 vcc_lo, exec_lo, s48
	s_wait_alu 0xfffe
	s_mov_b32 s22, s2
	s_cbranch_vccz .LBB81_38
.LBB81_20:                              ;   Parent Loop BB81_3 Depth=1
                                        ; =>  This Inner Loop Header: Depth=2
	s_wait_alu 0xfffe
	s_lshl_b64 s[40:41], s[22:23], 2
                                        ; implicit-def: $vgpr2_vgpr3
	s_mov_b32 s2, exec_lo
	s_wait_alu 0xfffe
	s_add_nc_u64 s[34:35], s[12:13], s[40:41]
	s_load_b32 s28, s[34:35], 0x8
	s_wait_kmcnt 0x0
	s_ashr_i32 s29, s28, 31
	s_wait_alu 0xfffe
	v_or_b32_e32 v5, s29, v1
	s_delay_alu instid0(VALU_DEP_1)
	v_cmpx_ne_u64_e32 0, v[4:5]
	s_xor_b32 s25, exec_lo, s2
	s_cbranch_execz .LBB81_22
; %bb.21:                               ;   in Loop: Header=BB81_20 Depth=2
	s_ashr_i32 s30, s29, 31
	s_mov_b32 s45, s23
	s_wait_alu 0xfffe
	s_mov_b32 s31, s30
	s_mov_b32 s55, s23
	s_wait_alu 0xfffe
	s_add_nc_u64 s[36:37], s[28:29], s[30:31]
	v_ashrrev_i32_e32 v3, 31, v1
	s_wait_alu 0xfffe
	s_xor_b64 s[36:37], s[36:37], s[30:31]
	s_wait_alu 0xfffe
	s_cvt_f32_u32 s2, s36
	s_cvt_f32_u32 s27, s37
	s_sub_nc_u64 s[42:43], 0, s[36:37]
	v_add_co_u32 v2, vcc_lo, v0, v3
	s_wait_alu 0xfffe
	s_fmamk_f32 s2, s27, 0x4f800000, s2
	s_wait_alu 0xfffd
	v_add_co_ci_u32_e64 v1, null, v1, v3, vcc_lo
	v_xor_b32_e32 v5, v2, v3
	s_wait_alu 0xfffe
	v_s_rcp_f32 s2, s2
	s_delay_alu instid0(VALU_DEP_2) | instskip(SKIP_1) | instid1(TRANS32_DEP_1)
	v_xor_b32_e32 v9, v1, v3
	v_xor_b32_e32 v3, s30, v3
	s_mul_f32 s2, s2, 0x5f7ffffc
	s_wait_alu 0xfffe
	s_delay_alu instid0(SALU_CYCLE_2) | instskip(SKIP_1) | instid1(SALU_CYCLE_2)
	s_mul_f32 s27, s2, 0x2f800000
	s_wait_alu 0xfffe
	s_trunc_f32 s27, s27
	s_wait_alu 0xfffe
	s_delay_alu instid0(SALU_CYCLE_2) | instskip(SKIP_2) | instid1(SALU_CYCLE_1)
	s_fmamk_f32 s2, s27, 0xcf800000, s2
	s_cvt_u32_f32 s39, s27
	s_wait_alu 0xfffe
	s_cvt_u32_f32 s38, s2
	s_wait_alu 0xfffe
	s_delay_alu instid0(SALU_CYCLE_2)
	s_mul_u64 s[52:53], s[42:43], s[38:39]
	s_wait_alu 0xfffe
	s_mul_hi_u32 s57, s38, s53
	s_mul_i32 s56, s38, s53
	s_mul_hi_u32 s44, s38, s52
	s_mul_i32 s27, s39, s52
	s_wait_alu 0xfffe
	s_add_nc_u64 s[44:45], s[44:45], s[56:57]
	s_mul_hi_u32 s2, s39, s52
	s_mul_hi_u32 s29, s39, s53
	s_wait_alu 0xfffe
	s_add_co_u32 s27, s44, s27
	s_add_co_ci_u32 s54, s45, s2
	s_mul_i32 s52, s39, s53
	s_add_co_ci_u32 s53, s29, 0
	s_wait_alu 0xfffe
	s_add_nc_u64 s[44:45], s[54:55], s[52:53]
	s_mov_b32 s53, s23
	s_wait_alu 0xfffe
	s_add_co_u32 s38, s38, s44
	s_cselect_b32 s2, -1, 0
	s_wait_alu 0xfffe
	s_cmp_lg_u32 s2, 0
	s_add_co_ci_u32 s39, s39, s45
	s_mov_b32 s45, s23
	s_wait_alu 0xfffe
	s_mul_u64 s[42:43], s[42:43], s[38:39]
	s_wait_alu 0xfffe
	s_mul_hi_u32 s55, s38, s43
	s_mul_i32 s54, s38, s43
	s_mul_hi_u32 s52, s38, s42
	s_mul_i32 s27, s39, s42
	s_wait_alu 0xfffe
	s_add_nc_u64 s[52:53], s[52:53], s[54:55]
	s_mul_hi_u32 s2, s39, s42
	s_mul_hi_u32 s29, s39, s43
	s_wait_alu 0xfffe
	s_add_co_u32 s27, s52, s27
	s_add_co_ci_u32 s44, s53, s2
	s_mul_i32 s42, s39, s43
	s_add_co_ci_u32 s43, s29, 0
	s_wait_alu 0xfffe
	s_add_nc_u64 s[42:43], s[44:45], s[42:43]
	s_wait_alu 0xfffe
	s_add_co_u32 s2, s38, s42
	s_cselect_b32 s27, -1, 0
	s_wait_alu 0xfffe
	v_mul_hi_u32 v15, v5, s2
	s_cmp_lg_u32 s27, 0
	v_mad_co_u64_u32 v[11:12], null, v9, s2, 0
	s_add_co_ci_u32 s27, s39, s43
	s_wait_alu 0xfffe
	v_mad_co_u64_u32 v[1:2], null, v5, s27, 0
	v_mad_co_u64_u32 v[13:14], null, v9, s27, 0
	s_delay_alu instid0(VALU_DEP_2) | instskip(SKIP_1) | instid1(VALU_DEP_3)
	v_add_co_u32 v1, vcc_lo, v15, v1
	s_wait_alu 0xfffd
	v_add_co_ci_u32_e64 v2, null, 0, v2, vcc_lo
	s_delay_alu instid0(VALU_DEP_2) | instskip(SKIP_1) | instid1(VALU_DEP_2)
	v_add_co_u32 v1, vcc_lo, v1, v11
	s_wait_alu 0xfffd
	v_add_co_ci_u32_e32 v1, vcc_lo, v2, v12, vcc_lo
	s_wait_alu 0xfffd
	v_add_co_ci_u32_e32 v2, vcc_lo, 0, v14, vcc_lo
	s_delay_alu instid0(VALU_DEP_2) | instskip(SKIP_1) | instid1(VALU_DEP_2)
	v_add_co_u32 v11, vcc_lo, v1, v13
	s_wait_alu 0xfffd
	v_add_co_ci_u32_e64 v12, null, 0, v2, vcc_lo
	s_delay_alu instid0(VALU_DEP_2) | instskip(SKIP_1) | instid1(VALU_DEP_3)
	v_mul_lo_u32 v13, s37, v11
	v_mad_co_u64_u32 v[1:2], null, s36, v11, 0
	v_mul_lo_u32 v14, s36, v12
	s_delay_alu instid0(VALU_DEP_2) | instskip(NEXT) | instid1(VALU_DEP_2)
	v_sub_co_u32 v1, vcc_lo, v5, v1
	v_add3_u32 v2, v2, v14, v13
	s_delay_alu instid0(VALU_DEP_1) | instskip(SKIP_2) | instid1(VALU_DEP_2)
	v_sub_nc_u32_e32 v13, v9, v2
	s_wait_alu 0xfffd
	v_sub_co_ci_u32_e64 v2, null, v9, v2, vcc_lo
	v_subrev_co_ci_u32_e64 v5, null, s37, v13, vcc_lo
	v_add_co_u32 v13, s2, v11, 2
	s_wait_alu 0xf1ff
	v_add_co_ci_u32_e64 v14, null, 0, v12, s2
	v_sub_co_u32 v15, s2, v1, s36
	s_wait_alu 0xf1ff
	v_subrev_co_ci_u32_e64 v5, null, 0, v5, s2
	s_delay_alu instid0(VALU_DEP_2) | instskip(SKIP_2) | instid1(VALU_DEP_3)
	v_cmp_le_u32_e32 vcc_lo, s36, v15
	s_wait_alu 0xfffd
	v_cndmask_b32_e64 v9, 0, -1, vcc_lo
	v_cmp_le_u32_e32 vcc_lo, s37, v5
	s_wait_alu 0xfffd
	v_cndmask_b32_e64 v15, 0, -1, vcc_lo
	;; [unrolled: 3-line block ×4, first 2 shown]
	v_cmp_eq_u32_e32 vcc_lo, s37, v5
	s_wait_alu 0xfffd
	v_cndmask_b32_e32 v5, v15, v9, vcc_lo
	v_add_co_u32 v9, vcc_lo, v11, 1
	s_wait_alu 0xfffd
	v_add_co_ci_u32_e64 v15, null, 0, v12, vcc_lo
	v_cmp_eq_u32_e32 vcc_lo, s37, v2
	s_wait_alu 0xfffd
	v_cndmask_b32_e32 v1, v16, v1, vcc_lo
	v_cmp_ne_u32_e32 vcc_lo, 0, v5
	s_wait_alu 0xfffd
	v_cndmask_b32_e32 v2, v15, v14, vcc_lo
	s_delay_alu instid0(VALU_DEP_3) | instskip(SKIP_2) | instid1(VALU_DEP_2)
	v_cmp_ne_u32_e64 s2, 0, v1
	v_cndmask_b32_e32 v1, v9, v13, vcc_lo
	s_wait_alu 0xf1ff
	v_cndmask_b32_e64 v2, v12, v2, s2
	s_delay_alu instid0(VALU_DEP_2) | instskip(NEXT) | instid1(VALU_DEP_2)
	v_cndmask_b32_e64 v1, v11, v1, s2
	v_xor_b32_e32 v5, v2, v3
	s_delay_alu instid0(VALU_DEP_2) | instskip(NEXT) | instid1(VALU_DEP_1)
	v_xor_b32_e32 v1, v1, v3
	v_sub_co_u32 v2, vcc_lo, v1, v3
	s_wait_alu 0xfffd
	s_delay_alu instid0(VALU_DEP_3)
	v_sub_co_ci_u32_e64 v3, null, v5, v3, vcc_lo
.LBB81_22:                              ;   in Loop: Header=BB81_20 Depth=2
	s_wait_alu 0xfffe
	s_and_not1_saveexec_b32 s2, s25
	s_cbranch_execz .LBB81_24
; %bb.23:                               ;   in Loop: Header=BB81_20 Depth=2
	v_cvt_f32_u32_e32 v1, s28
	s_sub_co_i32 s25, 0, s28
	s_delay_alu instid0(VALU_DEP_1) | instskip(NEXT) | instid1(TRANS32_DEP_1)
	v_rcp_iflag_f32_e32 v1, v1
	v_mul_f32_e32 v1, 0x4f7ffffe, v1
	s_delay_alu instid0(VALU_DEP_1) | instskip(SKIP_1) | instid1(VALU_DEP_1)
	v_cvt_u32_f32_e32 v1, v1
	s_wait_alu 0xfffe
	v_mul_lo_u32 v2, s25, v1
	s_delay_alu instid0(VALU_DEP_1) | instskip(NEXT) | instid1(VALU_DEP_1)
	v_mul_hi_u32 v2, v1, v2
	v_add_nc_u32_e32 v1, v1, v2
	s_delay_alu instid0(VALU_DEP_1) | instskip(NEXT) | instid1(VALU_DEP_1)
	v_mul_hi_u32 v1, v0, v1
	v_mul_lo_u32 v2, v1, s28
	v_add_nc_u32_e32 v3, 1, v1
	s_delay_alu instid0(VALU_DEP_2) | instskip(NEXT) | instid1(VALU_DEP_1)
	v_sub_nc_u32_e32 v2, v0, v2
	v_subrev_nc_u32_e32 v5, s28, v2
	v_cmp_le_u32_e32 vcc_lo, s28, v2
	s_wait_alu 0xfffd
	s_delay_alu instid0(VALU_DEP_2) | instskip(NEXT) | instid1(VALU_DEP_1)
	v_dual_cndmask_b32 v2, v2, v5 :: v_dual_cndmask_b32 v1, v1, v3
	v_cmp_le_u32_e32 vcc_lo, s28, v2
	s_delay_alu instid0(VALU_DEP_2) | instskip(SKIP_1) | instid1(VALU_DEP_1)
	v_add_nc_u32_e32 v3, 1, v1
	s_wait_alu 0xfffd
	v_dual_cndmask_b32 v2, v1, v3 :: v_dual_mov_b32 v3, v4
.LBB81_24:                              ;   in Loop: Header=BB81_20 Depth=2
	s_wait_alu 0xfffe
	s_or_b32 exec_lo, exec_lo, s2
	s_add_co_i32 s30, s22, -1
	s_mov_b32 s31, s23
	s_add_nc_u64 s[40:41], s[0:1], s[40:41]
	s_wait_alu 0xfffe
	s_lshl_b64 s[38:39], s[30:31], 2
                                        ; implicit-def: $vgpr11_vgpr12
	s_mov_b32 s2, exec_lo
	s_wait_alu 0xfffe
	s_add_nc_u64 s[36:37], s[12:13], s[38:39]
	s_clause 0x2
	s_load_b32 s30, s[36:37], 0x8
	s_load_b32 s25, s[34:35], 0x6c
	;; [unrolled: 1-line block ×3, first 2 shown]
	s_wait_kmcnt 0x0
	s_ashr_i32 s31, s30, 31
	s_wait_alu 0xfffe
	v_or_b32_e32 v5, s31, v3
	s_delay_alu instid0(VALU_DEP_1)
	v_cmpx_ne_u64_e32 0, v[4:5]
	s_xor_b32 s29, exec_lo, s2
	s_cbranch_execz .LBB81_26
; %bb.25:                               ;   in Loop: Header=BB81_20 Depth=2
	s_ashr_i32 s34, s31, 31
	s_mov_b32 s53, s23
	s_wait_alu 0xfffe
	s_mov_b32 s35, s34
	s_mov_b32 s57, s23
	s_wait_alu 0xfffe
	s_add_nc_u64 s[40:41], s[30:31], s[34:35]
	v_ashrrev_i32_e32 v1, 31, v3
	s_wait_alu 0xfffe
	s_xor_b64 s[40:41], s[40:41], s[34:35]
	s_wait_alu 0xfffe
	s_cvt_f32_u32 s2, s40
	s_cvt_f32_u32 s31, s41
	s_sub_nc_u64 s[44:45], 0, s[40:41]
	v_add_co_u32 v5, vcc_lo, v2, v1
	s_wait_alu 0xfffe
	s_fmamk_f32 s2, s31, 0x4f800000, s2
	s_wait_alu 0xfffd
	v_add_co_ci_u32_e64 v3, null, v3, v1, vcc_lo
	v_xor_b32_e32 v5, v5, v1
	s_wait_alu 0xfffe
	v_s_rcp_f32 s2, s2
	s_delay_alu instid0(VALU_DEP_2) | instskip(SKIP_1) | instid1(TRANS32_DEP_1)
	v_xor_b32_e32 v3, v3, v1
	v_xor_b32_e32 v1, s34, v1
	s_mul_f32 s2, s2, 0x5f7ffffc
	s_wait_alu 0xfffe
	s_delay_alu instid0(SALU_CYCLE_2) | instskip(SKIP_1) | instid1(SALU_CYCLE_2)
	s_mul_f32 s31, s2, 0x2f800000
	s_wait_alu 0xfffe
	s_trunc_f32 s31, s31
	s_wait_alu 0xfffe
	s_delay_alu instid0(SALU_CYCLE_2) | instskip(SKIP_2) | instid1(SALU_CYCLE_1)
	s_fmamk_f32 s2, s31, 0xcf800000, s2
	s_cvt_u32_f32 s43, s31
	s_wait_alu 0xfffe
	s_cvt_u32_f32 s42, s2
	s_wait_alu 0xfffe
	s_delay_alu instid0(SALU_CYCLE_2) | instskip(NEXT) | instid1(SALU_CYCLE_1)
	s_mul_u64 s[54:55], s[44:45], s[42:43]
	s_mul_hi_u32 s59, s42, s55
	s_mul_i32 s58, s42, s55
	s_mul_hi_u32 s52, s42, s54
	s_mul_i32 s31, s43, s54
	s_wait_alu 0xfffe
	s_add_nc_u64 s[52:53], s[52:53], s[58:59]
	s_mul_hi_u32 s2, s43, s54
	s_mul_hi_u32 s35, s43, s55
	s_wait_alu 0xfffe
	s_add_co_u32 s31, s52, s31
	s_add_co_ci_u32 s56, s53, s2
	s_mul_i32 s54, s43, s55
	s_add_co_ci_u32 s55, s35, 0
	s_delay_alu instid0(SALU_CYCLE_1)
	s_add_nc_u64 s[52:53], s[56:57], s[54:55]
	s_mov_b32 s55, s23
	s_wait_alu 0xfffe
	s_add_co_u32 s42, s42, s52
	s_cselect_b32 s2, -1, 0
	s_wait_alu 0xfffe
	s_cmp_lg_u32 s2, 0
	s_add_co_ci_u32 s43, s43, s53
	s_mov_b32 s53, s23
	s_wait_alu 0xfffe
	s_mul_u64 s[44:45], s[44:45], s[42:43]
	s_wait_alu 0xfffe
	s_mul_hi_u32 s57, s42, s45
	s_mul_i32 s56, s42, s45
	s_mul_hi_u32 s54, s42, s44
	s_mul_i32 s31, s43, s44
	s_add_nc_u64 s[54:55], s[54:55], s[56:57]
	s_mul_hi_u32 s2, s43, s44
	s_mul_hi_u32 s35, s43, s45
	s_wait_alu 0xfffe
	s_add_co_u32 s31, s54, s31
	s_add_co_ci_u32 s52, s55, s2
	s_mul_i32 s44, s43, s45
	s_add_co_ci_u32 s45, s35, 0
	s_wait_alu 0xfffe
	s_add_nc_u64 s[44:45], s[52:53], s[44:45]
	s_wait_alu 0xfffe
	s_add_co_u32 s2, s42, s44
	s_cselect_b32 s31, -1, 0
	s_wait_alu 0xfffe
	v_mul_hi_u32 v9, v5, s2
	s_cmp_lg_u32 s31, 0
	v_mad_co_u64_u32 v[13:14], null, v3, s2, 0
	s_add_co_ci_u32 s31, s43, s45
	s_wait_alu 0xfffe
	v_mad_co_u64_u32 v[11:12], null, v5, s31, 0
	v_mad_co_u64_u32 v[15:16], null, v3, s31, 0
	s_delay_alu instid0(VALU_DEP_2) | instskip(SKIP_1) | instid1(VALU_DEP_3)
	v_add_co_u32 v9, vcc_lo, v9, v11
	s_wait_alu 0xfffd
	v_add_co_ci_u32_e64 v11, null, 0, v12, vcc_lo
	s_delay_alu instid0(VALU_DEP_2) | instskip(SKIP_1) | instid1(VALU_DEP_2)
	v_add_co_u32 v9, vcc_lo, v9, v13
	s_wait_alu 0xfffd
	v_add_co_ci_u32_e32 v9, vcc_lo, v11, v14, vcc_lo
	s_wait_alu 0xfffd
	v_add_co_ci_u32_e32 v11, vcc_lo, 0, v16, vcc_lo
	s_delay_alu instid0(VALU_DEP_2) | instskip(SKIP_1) | instid1(VALU_DEP_2)
	v_add_co_u32 v9, vcc_lo, v9, v15
	s_wait_alu 0xfffd
	v_add_co_ci_u32_e64 v13, null, 0, v11, vcc_lo
	s_delay_alu instid0(VALU_DEP_2) | instskip(SKIP_1) | instid1(VALU_DEP_3)
	v_mul_lo_u32 v14, s41, v9
	v_mad_co_u64_u32 v[11:12], null, s40, v9, 0
	v_mul_lo_u32 v15, s40, v13
	s_delay_alu instid0(VALU_DEP_2) | instskip(NEXT) | instid1(VALU_DEP_2)
	v_sub_co_u32 v5, vcc_lo, v5, v11
	v_add3_u32 v12, v12, v15, v14
	s_delay_alu instid0(VALU_DEP_1) | instskip(SKIP_2) | instid1(VALU_DEP_2)
	v_sub_nc_u32_e32 v14, v3, v12
	s_wait_alu 0xfffd
	v_sub_co_ci_u32_e64 v3, null, v3, v12, vcc_lo
	v_subrev_co_ci_u32_e64 v11, null, s41, v14, vcc_lo
	v_add_co_u32 v14, s2, v9, 2
	s_wait_alu 0xf1ff
	v_add_co_ci_u32_e64 v15, null, 0, v13, s2
	v_sub_co_u32 v16, s2, v5, s40
	s_wait_alu 0xf1ff
	v_subrev_co_ci_u32_e64 v11, null, 0, v11, s2
	s_delay_alu instid0(VALU_DEP_2) | instskip(SKIP_2) | instid1(VALU_DEP_3)
	v_cmp_le_u32_e32 vcc_lo, s40, v16
	s_wait_alu 0xfffd
	v_cndmask_b32_e64 v12, 0, -1, vcc_lo
	v_cmp_le_u32_e32 vcc_lo, s41, v11
	s_wait_alu 0xfffd
	v_cndmask_b32_e64 v16, 0, -1, vcc_lo
	;; [unrolled: 3-line block ×4, first 2 shown]
	v_cmp_eq_u32_e32 vcc_lo, s41, v11
	s_wait_alu 0xfffd
	v_cndmask_b32_e32 v11, v16, v12, vcc_lo
	v_add_co_u32 v12, vcc_lo, v9, 1
	s_wait_alu 0xfffd
	v_add_co_ci_u32_e64 v16, null, 0, v13, vcc_lo
	v_cmp_eq_u32_e32 vcc_lo, s41, v3
	s_wait_alu 0xfffd
	v_cndmask_b32_e32 v3, v21, v5, vcc_lo
	v_cmp_ne_u32_e32 vcc_lo, 0, v11
	s_delay_alu instid0(VALU_DEP_2) | instskip(SKIP_4) | instid1(VALU_DEP_2)
	v_cmp_ne_u32_e64 s2, 0, v3
	s_wait_alu 0xfffd
	v_cndmask_b32_e32 v3, v12, v14, vcc_lo
	v_cndmask_b32_e32 v5, v16, v15, vcc_lo
	s_wait_alu 0xf1ff
	v_cndmask_b32_e64 v3, v9, v3, s2
	s_delay_alu instid0(VALU_DEP_2) | instskip(NEXT) | instid1(VALU_DEP_2)
	v_cndmask_b32_e64 v5, v13, v5, s2
	v_xor_b32_e32 v3, v3, v1
	s_delay_alu instid0(VALU_DEP_2) | instskip(NEXT) | instid1(VALU_DEP_2)
	v_xor_b32_e32 v5, v5, v1
	v_sub_co_u32 v11, vcc_lo, v3, v1
	s_wait_alu 0xfffd
	s_delay_alu instid0(VALU_DEP_2)
	v_sub_co_ci_u32_e64 v12, null, v5, v1, vcc_lo
.LBB81_26:                              ;   in Loop: Header=BB81_20 Depth=2
	s_wait_alu 0xfffe
	s_and_not1_saveexec_b32 s2, s29
	s_cbranch_execz .LBB81_28
; %bb.27:                               ;   in Loop: Header=BB81_20 Depth=2
	v_cvt_f32_u32_e32 v1, s30
	s_sub_co_i32 s29, 0, s30
	v_mov_b32_e32 v12, v4
	s_delay_alu instid0(VALU_DEP_2) | instskip(NEXT) | instid1(TRANS32_DEP_1)
	v_rcp_iflag_f32_e32 v1, v1
	v_mul_f32_e32 v1, 0x4f7ffffe, v1
	s_delay_alu instid0(VALU_DEP_1) | instskip(SKIP_1) | instid1(VALU_DEP_1)
	v_cvt_u32_f32_e32 v1, v1
	s_wait_alu 0xfffe
	v_mul_lo_u32 v3, s29, v1
	s_delay_alu instid0(VALU_DEP_1) | instskip(NEXT) | instid1(VALU_DEP_1)
	v_mul_hi_u32 v3, v1, v3
	v_add_nc_u32_e32 v1, v1, v3
	s_delay_alu instid0(VALU_DEP_1) | instskip(NEXT) | instid1(VALU_DEP_1)
	v_mul_hi_u32 v1, v2, v1
	v_mul_lo_u32 v3, v1, s30
	v_add_nc_u32_e32 v5, 1, v1
	s_delay_alu instid0(VALU_DEP_2) | instskip(NEXT) | instid1(VALU_DEP_1)
	v_sub_nc_u32_e32 v3, v2, v3
	v_subrev_nc_u32_e32 v9, s30, v3
	v_cmp_le_u32_e32 vcc_lo, s30, v3
	s_wait_alu 0xfffd
	s_delay_alu instid0(VALU_DEP_2) | instskip(SKIP_1) | instid1(VALU_DEP_2)
	v_cndmask_b32_e32 v3, v3, v9, vcc_lo
	v_cndmask_b32_e32 v1, v1, v5, vcc_lo
	v_cmp_le_u32_e32 vcc_lo, s30, v3
	s_delay_alu instid0(VALU_DEP_2) | instskip(SKIP_1) | instid1(VALU_DEP_1)
	v_add_nc_u32_e32 v5, 1, v1
	s_wait_alu 0xfffd
	v_cndmask_b32_e32 v11, v1, v5, vcc_lo
.LBB81_28:                              ;   in Loop: Header=BB81_20 Depth=2
	s_wait_alu 0xfffe
	s_or_b32 exec_lo, exec_lo, s2
	s_add_co_i32 s34, s22, -2
	s_mov_b32 s35, s23
	s_add_nc_u64 s[38:39], s[0:1], s[38:39]
	s_wait_alu 0xfffe
	s_lshl_b64 s[44:45], s[34:35], 2
                                        ; implicit-def: $vgpr13_vgpr14
	s_mov_b32 s2, exec_lo
	s_wait_alu 0xfffe
	s_add_nc_u64 s[42:43], s[12:13], s[44:45]
	s_clause 0x2
	s_load_b32 s34, s[42:43], 0x8
	s_load_b32 s29, s[36:37], 0x6c
	;; [unrolled: 1-line block ×3, first 2 shown]
	s_wait_kmcnt 0x0
	s_ashr_i32 s35, s34, 31
	s_wait_alu 0xfffe
	v_or_b32_e32 v5, s35, v12
	s_delay_alu instid0(VALU_DEP_1)
	v_cmpx_ne_u64_e32 0, v[4:5]
	s_xor_b32 s40, exec_lo, s2
	s_cbranch_execz .LBB81_30
; %bb.29:                               ;   in Loop: Header=BB81_20 Depth=2
	s_ashr_i32 s36, s35, 31
	s_mov_b32 s57, s23
	s_wait_alu 0xfffe
	s_mov_b32 s37, s36
	s_mov_b32 s61, s23
	s_wait_alu 0xfffe
	s_add_nc_u64 s[38:39], s[34:35], s[36:37]
	v_ashrrev_i32_e32 v1, 31, v12
	s_wait_alu 0xfffe
	s_xor_b64 s[38:39], s[38:39], s[36:37]
	s_wait_alu 0xfffe
	s_cvt_f32_u32 s2, s38
	s_cvt_f32_u32 s35, s39
	s_sub_nc_u64 s[54:55], 0, s[38:39]
	v_add_co_u32 v3, vcc_lo, v11, v1
	s_wait_alu 0xfffe
	s_fmamk_f32 s2, s35, 0x4f800000, s2
	s_wait_alu 0xfffd
	v_add_co_ci_u32_e64 v5, null, v12, v1, vcc_lo
	v_xor_b32_e32 v3, v3, v1
	s_wait_alu 0xfffe
	v_s_rcp_f32 s2, s2
	s_delay_alu instid0(VALU_DEP_2) | instskip(SKIP_1) | instid1(TRANS32_DEP_1)
	v_xor_b32_e32 v5, v5, v1
	v_xor_b32_e32 v1, s36, v1
	s_mul_f32 s2, s2, 0x5f7ffffc
	s_wait_alu 0xfffe
	s_delay_alu instid0(SALU_CYCLE_2) | instskip(SKIP_1) | instid1(SALU_CYCLE_2)
	s_mul_f32 s35, s2, 0x2f800000
	s_wait_alu 0xfffe
	s_trunc_f32 s35, s35
	s_wait_alu 0xfffe
	s_delay_alu instid0(SALU_CYCLE_2) | instskip(SKIP_2) | instid1(SALU_CYCLE_1)
	s_fmamk_f32 s2, s35, 0xcf800000, s2
	s_cvt_u32_f32 s53, s35
	s_wait_alu 0xfffe
	s_cvt_u32_f32 s52, s2
	s_wait_alu 0xfffe
	s_delay_alu instid0(SALU_CYCLE_2) | instskip(NEXT) | instid1(SALU_CYCLE_1)
	s_mul_u64 s[58:59], s[54:55], s[52:53]
	s_mul_hi_u32 s63, s52, s59
	s_mul_i32 s62, s52, s59
	s_mul_hi_u32 s56, s52, s58
	s_mul_i32 s35, s53, s58
	s_add_nc_u64 s[56:57], s[56:57], s[62:63]
	s_mul_hi_u32 s2, s53, s58
	s_mul_hi_u32 s37, s53, s59
	s_wait_alu 0xfffe
	s_add_co_u32 s35, s56, s35
	s_add_co_ci_u32 s60, s57, s2
	s_mul_i32 s58, s53, s59
	s_add_co_ci_u32 s59, s37, 0
	s_delay_alu instid0(SALU_CYCLE_1)
	s_add_nc_u64 s[56:57], s[60:61], s[58:59]
	s_mov_b32 s59, s23
	s_add_co_u32 s52, s52, s56
	s_cselect_b32 s2, -1, 0
	s_wait_alu 0xfffe
	s_cmp_lg_u32 s2, 0
	s_add_co_ci_u32 s53, s53, s57
	s_mov_b32 s57, s23
	s_wait_alu 0xfffe
	s_mul_u64 s[54:55], s[54:55], s[52:53]
	s_delay_alu instid0(SALU_CYCLE_1)
	s_mul_hi_u32 s61, s52, s55
	s_mul_i32 s60, s52, s55
	s_mul_hi_u32 s58, s52, s54
	s_mul_i32 s35, s53, s54
	s_add_nc_u64 s[58:59], s[58:59], s[60:61]
	s_mul_hi_u32 s2, s53, s54
	s_mul_hi_u32 s37, s53, s55
	s_wait_alu 0xfffe
	s_add_co_u32 s35, s58, s35
	s_add_co_ci_u32 s56, s59, s2
	s_mul_i32 s54, s53, s55
	s_add_co_ci_u32 s55, s37, 0
	s_delay_alu instid0(SALU_CYCLE_1) | instskip(NEXT) | instid1(SALU_CYCLE_1)
	s_add_nc_u64 s[54:55], s[56:57], s[54:55]
	s_add_co_u32 s2, s52, s54
	s_cselect_b32 s35, -1, 0
	s_wait_alu 0xfffe
	v_mul_hi_u32 v9, v3, s2
	s_cmp_lg_u32 s35, 0
	v_mad_co_u64_u32 v[14:15], null, v5, s2, 0
	s_add_co_ci_u32 s35, s53, s55
	s_wait_alu 0xfffe
	v_mad_co_u64_u32 v[12:13], null, v3, s35, 0
	v_mad_co_u64_u32 v[21:22], null, v5, s35, 0
	s_delay_alu instid0(VALU_DEP_2) | instskip(SKIP_1) | instid1(VALU_DEP_3)
	v_add_co_u32 v9, vcc_lo, v9, v12
	s_wait_alu 0xfffd
	v_add_co_ci_u32_e64 v12, null, 0, v13, vcc_lo
	s_delay_alu instid0(VALU_DEP_2) | instskip(SKIP_1) | instid1(VALU_DEP_2)
	v_add_co_u32 v9, vcc_lo, v9, v14
	s_wait_alu 0xfffd
	v_add_co_ci_u32_e32 v9, vcc_lo, v12, v15, vcc_lo
	s_wait_alu 0xfffd
	v_add_co_ci_u32_e32 v12, vcc_lo, 0, v22, vcc_lo
	s_delay_alu instid0(VALU_DEP_2) | instskip(SKIP_1) | instid1(VALU_DEP_2)
	v_add_co_u32 v9, vcc_lo, v9, v21
	s_wait_alu 0xfffd
	v_add_co_ci_u32_e64 v14, null, 0, v12, vcc_lo
	s_delay_alu instid0(VALU_DEP_2) | instskip(SKIP_1) | instid1(VALU_DEP_3)
	v_mul_lo_u32 v15, s39, v9
	v_mad_co_u64_u32 v[12:13], null, s38, v9, 0
	v_mul_lo_u32 v16, s38, v14
	s_delay_alu instid0(VALU_DEP_2) | instskip(NEXT) | instid1(VALU_DEP_2)
	v_sub_co_u32 v3, vcc_lo, v3, v12
	v_add3_u32 v13, v13, v16, v15
	s_delay_alu instid0(VALU_DEP_1) | instskip(SKIP_2) | instid1(VALU_DEP_2)
	v_sub_nc_u32_e32 v15, v5, v13
	s_wait_alu 0xfffd
	v_sub_co_ci_u32_e64 v5, null, v5, v13, vcc_lo
	v_subrev_co_ci_u32_e64 v12, null, s39, v15, vcc_lo
	v_add_co_u32 v15, s2, v9, 2
	s_wait_alu 0xf1ff
	v_add_co_ci_u32_e64 v16, null, 0, v14, s2
	v_sub_co_u32 v21, s2, v3, s38
	s_wait_alu 0xf1ff
	v_subrev_co_ci_u32_e64 v12, null, 0, v12, s2
	s_delay_alu instid0(VALU_DEP_2) | instskip(SKIP_2) | instid1(VALU_DEP_3)
	v_cmp_le_u32_e32 vcc_lo, s38, v21
	s_wait_alu 0xfffd
	v_cndmask_b32_e64 v13, 0, -1, vcc_lo
	v_cmp_le_u32_e32 vcc_lo, s39, v12
	s_wait_alu 0xfffd
	v_cndmask_b32_e64 v21, 0, -1, vcc_lo
	;; [unrolled: 3-line block ×4, first 2 shown]
	v_cmp_eq_u32_e32 vcc_lo, s39, v12
	s_wait_alu 0xfffd
	v_cndmask_b32_e32 v12, v21, v13, vcc_lo
	v_add_co_u32 v13, vcc_lo, v9, 1
	s_wait_alu 0xfffd
	v_add_co_ci_u32_e64 v21, null, 0, v14, vcc_lo
	v_cmp_eq_u32_e32 vcc_lo, s39, v5
	s_wait_alu 0xfffd
	v_cndmask_b32_e32 v3, v22, v3, vcc_lo
	v_cmp_ne_u32_e32 vcc_lo, 0, v12
	s_delay_alu instid0(VALU_DEP_2) | instskip(SKIP_4) | instid1(VALU_DEP_2)
	v_cmp_ne_u32_e64 s2, 0, v3
	s_wait_alu 0xfffd
	v_cndmask_b32_e32 v3, v13, v15, vcc_lo
	v_cndmask_b32_e32 v5, v21, v16, vcc_lo
	s_wait_alu 0xf1ff
	v_cndmask_b32_e64 v3, v9, v3, s2
	s_delay_alu instid0(VALU_DEP_2) | instskip(NEXT) | instid1(VALU_DEP_2)
	v_cndmask_b32_e64 v5, v14, v5, s2
	v_xor_b32_e32 v3, v3, v1
	s_delay_alu instid0(VALU_DEP_2) | instskip(NEXT) | instid1(VALU_DEP_2)
	v_xor_b32_e32 v5, v5, v1
	v_sub_co_u32 v13, vcc_lo, v3, v1
	s_wait_alu 0xfffd
	s_delay_alu instid0(VALU_DEP_2)
	v_sub_co_ci_u32_e64 v14, null, v5, v1, vcc_lo
.LBB81_30:                              ;   in Loop: Header=BB81_20 Depth=2
	s_wait_alu 0xfffe
	s_and_not1_saveexec_b32 s2, s40
	s_cbranch_execz .LBB81_32
; %bb.31:                               ;   in Loop: Header=BB81_20 Depth=2
	v_cvt_f32_u32_e32 v1, s34
	s_sub_co_i32 s35, 0, s34
	v_mov_b32_e32 v14, v4
	s_delay_alu instid0(VALU_DEP_2) | instskip(NEXT) | instid1(TRANS32_DEP_1)
	v_rcp_iflag_f32_e32 v1, v1
	v_mul_f32_e32 v1, 0x4f7ffffe, v1
	s_delay_alu instid0(VALU_DEP_1) | instskip(SKIP_1) | instid1(VALU_DEP_1)
	v_cvt_u32_f32_e32 v1, v1
	s_wait_alu 0xfffe
	v_mul_lo_u32 v3, s35, v1
	s_delay_alu instid0(VALU_DEP_1) | instskip(NEXT) | instid1(VALU_DEP_1)
	v_mul_hi_u32 v3, v1, v3
	v_add_nc_u32_e32 v1, v1, v3
	s_delay_alu instid0(VALU_DEP_1) | instskip(NEXT) | instid1(VALU_DEP_1)
	v_mul_hi_u32 v1, v11, v1
	v_mul_lo_u32 v3, v1, s34
	v_add_nc_u32_e32 v5, 1, v1
	s_delay_alu instid0(VALU_DEP_2) | instskip(NEXT) | instid1(VALU_DEP_1)
	v_sub_nc_u32_e32 v3, v11, v3
	v_subrev_nc_u32_e32 v9, s34, v3
	v_cmp_le_u32_e32 vcc_lo, s34, v3
	s_wait_alu 0xfffd
	s_delay_alu instid0(VALU_DEP_2) | instskip(SKIP_1) | instid1(VALU_DEP_2)
	v_cndmask_b32_e32 v3, v3, v9, vcc_lo
	v_cndmask_b32_e32 v1, v1, v5, vcc_lo
	v_cmp_le_u32_e32 vcc_lo, s34, v3
	s_delay_alu instid0(VALU_DEP_2) | instskip(SKIP_1) | instid1(VALU_DEP_1)
	v_add_nc_u32_e32 v5, 1, v1
	s_wait_alu 0xfffd
	v_cndmask_b32_e32 v13, v1, v5, vcc_lo
.LBB81_32:                              ;   in Loop: Header=BB81_20 Depth=2
	s_wait_alu 0xfffe
	s_or_b32 exec_lo, exec_lo, s2
	s_add_co_i32 s36, s22, -3
	s_mov_b32 s37, s23
	s_add_nc_u64 s[44:45], s[0:1], s[44:45]
	s_wait_alu 0xfffe
	s_lshl_b64 s[40:41], s[36:37], 2
                                        ; implicit-def: $vgpr15_vgpr16
	s_mov_b32 s2, exec_lo
	s_wait_alu 0xfffe
	s_add_nc_u64 s[38:39], s[12:13], s[40:41]
	s_clause 0x2
	s_load_b32 s36, s[38:39], 0x8
	s_load_b32 s35, s[42:43], 0x6c
	;; [unrolled: 1-line block ×3, first 2 shown]
	s_wait_kmcnt 0x0
	s_ashr_i32 s37, s36, 31
	s_wait_alu 0xfffe
	v_or_b32_e32 v5, s37, v14
	s_delay_alu instid0(VALU_DEP_1)
	v_cmpx_ne_u64_e32 0, v[4:5]
	s_xor_b32 s53, exec_lo, s2
	s_cbranch_execz .LBB81_34
; %bb.33:                               ;   in Loop: Header=BB81_20 Depth=2
	s_ashr_i32 s42, s37, 31
	s_mov_b32 s59, s23
	s_wait_alu 0xfffe
	s_mov_b32 s43, s42
	s_mov_b32 s63, s23
	s_wait_alu 0xfffe
	s_add_nc_u64 s[44:45], s[36:37], s[42:43]
	v_ashrrev_i32_e32 v1, 31, v14
	s_wait_alu 0xfffe
	s_xor_b64 s[44:45], s[44:45], s[42:43]
	s_wait_alu 0xfffe
	s_cvt_f32_u32 s2, s44
	s_cvt_f32_u32 s37, s45
	s_sub_nc_u64 s[56:57], 0, s[44:45]
	v_add_co_u32 v3, vcc_lo, v13, v1
	s_wait_alu 0xfffe
	s_fmamk_f32 s2, s37, 0x4f800000, s2
	s_wait_alu 0xfffd
	v_add_co_ci_u32_e64 v5, null, v14, v1, vcc_lo
	v_xor_b32_e32 v3, v3, v1
	s_wait_alu 0xfffe
	v_s_rcp_f32 s2, s2
	s_delay_alu instid0(VALU_DEP_2) | instskip(SKIP_1) | instid1(TRANS32_DEP_1)
	v_xor_b32_e32 v5, v5, v1
	v_xor_b32_e32 v1, s42, v1
	s_mul_f32 s2, s2, 0x5f7ffffc
	s_wait_alu 0xfffe
	s_delay_alu instid0(SALU_CYCLE_2) | instskip(SKIP_1) | instid1(SALU_CYCLE_2)
	s_mul_f32 s37, s2, 0x2f800000
	s_wait_alu 0xfffe
	s_trunc_f32 s37, s37
	s_wait_alu 0xfffe
	s_delay_alu instid0(SALU_CYCLE_2) | instskip(SKIP_2) | instid1(SALU_CYCLE_1)
	s_fmamk_f32 s2, s37, 0xcf800000, s2
	s_cvt_u32_f32 s55, s37
	s_wait_alu 0xfffe
	s_cvt_u32_f32 s54, s2
	s_delay_alu instid0(SALU_CYCLE_3) | instskip(NEXT) | instid1(SALU_CYCLE_1)
	s_mul_u64 s[60:61], s[56:57], s[54:55]
	s_mul_hi_u32 s65, s54, s61
	s_mul_i32 s64, s54, s61
	s_mul_hi_u32 s58, s54, s60
	s_mul_i32 s37, s55, s60
	s_add_nc_u64 s[58:59], s[58:59], s[64:65]
	s_mul_hi_u32 s2, s55, s60
	s_mul_hi_u32 s43, s55, s61
	s_wait_alu 0xfffe
	s_add_co_u32 s37, s58, s37
	s_add_co_ci_u32 s62, s59, s2
	s_mul_i32 s60, s55, s61
	s_add_co_ci_u32 s61, s43, 0
	s_delay_alu instid0(SALU_CYCLE_1)
	s_add_nc_u64 s[58:59], s[62:63], s[60:61]
	s_mov_b32 s61, s23
	s_add_co_u32 s54, s54, s58
	s_cselect_b32 s2, -1, 0
	s_wait_alu 0xfffe
	s_cmp_lg_u32 s2, 0
	s_add_co_ci_u32 s55, s55, s59
	s_mov_b32 s59, s23
	s_mul_u64 s[56:57], s[56:57], s[54:55]
	s_delay_alu instid0(SALU_CYCLE_1)
	s_mul_hi_u32 s63, s54, s57
	s_mul_i32 s62, s54, s57
	s_mul_hi_u32 s60, s54, s56
	s_mul_i32 s37, s55, s56
	s_add_nc_u64 s[60:61], s[60:61], s[62:63]
	s_mul_hi_u32 s2, s55, s56
	s_mul_hi_u32 s43, s55, s57
	s_wait_alu 0xfffe
	s_add_co_u32 s37, s60, s37
	s_add_co_ci_u32 s58, s61, s2
	s_mul_i32 s56, s55, s57
	s_add_co_ci_u32 s57, s43, 0
	s_delay_alu instid0(SALU_CYCLE_1) | instskip(NEXT) | instid1(SALU_CYCLE_1)
	s_add_nc_u64 s[56:57], s[58:59], s[56:57]
	s_add_co_u32 s2, s54, s56
	s_cselect_b32 s37, -1, 0
	s_wait_alu 0xfffe
	v_mul_hi_u32 v9, v3, s2
	s_cmp_lg_u32 s37, 0
	v_mad_co_u64_u32 v[21:22], null, v5, s2, 0
	s_add_co_ci_u32 s37, s55, s57
	s_wait_alu 0xfffe
	v_mad_co_u64_u32 v[14:15], null, v3, s37, 0
	v_mad_co_u64_u32 v[23:24], null, v5, s37, 0
	s_delay_alu instid0(VALU_DEP_2) | instskip(SKIP_1) | instid1(VALU_DEP_3)
	v_add_co_u32 v9, vcc_lo, v9, v14
	s_wait_alu 0xfffd
	v_add_co_ci_u32_e64 v12, null, 0, v15, vcc_lo
	s_delay_alu instid0(VALU_DEP_2) | instskip(SKIP_1) | instid1(VALU_DEP_2)
	v_add_co_u32 v9, vcc_lo, v9, v21
	s_wait_alu 0xfffd
	v_add_co_ci_u32_e32 v9, vcc_lo, v12, v22, vcc_lo
	s_wait_alu 0xfffd
	v_add_co_ci_u32_e32 v12, vcc_lo, 0, v24, vcc_lo
	s_delay_alu instid0(VALU_DEP_2) | instskip(SKIP_1) | instid1(VALU_DEP_2)
	v_add_co_u32 v9, vcc_lo, v9, v23
	s_wait_alu 0xfffd
	v_add_co_ci_u32_e64 v12, null, 0, v12, vcc_lo
	s_delay_alu instid0(VALU_DEP_2) | instskip(SKIP_1) | instid1(VALU_DEP_3)
	v_mul_lo_u32 v16, s45, v9
	v_mad_co_u64_u32 v[14:15], null, s44, v9, 0
	v_mul_lo_u32 v21, s44, v12
	s_delay_alu instid0(VALU_DEP_2) | instskip(NEXT) | instid1(VALU_DEP_2)
	v_sub_co_u32 v3, vcc_lo, v3, v14
	v_add3_u32 v15, v15, v21, v16
	s_delay_alu instid0(VALU_DEP_1) | instskip(SKIP_2) | instid1(VALU_DEP_2)
	v_sub_nc_u32_e32 v16, v5, v15
	s_wait_alu 0xfffd
	v_sub_co_ci_u32_e64 v5, null, v5, v15, vcc_lo
	v_subrev_co_ci_u32_e64 v14, null, s45, v16, vcc_lo
	v_add_co_u32 v16, s2, v9, 2
	s_wait_alu 0xf1ff
	v_add_co_ci_u32_e64 v21, null, 0, v12, s2
	v_sub_co_u32 v22, s2, v3, s44
	s_wait_alu 0xf1ff
	v_subrev_co_ci_u32_e64 v14, null, 0, v14, s2
	s_delay_alu instid0(VALU_DEP_2) | instskip(SKIP_2) | instid1(VALU_DEP_3)
	v_cmp_le_u32_e32 vcc_lo, s44, v22
	s_wait_alu 0xfffd
	v_cndmask_b32_e64 v15, 0, -1, vcc_lo
	v_cmp_le_u32_e32 vcc_lo, s45, v14
	s_wait_alu 0xfffd
	v_cndmask_b32_e64 v22, 0, -1, vcc_lo
	;; [unrolled: 3-line block ×4, first 2 shown]
	v_cmp_eq_u32_e32 vcc_lo, s45, v14
	s_wait_alu 0xfffd
	v_cndmask_b32_e32 v14, v22, v15, vcc_lo
	v_add_co_u32 v15, vcc_lo, v9, 1
	s_wait_alu 0xfffd
	v_add_co_ci_u32_e64 v22, null, 0, v12, vcc_lo
	v_cmp_eq_u32_e32 vcc_lo, s45, v5
	s_wait_alu 0xfffd
	v_cndmask_b32_e32 v3, v23, v3, vcc_lo
	v_cmp_ne_u32_e32 vcc_lo, 0, v14
	s_delay_alu instid0(VALU_DEP_2) | instskip(SKIP_4) | instid1(VALU_DEP_2)
	v_cmp_ne_u32_e64 s2, 0, v3
	s_wait_alu 0xfffd
	v_cndmask_b32_e32 v3, v15, v16, vcc_lo
	v_cndmask_b32_e32 v5, v22, v21, vcc_lo
	s_wait_alu 0xf1ff
	v_cndmask_b32_e64 v3, v9, v3, s2
	s_delay_alu instid0(VALU_DEP_2) | instskip(NEXT) | instid1(VALU_DEP_2)
	v_cndmask_b32_e64 v5, v12, v5, s2
	v_xor_b32_e32 v3, v3, v1
	s_delay_alu instid0(VALU_DEP_2) | instskip(NEXT) | instid1(VALU_DEP_2)
	v_xor_b32_e32 v5, v5, v1
	v_sub_co_u32 v15, vcc_lo, v3, v1
	s_wait_alu 0xfffd
	s_delay_alu instid0(VALU_DEP_2)
	v_sub_co_ci_u32_e64 v16, null, v5, v1, vcc_lo
.LBB81_34:                              ;   in Loop: Header=BB81_20 Depth=2
	s_wait_alu 0xfffe
	s_and_not1_saveexec_b32 s2, s53
	s_cbranch_execz .LBB81_36
; %bb.35:                               ;   in Loop: Header=BB81_20 Depth=2
	v_cvt_f32_u32_e32 v1, s36
	s_sub_co_i32 s37, 0, s36
	v_mov_b32_e32 v16, v4
	s_delay_alu instid0(VALU_DEP_2) | instskip(NEXT) | instid1(TRANS32_DEP_1)
	v_rcp_iflag_f32_e32 v1, v1
	v_mul_f32_e32 v1, 0x4f7ffffe, v1
	s_delay_alu instid0(VALU_DEP_1) | instskip(SKIP_1) | instid1(VALU_DEP_1)
	v_cvt_u32_f32_e32 v1, v1
	s_wait_alu 0xfffe
	v_mul_lo_u32 v3, s37, v1
	s_delay_alu instid0(VALU_DEP_1) | instskip(NEXT) | instid1(VALU_DEP_1)
	v_mul_hi_u32 v3, v1, v3
	v_add_nc_u32_e32 v1, v1, v3
	s_delay_alu instid0(VALU_DEP_1) | instskip(NEXT) | instid1(VALU_DEP_1)
	v_mul_hi_u32 v1, v13, v1
	v_mul_lo_u32 v3, v1, s36
	v_add_nc_u32_e32 v5, 1, v1
	s_delay_alu instid0(VALU_DEP_2) | instskip(NEXT) | instid1(VALU_DEP_1)
	v_sub_nc_u32_e32 v3, v13, v3
	v_subrev_nc_u32_e32 v9, s36, v3
	v_cmp_le_u32_e32 vcc_lo, s36, v3
	s_wait_alu 0xfffd
	s_delay_alu instid0(VALU_DEP_2) | instskip(SKIP_1) | instid1(VALU_DEP_2)
	v_cndmask_b32_e32 v3, v3, v9, vcc_lo
	v_cndmask_b32_e32 v1, v1, v5, vcc_lo
	v_cmp_le_u32_e32 vcc_lo, s36, v3
	s_delay_alu instid0(VALU_DEP_2) | instskip(SKIP_1) | instid1(VALU_DEP_1)
	v_add_nc_u32_e32 v5, 1, v1
	s_wait_alu 0xfffd
	v_cndmask_b32_e32 v15, v1, v5, vcc_lo
.LBB81_36:                              ;   in Loop: Header=BB81_20 Depth=2
	s_wait_alu 0xfffe
	s_or_b32 exec_lo, exec_lo, s2
	s_add_nc_u64 s[40:41], s[0:1], s[40:41]
	v_mul_lo_u32 v1, v2, s28
	s_clause 0x1
	s_load_b32 s2, s[38:39], 0x6c
	s_load_b32 s28, s[40:41], 0x6c
	v_mul_lo_u32 v3, v11, s30
	v_mul_lo_u32 v5, v13, s34
	;; [unrolled: 1-line block ×3, first 2 shown]
	s_add_co_i32 s22, s22, -4
	s_wait_alu 0xfffe
	s_cmp_eq_u32 s22, -1
	v_sub_nc_u32_e32 v0, v0, v1
	s_delay_alu instid0(VALU_DEP_4) | instskip(NEXT) | instid1(VALU_DEP_4)
	v_sub_nc_u32_e32 v1, v2, v3
	v_sub_nc_u32_e32 v2, v11, v5
	s_delay_alu instid0(VALU_DEP_4) | instskip(NEXT) | instid1(VALU_DEP_4)
	v_sub_nc_u32_e32 v3, v13, v9
	v_mul_lo_u32 v5, s25, v0
	v_mul_lo_u32 v0, s27, v0
	;; [unrolled: 1-line block ×6, first 2 shown]
	s_wait_kmcnt 0x0
	v_mul_lo_u32 v12, s2, v3
	v_mul_lo_u32 v3, s28, v3
	v_add3_u32 v5, v5, v10, v9
	v_add3_u32 v0, v0, v8, v1
	s_delay_alu instid0(VALU_DEP_2) | instskip(NEXT) | instid1(VALU_DEP_2)
	v_add3_u32 v10, v11, v5, v12
	v_add3_u32 v8, v2, v0, v3
	s_cbranch_scc1 .LBB81_38
; %bb.37:                               ;   in Loop: Header=BB81_20 Depth=2
	v_dual_mov_b32 v0, v15 :: v_dual_mov_b32 v1, v16
	s_branch .LBB81_20
.LBB81_38:                              ;   in Loop: Header=BB81_3 Depth=1
	v_sub_nc_u32_e32 v9, v19, v20
	v_mov_b32_e32 v2, 0
	s_delay_alu instid0(VALU_DEP_2) | instskip(NEXT) | instid1(VALU_DEP_1)
	v_dual_mov_b32 v3, 0 :: v_dual_add_nc_u32 v0, 1, v9
	v_ashrrev_i32_e32 v1, 31, v0
	s_delay_alu instid0(VALU_DEP_1)
	v_cmp_le_i64_e32 vcc_lo, s[4:5], v[0:1]
	v_mov_b32_e32 v0, 0
	v_mov_b32_e32 v1, 0
	s_and_saveexec_b32 s2, vcc_lo
	s_cbranch_execz .LBB81_42
; %bb.39:                               ;   in Loop: Header=BB81_3 Depth=1
	v_mov_b32_e32 v0, 0
	v_dual_mov_b32 v1, 0 :: v_dual_mov_b32 v2, 0
	v_mov_b32_e32 v3, 0
	s_mov_b32 s22, exec_lo
	v_cmpx_gt_i32_e64 s3, v19
	s_cbranch_execz .LBB81_41
; %bb.40:                               ;   in Loop: Header=BB81_3 Depth=1
	v_ashrrev_i32_e32 v11, 31, v10
	s_delay_alu instid0(VALU_DEP_1) | instskip(NEXT) | instid1(VALU_DEP_1)
	v_lshlrev_b64_e32 v[0:1], 4, v[10:11]
	v_add_co_u32 v0, vcc_lo, s10, v0
	s_wait_alu 0xfffd
	s_delay_alu instid0(VALU_DEP_2)
	v_add_co_ci_u32_e64 v1, null, s11, v1, vcc_lo
	global_load_b128 v[0:3], v[0:1], off
.LBB81_41:                              ;   in Loop: Header=BB81_3 Depth=1
	s_wait_alu 0xfffe
	s_or_b32 exec_lo, exec_lo, s22
	v_ashrrev_i32_e32 v10, 31, v9
	s_delay_alu instid0(VALU_DEP_1)
	v_cmp_gt_i64_e32 vcc_lo, s[4:5], v[9:10]
	s_wait_loadcnt 0x0
	s_wait_alu 0xfffd
	v_cndmask_b32_e64 v1, v1, 0, vcc_lo
	v_cndmask_b32_e64 v0, v0, 0, vcc_lo
	;; [unrolled: 1-line block ×4, first 2 shown]
.LBB81_42:                              ;   in Loop: Header=BB81_3 Depth=1
	s_wait_alu 0xfffe
	s_or_b32 exec_lo, exec_lo, s2
	s_delay_alu instid0(SALU_CYCLE_1)
	s_mov_b32 s2, exec_lo
	v_cmpx_gt_i32_e64 s3, v19
	s_cbranch_execz .LBB81_2
; %bb.43:                               ;   in Loop: Header=BB81_3 Depth=1
	v_ashrrev_i32_e32 v9, 31, v8
	s_delay_alu instid0(VALU_DEP_1) | instskip(NEXT) | instid1(VALU_DEP_1)
	v_lshlrev_b64_e32 v[8:9], 4, v[8:9]
	v_add_co_u32 v8, vcc_lo, s20, v8
	s_wait_alu 0xfffd
	s_delay_alu instid0(VALU_DEP_2)
	v_add_co_ci_u32_e64 v9, null, s21, v9, vcc_lo
	global_store_b128 v[8:9], v[0:3], off
	s_branch .LBB81_2
.LBB81_44:
	s_endpgm
	.section	.rodata,"a",@progbits
	.p2align	6, 0x0
	.amdhsa_kernel _ZN2at6native16triu_tril_kernelIN3c107complexIdEEiLb1ELi1ELb0EEEvNS_4cuda6detail10TensorInfoIT_T0_EENS7_IKS8_S9_EEllS9_
		.amdhsa_group_segment_fixed_size 0
		.amdhsa_private_segment_fixed_size 0
		.amdhsa_kernarg_size 712
		.amdhsa_user_sgpr_count 2
		.amdhsa_user_sgpr_dispatch_ptr 0
		.amdhsa_user_sgpr_queue_ptr 0
		.amdhsa_user_sgpr_kernarg_segment_ptr 1
		.amdhsa_user_sgpr_dispatch_id 0
		.amdhsa_user_sgpr_private_segment_size 0
		.amdhsa_wavefront_size32 1
		.amdhsa_uses_dynamic_stack 0
		.amdhsa_enable_private_segment 0
		.amdhsa_system_sgpr_workgroup_id_x 1
		.amdhsa_system_sgpr_workgroup_id_y 0
		.amdhsa_system_sgpr_workgroup_id_z 0
		.amdhsa_system_sgpr_workgroup_info 0
		.amdhsa_system_vgpr_workitem_id 0
		.amdhsa_next_free_vgpr 25
		.amdhsa_next_free_sgpr 66
		.amdhsa_reserve_vcc 1
		.amdhsa_float_round_mode_32 0
		.amdhsa_float_round_mode_16_64 0
		.amdhsa_float_denorm_mode_32 3
		.amdhsa_float_denorm_mode_16_64 3
		.amdhsa_fp16_overflow 0
		.amdhsa_workgroup_processor_mode 1
		.amdhsa_memory_ordered 1
		.amdhsa_forward_progress 1
		.amdhsa_inst_pref_size 64
		.amdhsa_round_robin_scheduling 0
		.amdhsa_exception_fp_ieee_invalid_op 0
		.amdhsa_exception_fp_denorm_src 0
		.amdhsa_exception_fp_ieee_div_zero 0
		.amdhsa_exception_fp_ieee_overflow 0
		.amdhsa_exception_fp_ieee_underflow 0
		.amdhsa_exception_fp_ieee_inexact 0
		.amdhsa_exception_int_div_zero 0
	.end_amdhsa_kernel
	.section	.text._ZN2at6native16triu_tril_kernelIN3c107complexIdEEiLb1ELi1ELb0EEEvNS_4cuda6detail10TensorInfoIT_T0_EENS7_IKS8_S9_EEllS9_,"axG",@progbits,_ZN2at6native16triu_tril_kernelIN3c107complexIdEEiLb1ELi1ELb0EEEvNS_4cuda6detail10TensorInfoIT_T0_EENS7_IKS8_S9_EEllS9_,comdat
.Lfunc_end81:
	.size	_ZN2at6native16triu_tril_kernelIN3c107complexIdEEiLb1ELi1ELb0EEEvNS_4cuda6detail10TensorInfoIT_T0_EENS7_IKS8_S9_EEllS9_, .Lfunc_end81-_ZN2at6native16triu_tril_kernelIN3c107complexIdEEiLb1ELi1ELb0EEEvNS_4cuda6detail10TensorInfoIT_T0_EENS7_IKS8_S9_EEllS9_
                                        ; -- End function
	.set _ZN2at6native16triu_tril_kernelIN3c107complexIdEEiLb1ELi1ELb0EEEvNS_4cuda6detail10TensorInfoIT_T0_EENS7_IKS8_S9_EEllS9_.num_vgpr, 25
	.set _ZN2at6native16triu_tril_kernelIN3c107complexIdEEiLb1ELi1ELb0EEEvNS_4cuda6detail10TensorInfoIT_T0_EENS7_IKS8_S9_EEllS9_.num_agpr, 0
	.set _ZN2at6native16triu_tril_kernelIN3c107complexIdEEiLb1ELi1ELb0EEEvNS_4cuda6detail10TensorInfoIT_T0_EENS7_IKS8_S9_EEllS9_.numbered_sgpr, 66
	.set _ZN2at6native16triu_tril_kernelIN3c107complexIdEEiLb1ELi1ELb0EEEvNS_4cuda6detail10TensorInfoIT_T0_EENS7_IKS8_S9_EEllS9_.num_named_barrier, 0
	.set _ZN2at6native16triu_tril_kernelIN3c107complexIdEEiLb1ELi1ELb0EEEvNS_4cuda6detail10TensorInfoIT_T0_EENS7_IKS8_S9_EEllS9_.private_seg_size, 0
	.set _ZN2at6native16triu_tril_kernelIN3c107complexIdEEiLb1ELi1ELb0EEEvNS_4cuda6detail10TensorInfoIT_T0_EENS7_IKS8_S9_EEllS9_.uses_vcc, 1
	.set _ZN2at6native16triu_tril_kernelIN3c107complexIdEEiLb1ELi1ELb0EEEvNS_4cuda6detail10TensorInfoIT_T0_EENS7_IKS8_S9_EEllS9_.uses_flat_scratch, 0
	.set _ZN2at6native16triu_tril_kernelIN3c107complexIdEEiLb1ELi1ELb0EEEvNS_4cuda6detail10TensorInfoIT_T0_EENS7_IKS8_S9_EEllS9_.has_dyn_sized_stack, 0
	.set _ZN2at6native16triu_tril_kernelIN3c107complexIdEEiLb1ELi1ELb0EEEvNS_4cuda6detail10TensorInfoIT_T0_EENS7_IKS8_S9_EEllS9_.has_recursion, 0
	.set _ZN2at6native16triu_tril_kernelIN3c107complexIdEEiLb1ELi1ELb0EEEvNS_4cuda6detail10TensorInfoIT_T0_EENS7_IKS8_S9_EEllS9_.has_indirect_call, 0
	.section	.AMDGPU.csdata,"",@progbits
; Kernel info:
; codeLenInByte = 8144
; TotalNumSgprs: 68
; NumVgprs: 25
; ScratchSize: 0
; MemoryBound: 1
; FloatMode: 240
; IeeeMode: 1
; LDSByteSize: 0 bytes/workgroup (compile time only)
; SGPRBlocks: 0
; VGPRBlocks: 3
; NumSGPRsForWavesPerEU: 68
; NumVGPRsForWavesPerEU: 25
; Occupancy: 16
; WaveLimiterHint : 1
; COMPUTE_PGM_RSRC2:SCRATCH_EN: 0
; COMPUTE_PGM_RSRC2:USER_SGPR: 2
; COMPUTE_PGM_RSRC2:TRAP_HANDLER: 0
; COMPUTE_PGM_RSRC2:TGID_X_EN: 1
; COMPUTE_PGM_RSRC2:TGID_Y_EN: 0
; COMPUTE_PGM_RSRC2:TGID_Z_EN: 0
; COMPUTE_PGM_RSRC2:TIDIG_COMP_CNT: 0
	.section	.text._ZN2at6native16triu_tril_kernelIN3c107complexIdEElLb1ELi1ELb1EEEvNS_4cuda6detail10TensorInfoIT_T0_EENS7_IKS8_S9_EEllS9_,"axG",@progbits,_ZN2at6native16triu_tril_kernelIN3c107complexIdEElLb1ELi1ELb1EEEvNS_4cuda6detail10TensorInfoIT_T0_EENS7_IKS8_S9_EEllS9_,comdat
	.protected	_ZN2at6native16triu_tril_kernelIN3c107complexIdEElLb1ELi1ELb1EEEvNS_4cuda6detail10TensorInfoIT_T0_EENS7_IKS8_S9_EEllS9_ ; -- Begin function _ZN2at6native16triu_tril_kernelIN3c107complexIdEElLb1ELi1ELb1EEEvNS_4cuda6detail10TensorInfoIT_T0_EENS7_IKS8_S9_EEllS9_
	.globl	_ZN2at6native16triu_tril_kernelIN3c107complexIdEElLb1ELi1ELb1EEEvNS_4cuda6detail10TensorInfoIT_T0_EENS7_IKS8_S9_EEllS9_
	.p2align	8
	.type	_ZN2at6native16triu_tril_kernelIN3c107complexIdEElLb1ELi1ELb1EEEvNS_4cuda6detail10TensorInfoIT_T0_EENS7_IKS8_S9_EEllS9_,@function
_ZN2at6native16triu_tril_kernelIN3c107complexIdEElLb1ELi1ELb1EEEvNS_4cuda6detail10TensorInfoIT_T0_EENS7_IKS8_S9_EEllS9_: ; @_ZN2at6native16triu_tril_kernelIN3c107complexIdEElLb1ELi1ELb1EEEvNS_4cuda6detail10TensorInfoIT_T0_EENS7_IKS8_S9_EEllS9_
; %bb.0:
	s_clause 0x1
	s_load_b32 s2, s[0:1], 0x364
	s_load_b128 s[4:7], s[0:1], 0x340
	v_mov_b32_e32 v2, 0
	s_delay_alu instid0(VALU_DEP_1) | instskip(SKIP_3) | instid1(VALU_DEP_1)
	v_mov_b32_e32 v1, v2
	s_wait_kmcnt 0x0
	s_and_b32 s12, s2, 0xffff
	s_mov_b32 s2, exec_lo
	v_mad_co_u64_u32 v[0:1], null, s12, ttmp9, v[0:1]
	s_delay_alu instid0(VALU_DEP_1)
	v_cmpx_gt_i64_e64 s[6:7], v[0:1]
	s_cbranch_execz .LBB82_40
; %bb.1:
	s_clause 0x2
	s_load_b32 s20, s[0:1], 0x338
	s_load_b64 s[2:3], s[0:1], 0x350
	s_load_b64 s[8:9], s[0:1], 0x0
	s_add_nc_u64 s[10:11], s[0:1], 0x358
	s_add_nc_u64 s[26:27], s[0:1], 0x1a0
	s_mov_b32 s13, 0
	s_movk_i32 s16, 0xffe0
	s_mov_b32 s17, -1
	s_wait_kmcnt 0x0
	s_add_co_i32 s22, s20, -2
	v_cvt_f32_u32_e32 v3, s2
	s_ashr_i32 s23, s22, 31
	s_add_co_i32 s18, s20, -3
	s_lshl_b64 s[14:15], s[22:23], 3
	s_load_b32 s23, s[10:11], 0x0
	s_add_nc_u64 s[10:11], s[26:27], s[14:15]
	v_rcp_iflag_f32_e32 v3, v3
	s_load_b64 s[10:11], s[10:11], 0x8
	s_ashr_i32 s21, s20, 31
	s_ashr_i32 s19, s18, 31
	s_lshl_b64 s[24:25], s[20:21], 3
	v_cmp_gt_i64_e64 s60, s[20:21], 2
	s_add_nc_u64 s[14:15], s[0:1], 0xb8
	s_add_nc_u64 s[20:21], s[0:1], s[24:25]
	s_wait_kmcnt 0x0
	s_mul_i32 s33, s23, s12
	s_and_b32 s12, s22, 3
	s_and_b32 s22, s18, 3
	v_cvt_f32_u32_e32 v4, s10
	s_cmp_lg_u32 s22, 3
	s_add_nc_u64 s[22:23], s[26:27], s[24:25]
	s_cselect_b32 s61, -1, 0
	s_cmp_gt_u32 s18, 2
	v_rcp_iflag_f32_e32 v4, v4
	v_mul_f32_e32 v3, 0x4f7ffffe, v3
	s_cselect_b32 s62, -1, 0
	s_lshl_b64 s[28:29], s[18:19], 3
	s_wait_alu 0xfffe
	s_mov_b64 s[24:25], s[12:13]
	s_add_nc_u64 s[30:31], s[0:1], s[28:29]
	s_add_nc_u64 s[28:29], s[26:27], s[28:29]
	;; [unrolled: 1-line block ×5, first 2 shown]
	v_mul_f32_e32 v4, 0x4f7ffffe, v4
	v_cvt_u32_f32_e32 v18, v3
	s_ashr_i32 s34, s3, 31
	s_mov_b32 s1, 0
	s_delay_alu instid0(VALU_DEP_2)
	v_cvt_u32_f32_e32 v19, v4
	s_branch .LBB82_3
.LBB82_2:                               ;   in Loop: Header=BB82_3 Depth=1
	s_wait_alu 0xfffe
	s_or_b32 exec_lo, exec_lo, s35
	v_add_co_u32 v0, vcc_lo, v0, s33
	s_wait_alu 0xfffd
	v_add_co_ci_u32_e64 v1, null, 0, v1, vcc_lo
	s_delay_alu instid0(VALU_DEP_1)
	v_cmp_le_i64_e32 vcc_lo, s[6:7], v[0:1]
	s_or_b32 s1, vcc_lo, s1
	s_wait_alu 0xfffe
	s_and_not1_b32 exec_lo, exec_lo, s1
	s_cbranch_execz .LBB82_40
.LBB82_3:                               ; =>This Loop Header: Depth=1
                                        ;     Child Loop BB82_17 Depth 2
                                        ;     Child Loop BB82_22 Depth 2
	v_or_b32_e32 v3, s3, v1
                                        ; implicit-def: $vgpr8_vgpr9
	s_mov_b32 s0, exec_lo
	s_delay_alu instid0(VALU_DEP_1)
	v_cmpx_ne_u64_e32 0, v[2:3]
	s_wait_alu 0xfffe
	s_xor_b32 s38, exec_lo, s0
	s_cbranch_execz .LBB82_5
; %bb.4:                                ;   in Loop: Header=BB82_3 Depth=1
	s_mov_b32 s35, s34
	v_ashrrev_i32_e32 v9, 31, v1
	s_wait_alu 0xfffe
	s_add_nc_u64 s[36:37], s[2:3], s[34:35]
	s_wait_alu 0xfffe
	s_xor_b64 s[36:37], s[36:37], s[34:35]
	v_add_co_u32 v3, vcc_lo, v0, v9
	s_wait_alu 0xfffe
	s_cvt_f32_u32 s0, s36
	s_cvt_f32_u32 s12, s37
	s_sub_nc_u64 s[42:43], 0, s[36:37]
	s_wait_alu 0xfffd
	v_add_co_ci_u32_e64 v4, null, v1, v9, vcc_lo
	s_wait_alu 0xfffe
	s_fmamk_f32 s0, s12, 0x4f800000, s0
	v_xor_b32_e32 v10, v3, v9
	s_delay_alu instid0(VALU_DEP_2) | instskip(SKIP_2) | instid1(TRANS32_DEP_1)
	v_xor_b32_e32 v11, v4, v9
	s_wait_alu 0xfffe
	v_s_rcp_f32 s0, s0
	s_mul_f32 s0, s0, 0x5f7ffffc
	s_wait_alu 0xfffe
	s_delay_alu instid0(SALU_CYCLE_2) | instskip(SKIP_1) | instid1(SALU_CYCLE_2)
	s_mul_f32 s12, s0, 0x2f800000
	s_wait_alu 0xfffe
	s_trunc_f32 s12, s12
	s_wait_alu 0xfffe
	s_delay_alu instid0(SALU_CYCLE_2) | instskip(SKIP_2) | instid1(SALU_CYCLE_1)
	s_fmamk_f32 s0, s12, 0xcf800000, s0
	s_cvt_u32_f32 s41, s12
	s_wait_alu 0xfffe
	s_cvt_u32_f32 s40, s0
	s_delay_alu instid0(SALU_CYCLE_3)
	s_mul_u64 s[44:45], s[42:43], s[40:41]
	s_wait_alu 0xfffe
	s_mul_hi_u32 s47, s40, s45
	s_mul_i32 s46, s40, s45
	s_mul_hi_u32 s12, s40, s44
	s_mul_i32 s35, s41, s44
	s_wait_alu 0xfffe
	s_add_nc_u64 s[46:47], s[12:13], s[46:47]
	s_mul_hi_u32 s0, s41, s44
	s_mul_hi_u32 s39, s41, s45
	s_wait_alu 0xfffe
	s_add_co_u32 s12, s46, s35
	s_add_co_ci_u32 s12, s47, s0
	s_mul_i32 s44, s41, s45
	s_add_co_ci_u32 s45, s39, 0
	s_wait_alu 0xfffe
	s_add_nc_u64 s[44:45], s[12:13], s[44:45]
	s_wait_alu 0xfffe
	s_add_co_u32 s40, s40, s44
	s_cselect_b32 s0, -1, 0
	s_wait_alu 0xfffe
	s_cmp_lg_u32 s0, 0
	s_add_co_ci_u32 s41, s41, s45
	s_delay_alu instid0(SALU_CYCLE_1)
	s_mul_u64 s[42:43], s[42:43], s[40:41]
	s_wait_alu 0xfffe
	s_mul_hi_u32 s45, s40, s43
	s_mul_i32 s44, s40, s43
	s_mul_hi_u32 s12, s40, s42
	s_mul_i32 s35, s41, s42
	s_wait_alu 0xfffe
	s_add_nc_u64 s[44:45], s[12:13], s[44:45]
	s_mul_hi_u32 s0, s41, s42
	s_mul_hi_u32 s39, s41, s43
	s_wait_alu 0xfffe
	s_add_co_u32 s12, s44, s35
	s_add_co_ci_u32 s12, s45, s0
	s_mul_i32 s42, s41, s43
	s_add_co_ci_u32 s43, s39, 0
	s_wait_alu 0xfffe
	s_add_nc_u64 s[42:43], s[12:13], s[42:43]
	s_wait_alu 0xfffe
	s_add_co_u32 s0, s40, s42
	s_cselect_b32 s12, -1, 0
	s_wait_alu 0xfffe
	v_mul_hi_u32 v12, v10, s0
	s_cmp_lg_u32 s12, 0
	v_mad_co_u64_u32 v[5:6], null, v11, s0, 0
	s_add_co_ci_u32 s12, s41, s43
	s_wait_alu 0xfffe
	v_mad_co_u64_u32 v[3:4], null, v10, s12, 0
	v_mad_co_u64_u32 v[7:8], null, v11, s12, 0
	s_delay_alu instid0(VALU_DEP_2) | instskip(SKIP_1) | instid1(VALU_DEP_3)
	v_add_co_u32 v3, vcc_lo, v12, v3
	s_wait_alu 0xfffd
	v_add_co_ci_u32_e64 v4, null, 0, v4, vcc_lo
	s_delay_alu instid0(VALU_DEP_2) | instskip(SKIP_1) | instid1(VALU_DEP_2)
	v_add_co_u32 v3, vcc_lo, v3, v5
	s_wait_alu 0xfffd
	v_add_co_ci_u32_e32 v3, vcc_lo, v4, v6, vcc_lo
	s_wait_alu 0xfffd
	v_add_co_ci_u32_e32 v4, vcc_lo, 0, v8, vcc_lo
	s_delay_alu instid0(VALU_DEP_2) | instskip(SKIP_1) | instid1(VALU_DEP_2)
	v_add_co_u32 v5, vcc_lo, v3, v7
	s_wait_alu 0xfffd
	v_add_co_ci_u32_e64 v6, null, 0, v4, vcc_lo
	s_delay_alu instid0(VALU_DEP_2) | instskip(SKIP_1) | instid1(VALU_DEP_3)
	v_mul_lo_u32 v7, s37, v5
	v_mad_co_u64_u32 v[3:4], null, s36, v5, 0
	v_mul_lo_u32 v8, s36, v6
	s_delay_alu instid0(VALU_DEP_2) | instskip(NEXT) | instid1(VALU_DEP_2)
	v_sub_co_u32 v3, vcc_lo, v10, v3
	v_add3_u32 v4, v4, v8, v7
	v_add_co_u32 v8, s0, v5, 2
	s_wait_alu 0xf1ff
	v_add_co_ci_u32_e64 v10, null, 0, v6, s0
	s_delay_alu instid0(VALU_DEP_3) | instskip(SKIP_3) | instid1(VALU_DEP_3)
	v_sub_nc_u32_e32 v7, v11, v4
	v_sub_co_u32 v12, s0, v3, s36
	s_wait_alu 0xfffd
	v_sub_co_ci_u32_e64 v4, null, v11, v4, vcc_lo
	v_subrev_co_ci_u32_e64 v7, null, s37, v7, vcc_lo
	s_delay_alu instid0(VALU_DEP_3) | instskip(SKIP_1) | instid1(VALU_DEP_2)
	v_cmp_le_u32_e32 vcc_lo, s36, v12
	s_wait_alu 0xf1ff
	v_subrev_co_ci_u32_e64 v7, null, 0, v7, s0
	s_wait_alu 0xfffd
	v_cndmask_b32_e64 v11, 0, -1, vcc_lo
	s_delay_alu instid0(VALU_DEP_2)
	v_cmp_le_u32_e32 vcc_lo, s37, v7
	s_wait_alu 0xfffd
	v_cndmask_b32_e64 v12, 0, -1, vcc_lo
	v_cmp_le_u32_e32 vcc_lo, s36, v3
	s_wait_alu 0xfffd
	v_cndmask_b32_e64 v3, 0, -1, vcc_lo
	;; [unrolled: 3-line block ×3, first 2 shown]
	v_cmp_eq_u32_e32 vcc_lo, s37, v7
	s_wait_alu 0xfffd
	v_cndmask_b32_e32 v7, v12, v11, vcc_lo
	v_add_co_u32 v11, vcc_lo, v5, 1
	s_wait_alu 0xfffd
	v_add_co_ci_u32_e64 v12, null, 0, v6, vcc_lo
	v_cmp_eq_u32_e32 vcc_lo, s37, v4
	s_wait_alu 0xfffd
	v_cndmask_b32_e32 v3, v13, v3, vcc_lo
	v_cmp_ne_u32_e32 vcc_lo, 0, v7
	v_xor_b32_e32 v7, s34, v9
	s_wait_alu 0xfffd
	v_cndmask_b32_e32 v4, v12, v10, vcc_lo
	v_cmp_ne_u32_e64 s0, 0, v3
	v_cndmask_b32_e32 v3, v11, v8, vcc_lo
	s_wait_alu 0xf1ff
	s_delay_alu instid0(VALU_DEP_2) | instskip(NEXT) | instid1(VALU_DEP_2)
	v_cndmask_b32_e64 v4, v6, v4, s0
	v_cndmask_b32_e64 v3, v5, v3, s0
	s_delay_alu instid0(VALU_DEP_2) | instskip(NEXT) | instid1(VALU_DEP_2)
	v_xor_b32_e32 v4, v4, v7
	v_xor_b32_e32 v3, v3, v7
	s_delay_alu instid0(VALU_DEP_1) | instskip(SKIP_1) | instid1(VALU_DEP_3)
	v_sub_co_u32 v8, vcc_lo, v3, v7
	s_wait_alu 0xfffd
	v_sub_co_ci_u32_e64 v9, null, v4, v7, vcc_lo
.LBB82_5:                               ;   in Loop: Header=BB82_3 Depth=1
	s_wait_alu 0xfffe
	s_and_not1_saveexec_b32 s0, s38
	s_cbranch_execz .LBB82_7
; %bb.6:                                ;   in Loop: Header=BB82_3 Depth=1
	s_sub_co_i32 s12, 0, s2
	v_mov_b32_e32 v9, v2
	s_wait_alu 0xfffe
	v_mul_lo_u32 v3, s12, v18
	s_delay_alu instid0(VALU_DEP_1) | instskip(NEXT) | instid1(VALU_DEP_1)
	v_mul_hi_u32 v3, v18, v3
	v_add_nc_u32_e32 v3, v18, v3
	s_delay_alu instid0(VALU_DEP_1) | instskip(NEXT) | instid1(VALU_DEP_1)
	v_mul_hi_u32 v3, v0, v3
	v_mul_lo_u32 v4, v3, s2
	v_add_nc_u32_e32 v5, 1, v3
	s_delay_alu instid0(VALU_DEP_2) | instskip(NEXT) | instid1(VALU_DEP_1)
	v_sub_nc_u32_e32 v4, v0, v4
	v_subrev_nc_u32_e32 v6, s2, v4
	v_cmp_le_u32_e32 vcc_lo, s2, v4
	s_wait_alu 0xfffd
	s_delay_alu instid0(VALU_DEP_2) | instskip(NEXT) | instid1(VALU_DEP_1)
	v_dual_cndmask_b32 v4, v4, v6 :: v_dual_cndmask_b32 v3, v3, v5
	v_cmp_le_u32_e32 vcc_lo, s2, v4
	s_delay_alu instid0(VALU_DEP_2) | instskip(SKIP_1) | instid1(VALU_DEP_1)
	v_add_nc_u32_e32 v5, 1, v3
	s_wait_alu 0xfffd
	v_cndmask_b32_e32 v8, v3, v5, vcc_lo
.LBB82_7:                               ;   in Loop: Header=BB82_3 Depth=1
	s_wait_alu 0xfffe
	s_or_b32 exec_lo, exec_lo, s0
	v_or_b32_e32 v3, s11, v9
                                        ; implicit-def: $vgpr6_vgpr7
	s_mov_b32 s0, exec_lo
	s_delay_alu instid0(VALU_DEP_1)
	v_cmpx_ne_u64_e32 0, v[2:3]
	s_wait_alu 0xfffe
	s_xor_b32 s35, exec_lo, s0
	s_cbranch_execz .LBB82_9
; %bb.8:                                ;   in Loop: Header=BB82_3 Depth=1
	s_ashr_i32 s36, s11, 31
	v_ashrrev_i32_e32 v7, 31, v9
	s_wait_alu 0xfffe
	s_mov_b32 s37, s36
	s_wait_alu 0xfffe
	s_add_nc_u64 s[38:39], s[10:11], s[36:37]
	v_add_co_u32 v3, vcc_lo, v8, v7
	s_wait_alu 0xfffe
	s_xor_b64 s[38:39], s[38:39], s[36:37]
	s_wait_alu 0xfffd
	v_add_co_ci_u32_e64 v4, null, v9, v7, vcc_lo
	s_wait_alu 0xfffe
	s_cvt_f32_u32 s0, s38
	s_cvt_f32_u32 s12, s39
	s_sub_nc_u64 s[42:43], 0, s[38:39]
	v_xor_b32_e32 v12, v3, v7
	v_xor_b32_e32 v13, v4, v7
	s_wait_alu 0xfffe
	s_fmamk_f32 s0, s12, 0x4f800000, s0
	v_xor_b32_e32 v7, s36, v7
	s_wait_alu 0xfffe
	s_delay_alu instid0(SALU_CYCLE_1) | instskip(NEXT) | instid1(TRANS32_DEP_1)
	v_s_rcp_f32 s0, s0
	s_mul_f32 s0, s0, 0x5f7ffffc
	s_wait_alu 0xfffe
	s_delay_alu instid0(SALU_CYCLE_2) | instskip(SKIP_1) | instid1(SALU_CYCLE_2)
	s_mul_f32 s12, s0, 0x2f800000
	s_wait_alu 0xfffe
	s_trunc_f32 s12, s12
	s_wait_alu 0xfffe
	s_delay_alu instid0(SALU_CYCLE_2) | instskip(SKIP_2) | instid1(SALU_CYCLE_1)
	s_fmamk_f32 s0, s12, 0xcf800000, s0
	s_cvt_u32_f32 s41, s12
	s_wait_alu 0xfffe
	s_cvt_u32_f32 s40, s0
	s_delay_alu instid0(SALU_CYCLE_3)
	s_mul_u64 s[44:45], s[42:43], s[40:41]
	s_wait_alu 0xfffe
	s_mul_hi_u32 s47, s40, s45
	s_mul_i32 s46, s40, s45
	s_mul_hi_u32 s12, s40, s44
	s_mul_i32 s37, s41, s44
	s_wait_alu 0xfffe
	s_add_nc_u64 s[46:47], s[12:13], s[46:47]
	s_mul_hi_u32 s0, s41, s44
	s_mul_hi_u32 s48, s41, s45
	s_wait_alu 0xfffe
	s_add_co_u32 s12, s46, s37
	s_add_co_ci_u32 s12, s47, s0
	s_mul_i32 s44, s41, s45
	s_add_co_ci_u32 s45, s48, 0
	s_wait_alu 0xfffe
	s_add_nc_u64 s[44:45], s[12:13], s[44:45]
	s_wait_alu 0xfffe
	s_add_co_u32 s40, s40, s44
	s_cselect_b32 s0, -1, 0
	s_wait_alu 0xfffe
	s_cmp_lg_u32 s0, 0
	s_add_co_ci_u32 s41, s41, s45
	s_delay_alu instid0(SALU_CYCLE_1)
	s_mul_u64 s[42:43], s[42:43], s[40:41]
	s_wait_alu 0xfffe
	s_mul_hi_u32 s45, s40, s43
	s_mul_i32 s44, s40, s43
	s_mul_hi_u32 s12, s40, s42
	s_mul_i32 s37, s41, s42
	s_wait_alu 0xfffe
	s_add_nc_u64 s[44:45], s[12:13], s[44:45]
	s_mul_hi_u32 s0, s41, s42
	s_mul_hi_u32 s46, s41, s43
	s_wait_alu 0xfffe
	s_add_co_u32 s12, s44, s37
	s_add_co_ci_u32 s12, s45, s0
	s_mul_i32 s42, s41, s43
	s_add_co_ci_u32 s43, s46, 0
	s_wait_alu 0xfffe
	s_add_nc_u64 s[42:43], s[12:13], s[42:43]
	s_wait_alu 0xfffe
	s_add_co_u32 s0, s40, s42
	s_cselect_b32 s12, -1, 0
	s_wait_alu 0xfffe
	v_mul_hi_u32 v14, v12, s0
	s_cmp_lg_u32 s12, 0
	v_mad_co_u64_u32 v[5:6], null, v13, s0, 0
	s_add_co_ci_u32 s12, s41, s43
	s_wait_alu 0xfffe
	v_mad_co_u64_u32 v[3:4], null, v12, s12, 0
	v_mad_co_u64_u32 v[10:11], null, v13, s12, 0
	s_delay_alu instid0(VALU_DEP_2) | instskip(SKIP_1) | instid1(VALU_DEP_3)
	v_add_co_u32 v3, vcc_lo, v14, v3
	s_wait_alu 0xfffd
	v_add_co_ci_u32_e64 v4, null, 0, v4, vcc_lo
	s_delay_alu instid0(VALU_DEP_2) | instskip(SKIP_1) | instid1(VALU_DEP_2)
	v_add_co_u32 v3, vcc_lo, v3, v5
	s_wait_alu 0xfffd
	v_add_co_ci_u32_e32 v3, vcc_lo, v4, v6, vcc_lo
	s_wait_alu 0xfffd
	v_add_co_ci_u32_e32 v4, vcc_lo, 0, v11, vcc_lo
	s_delay_alu instid0(VALU_DEP_2) | instskip(SKIP_1) | instid1(VALU_DEP_2)
	v_add_co_u32 v5, vcc_lo, v3, v10
	s_wait_alu 0xfffd
	v_add_co_ci_u32_e64 v6, null, 0, v4, vcc_lo
	s_delay_alu instid0(VALU_DEP_2) | instskip(SKIP_1) | instid1(VALU_DEP_3)
	v_mul_lo_u32 v10, s39, v5
	v_mad_co_u64_u32 v[3:4], null, s38, v5, 0
	v_mul_lo_u32 v11, s38, v6
	s_delay_alu instid0(VALU_DEP_2) | instskip(NEXT) | instid1(VALU_DEP_2)
	v_sub_co_u32 v3, vcc_lo, v12, v3
	v_add3_u32 v4, v4, v11, v10
	v_add_co_u32 v11, s0, v5, 2
	s_wait_alu 0xf1ff
	v_add_co_ci_u32_e64 v12, null, 0, v6, s0
	s_delay_alu instid0(VALU_DEP_3) | instskip(SKIP_3) | instid1(VALU_DEP_3)
	v_sub_nc_u32_e32 v10, v13, v4
	v_sub_co_u32 v14, s0, v3, s38
	s_wait_alu 0xfffd
	v_sub_co_ci_u32_e64 v4, null, v13, v4, vcc_lo
	v_subrev_co_ci_u32_e64 v10, null, s39, v10, vcc_lo
	s_delay_alu instid0(VALU_DEP_3) | instskip(SKIP_1) | instid1(VALU_DEP_2)
	v_cmp_le_u32_e32 vcc_lo, s38, v14
	s_wait_alu 0xf1ff
	v_subrev_co_ci_u32_e64 v10, null, 0, v10, s0
	s_wait_alu 0xfffd
	v_cndmask_b32_e64 v13, 0, -1, vcc_lo
	s_delay_alu instid0(VALU_DEP_2)
	v_cmp_le_u32_e32 vcc_lo, s39, v10
	s_wait_alu 0xfffd
	v_cndmask_b32_e64 v14, 0, -1, vcc_lo
	v_cmp_le_u32_e32 vcc_lo, s38, v3
	s_wait_alu 0xfffd
	v_cndmask_b32_e64 v3, 0, -1, vcc_lo
	;; [unrolled: 3-line block ×3, first 2 shown]
	v_cmp_eq_u32_e32 vcc_lo, s39, v10
	s_wait_alu 0xfffd
	v_cndmask_b32_e32 v10, v14, v13, vcc_lo
	v_add_co_u32 v13, vcc_lo, v5, 1
	s_wait_alu 0xfffd
	v_add_co_ci_u32_e64 v14, null, 0, v6, vcc_lo
	v_cmp_eq_u32_e32 vcc_lo, s39, v4
	s_wait_alu 0xfffd
	v_cndmask_b32_e32 v3, v15, v3, vcc_lo
	v_cmp_ne_u32_e32 vcc_lo, 0, v10
	s_delay_alu instid0(VALU_DEP_2) | instskip(SKIP_3) | instid1(VALU_DEP_1)
	v_cmp_ne_u32_e64 s0, 0, v3
	s_wait_alu 0xfffd
	v_dual_cndmask_b32 v4, v14, v12 :: v_dual_cndmask_b32 v3, v13, v11
	s_wait_alu 0xf1ff
	v_cndmask_b32_e64 v4, v6, v4, s0
	s_delay_alu instid0(VALU_DEP_2) | instskip(NEXT) | instid1(VALU_DEP_2)
	v_cndmask_b32_e64 v3, v5, v3, s0
	v_xor_b32_e32 v4, v4, v7
	s_delay_alu instid0(VALU_DEP_2) | instskip(NEXT) | instid1(VALU_DEP_1)
	v_xor_b32_e32 v3, v3, v7
	v_sub_co_u32 v6, vcc_lo, v3, v7
	s_wait_alu 0xfffd
	s_delay_alu instid0(VALU_DEP_3)
	v_sub_co_ci_u32_e64 v7, null, v4, v7, vcc_lo
.LBB82_9:                               ;   in Loop: Header=BB82_3 Depth=1
	s_wait_alu 0xfffe
	s_and_not1_saveexec_b32 s0, s35
	s_cbranch_execz .LBB82_11
; %bb.10:                               ;   in Loop: Header=BB82_3 Depth=1
	s_sub_co_i32 s12, 0, s10
	v_mov_b32_e32 v7, v2
	s_wait_alu 0xfffe
	v_mul_lo_u32 v3, s12, v19
	s_delay_alu instid0(VALU_DEP_1) | instskip(NEXT) | instid1(VALU_DEP_1)
	v_mul_hi_u32 v3, v19, v3
	v_add_nc_u32_e32 v3, v19, v3
	s_delay_alu instid0(VALU_DEP_1) | instskip(NEXT) | instid1(VALU_DEP_1)
	v_mul_hi_u32 v3, v8, v3
	v_mul_lo_u32 v4, v3, s10
	v_add_nc_u32_e32 v5, 1, v3
	s_delay_alu instid0(VALU_DEP_2) | instskip(NEXT) | instid1(VALU_DEP_1)
	v_sub_nc_u32_e32 v4, v8, v4
	v_subrev_nc_u32_e32 v6, s10, v4
	v_cmp_le_u32_e32 vcc_lo, s10, v4
	s_wait_alu 0xfffd
	s_delay_alu instid0(VALU_DEP_2) | instskip(NEXT) | instid1(VALU_DEP_1)
	v_dual_cndmask_b32 v4, v4, v6 :: v_dual_cndmask_b32 v3, v3, v5
	v_cmp_le_u32_e32 vcc_lo, s10, v4
	s_delay_alu instid0(VALU_DEP_2) | instskip(SKIP_1) | instid1(VALU_DEP_1)
	v_add_nc_u32_e32 v5, 1, v3
	s_wait_alu 0xfffd
	v_cndmask_b32_e32 v6, v3, v5, vcc_lo
.LBB82_11:                              ;   in Loop: Header=BB82_3 Depth=1
	s_wait_alu 0xfffe
	s_or_b32 exec_lo, exec_lo, s0
	v_mul_lo_u32 v5, v9, s2
	v_mul_lo_u32 v12, v8, s3
	v_mad_co_u64_u32 v[3:4], null, v8, s2, 0
	v_mul_lo_u32 v13, v7, s10
	v_mul_lo_u32 v14, v6, s11
	v_mad_co_u64_u32 v[10:11], null, v6, s10, 0
	s_mov_b32 s35, exec_lo
	v_add3_u32 v5, v4, v12, v5
	v_sub_co_u32 v4, vcc_lo, v0, v3
	v_add3_u32 v11, v11, v14, v13
	s_wait_alu 0xfffd
	s_delay_alu instid0(VALU_DEP_3) | instskip(SKIP_3) | instid1(VALU_DEP_2)
	v_sub_co_ci_u32_e64 v5, null, v1, v5, vcc_lo
	v_sub_co_u32 v3, vcc_lo, v8, v10
	s_wait_alu 0xfffd
	v_sub_co_ci_u32_e64 v8, null, v9, v11, vcc_lo
	v_sub_co_u32 v9, vcc_lo, v4, v3
	s_wait_alu 0xfffd
	s_delay_alu instid0(VALU_DEP_2) | instskip(NEXT) | instid1(VALU_DEP_1)
	v_sub_co_ci_u32_e64 v10, null, v5, v8, vcc_lo
	v_cmpx_gt_i64_e64 s[4:5], v[9:10]
	s_cbranch_execz .LBB82_2
; %bb.12:                               ;   in Loop: Header=BB82_3 Depth=1
	s_load_b128 s[36:39], s[20:21], 0xc0
	s_and_not1_b32 vcc_lo, exec_lo, s60
	s_wait_kmcnt 0x0
	v_mul_lo_u32 v11, s39, v4
	v_mul_lo_u32 v12, s38, v5
	v_mad_co_u64_u32 v[9:10], null, s38, v4, 0
	s_delay_alu instid0(VALU_DEP_1) | instskip(SKIP_1) | instid1(VALU_DEP_2)
	v_add3_u32 v10, v10, v12, v11
	v_mul_lo_u32 v11, s36, v8
	v_mad_co_u64_u32 v[8:9], null, s36, v3, v[9:10]
	v_mul_lo_u32 v3, s37, v3
	s_delay_alu instid0(VALU_DEP_1)
	v_add3_u32 v9, v3, v9, v11
	s_wait_alu 0xfffe
	s_cbranch_vccnz .LBB82_38
; %bb.13:                               ;   in Loop: Header=BB82_3 Depth=1
	s_mov_b64 s[36:37], s[24:25]
	s_mov_b64 s[38:39], s[28:29]
	s_and_not1_b32 vcc_lo, exec_lo, s61
	s_mov_b64 s[42:43], s[26:27]
	s_mov_b64 s[40:41], s[18:19]
	s_wait_alu 0xfffe
	s_cbranch_vccz .LBB82_17
.LBB82_14:                              ;   in Loop: Header=BB82_3 Depth=1
	s_and_not1_b32 vcc_lo, exec_lo, s62
	s_wait_alu 0xfffe
	s_cbranch_vccnz .LBB82_38
; %bb.15:                               ;   in Loop: Header=BB82_3 Depth=1
	s_lshl_b64 s[38:39], s[40:41], 3
	s_add_nc_u64 s[40:41], s[40:41], 1
	s_wait_alu 0xfffe
	s_add_nc_u64 s[36:37], s[14:15], s[38:39]
	s_add_nc_u64 s[38:39], s[30:31], s[38:39]
	s_branch .LBB82_22
.LBB82_16:                              ;   in Loop: Header=BB82_17 Depth=2
	s_wait_alu 0xfffe
	s_or_b32 exec_lo, exec_lo, s0
	s_load_b64 s[46:47], s[42:43], 0x0
	v_mul_lo_u32 v3, v11, s44
	v_mul_lo_u32 v14, v10, s45
	v_mad_co_u64_u32 v[12:13], null, v10, s44, 0
	s_add_nc_u64 s[36:37], s[36:37], -1
	s_add_nc_u64 s[40:41], s[40:41], -1
	s_add_nc_u64 s[42:43], s[42:43], -8
	s_wait_alu 0xfffe
	s_cmp_lg_u64 s[36:37], 0
	s_add_nc_u64 s[38:39], s[38:39], -8
	v_add3_u32 v3, v13, v14, v3
	v_sub_co_u32 v6, vcc_lo, v6, v12
	s_wait_alu 0xfffd
	s_delay_alu instid0(VALU_DEP_2) | instskip(SKIP_1) | instid1(VALU_DEP_2)
	v_sub_co_ci_u32_e64 v3, null, v7, v3, vcc_lo
	s_wait_kmcnt 0x0
	v_mul_lo_u32 v7, s47, v6
	s_delay_alu instid0(VALU_DEP_2) | instskip(SKIP_1) | instid1(VALU_DEP_1)
	v_mul_lo_u32 v3, s46, v3
	v_mad_co_u64_u32 v[8:9], null, s46, v6, v[8:9]
	v_add3_u32 v9, v7, v9, v3
	v_dual_mov_b32 v6, v10 :: v_dual_mov_b32 v7, v11
	s_cbranch_scc0 .LBB82_14
.LBB82_17:                              ;   Parent Loop BB82_3 Depth=1
                                        ; =>  This Inner Loop Header: Depth=2
	s_load_b64 s[44:45], s[38:39], 0x0
                                        ; implicit-def: $vgpr10_vgpr11
	s_mov_b32 s0, exec_lo
	s_wait_kmcnt 0x0
	v_or_b32_e32 v3, s45, v7
	s_delay_alu instid0(VALU_DEP_1)
	v_cmpx_ne_u64_e32 0, v[2:3]
	s_wait_alu 0xfffe
	s_xor_b32 s50, exec_lo, s0
	s_cbranch_execz .LBB82_19
; %bb.18:                               ;   in Loop: Header=BB82_17 Depth=2
	s_ashr_i32 s46, s45, 31
	v_ashrrev_i32_e32 v3, 31, v7
	s_wait_alu 0xfffe
	s_mov_b32 s47, s46
	s_wait_alu 0xfffe
	s_add_nc_u64 s[48:49], s[44:45], s[46:47]
	v_add_co_u32 v10, vcc_lo, v6, v3
	s_wait_alu 0xfffe
	s_xor_b64 s[48:49], s[48:49], s[46:47]
	s_wait_alu 0xfffd
	v_add_co_ci_u32_e64 v11, null, v7, v3, vcc_lo
	s_wait_alu 0xfffe
	s_cvt_f32_u32 s0, s48
	s_cvt_f32_u32 s12, s49
	s_sub_nc_u64 s[54:55], 0, s[48:49]
	v_xor_b32_e32 v16, v10, v3
	v_xor_b32_e32 v17, v11, v3
	s_wait_alu 0xfffe
	s_fmamk_f32 s0, s12, 0x4f800000, s0
	v_xor_b32_e32 v3, s46, v3
	s_wait_alu 0xfffe
	s_delay_alu instid0(SALU_CYCLE_1) | instskip(NEXT) | instid1(TRANS32_DEP_1)
	v_s_rcp_f32 s0, s0
	s_mul_f32 s0, s0, 0x5f7ffffc
	s_wait_alu 0xfffe
	s_delay_alu instid0(SALU_CYCLE_2) | instskip(SKIP_1) | instid1(SALU_CYCLE_2)
	s_mul_f32 s12, s0, 0x2f800000
	s_wait_alu 0xfffe
	s_trunc_f32 s12, s12
	s_wait_alu 0xfffe
	s_delay_alu instid0(SALU_CYCLE_2) | instskip(SKIP_2) | instid1(SALU_CYCLE_1)
	s_fmamk_f32 s0, s12, 0xcf800000, s0
	s_cvt_u32_f32 s53, s12
	s_wait_alu 0xfffe
	s_cvt_u32_f32 s52, s0
	s_wait_alu 0xfffe
	s_delay_alu instid0(SALU_CYCLE_2)
	s_mul_u64 s[56:57], s[54:55], s[52:53]
	s_wait_alu 0xfffe
	s_mul_hi_u32 s59, s52, s57
	s_mul_i32 s58, s52, s57
	s_mul_hi_u32 s12, s52, s56
	s_mul_i32 s47, s53, s56
	s_wait_alu 0xfffe
	s_add_nc_u64 s[58:59], s[12:13], s[58:59]
	s_mul_hi_u32 s0, s53, s56
	s_mul_hi_u32 s51, s53, s57
	s_wait_alu 0xfffe
	s_add_co_u32 s12, s58, s47
	s_add_co_ci_u32 s12, s59, s0
	s_mul_i32 s56, s53, s57
	s_add_co_ci_u32 s57, s51, 0
	s_wait_alu 0xfffe
	s_add_nc_u64 s[56:57], s[12:13], s[56:57]
	s_wait_alu 0xfffe
	s_add_co_u32 s52, s52, s56
	s_cselect_b32 s0, -1, 0
	s_wait_alu 0xfffe
	s_cmp_lg_u32 s0, 0
	s_add_co_ci_u32 s53, s53, s57
	s_wait_alu 0xfffe
	s_mul_u64 s[54:55], s[54:55], s[52:53]
	s_wait_alu 0xfffe
	s_mul_hi_u32 s57, s52, s55
	s_mul_i32 s56, s52, s55
	s_mul_hi_u32 s12, s52, s54
	s_mul_i32 s47, s53, s54
	s_wait_alu 0xfffe
	s_add_nc_u64 s[56:57], s[12:13], s[56:57]
	s_mul_hi_u32 s0, s53, s54
	s_mul_hi_u32 s51, s53, s55
	s_wait_alu 0xfffe
	s_add_co_u32 s12, s56, s47
	s_add_co_ci_u32 s12, s57, s0
	s_mul_i32 s54, s53, s55
	s_add_co_ci_u32 s55, s51, 0
	s_wait_alu 0xfffe
	s_add_nc_u64 s[54:55], s[12:13], s[54:55]
	s_wait_alu 0xfffe
	s_add_co_u32 s0, s52, s54
	s_cselect_b32 s12, -1, 0
	s_wait_alu 0xfffe
	v_mul_hi_u32 v20, v16, s0
	s_cmp_lg_u32 s12, 0
	v_mad_co_u64_u32 v[12:13], null, v17, s0, 0
	s_add_co_ci_u32 s12, s53, s55
	s_wait_alu 0xfffe
	v_mad_co_u64_u32 v[10:11], null, v16, s12, 0
	v_mad_co_u64_u32 v[14:15], null, v17, s12, 0
	s_delay_alu instid0(VALU_DEP_2) | instskip(SKIP_1) | instid1(VALU_DEP_3)
	v_add_co_u32 v10, vcc_lo, v20, v10
	s_wait_alu 0xfffd
	v_add_co_ci_u32_e64 v11, null, 0, v11, vcc_lo
	s_delay_alu instid0(VALU_DEP_2) | instskip(SKIP_1) | instid1(VALU_DEP_2)
	v_add_co_u32 v10, vcc_lo, v10, v12
	s_wait_alu 0xfffd
	v_add_co_ci_u32_e32 v10, vcc_lo, v11, v13, vcc_lo
	s_wait_alu 0xfffd
	v_add_co_ci_u32_e32 v11, vcc_lo, 0, v15, vcc_lo
	s_delay_alu instid0(VALU_DEP_2) | instskip(SKIP_1) | instid1(VALU_DEP_2)
	v_add_co_u32 v12, vcc_lo, v10, v14
	s_wait_alu 0xfffd
	v_add_co_ci_u32_e64 v13, null, 0, v11, vcc_lo
	s_delay_alu instid0(VALU_DEP_2) | instskip(SKIP_1) | instid1(VALU_DEP_3)
	v_mul_lo_u32 v14, s49, v12
	v_mad_co_u64_u32 v[10:11], null, s48, v12, 0
	v_mul_lo_u32 v15, s48, v13
	s_delay_alu instid0(VALU_DEP_2) | instskip(NEXT) | instid1(VALU_DEP_2)
	v_sub_co_u32 v10, vcc_lo, v16, v10
	v_add3_u32 v11, v11, v15, v14
	v_add_co_u32 v15, s0, v12, 2
	s_wait_alu 0xf1ff
	v_add_co_ci_u32_e64 v16, null, 0, v13, s0
	s_delay_alu instid0(VALU_DEP_3) | instskip(SKIP_3) | instid1(VALU_DEP_3)
	v_sub_nc_u32_e32 v14, v17, v11
	v_sub_co_u32 v20, s0, v10, s48
	s_wait_alu 0xfffd
	v_sub_co_ci_u32_e64 v11, null, v17, v11, vcc_lo
	v_subrev_co_ci_u32_e64 v14, null, s49, v14, vcc_lo
	s_delay_alu instid0(VALU_DEP_3) | instskip(SKIP_1) | instid1(VALU_DEP_2)
	v_cmp_le_u32_e32 vcc_lo, s48, v20
	s_wait_alu 0xf1ff
	v_subrev_co_ci_u32_e64 v14, null, 0, v14, s0
	s_wait_alu 0xfffd
	v_cndmask_b32_e64 v17, 0, -1, vcc_lo
	s_delay_alu instid0(VALU_DEP_2)
	v_cmp_le_u32_e32 vcc_lo, s49, v14
	s_wait_alu 0xfffd
	v_cndmask_b32_e64 v20, 0, -1, vcc_lo
	v_cmp_le_u32_e32 vcc_lo, s48, v10
	s_wait_alu 0xfffd
	v_cndmask_b32_e64 v10, 0, -1, vcc_lo
	;; [unrolled: 3-line block ×3, first 2 shown]
	v_cmp_eq_u32_e32 vcc_lo, s49, v14
	s_wait_alu 0xfffd
	v_cndmask_b32_e32 v14, v20, v17, vcc_lo
	v_add_co_u32 v17, vcc_lo, v12, 1
	s_wait_alu 0xfffd
	v_add_co_ci_u32_e64 v20, null, 0, v13, vcc_lo
	v_cmp_eq_u32_e32 vcc_lo, s49, v11
	s_wait_alu 0xfffd
	v_cndmask_b32_e32 v10, v21, v10, vcc_lo
	v_cmp_ne_u32_e32 vcc_lo, 0, v14
	s_wait_alu 0xfffd
	v_cndmask_b32_e32 v11, v20, v16, vcc_lo
	s_delay_alu instid0(VALU_DEP_3) | instskip(SKIP_2) | instid1(VALU_DEP_2)
	v_cmp_ne_u32_e64 s0, 0, v10
	v_cndmask_b32_e32 v10, v17, v15, vcc_lo
	s_wait_alu 0xf1ff
	v_cndmask_b32_e64 v11, v13, v11, s0
	s_delay_alu instid0(VALU_DEP_2) | instskip(NEXT) | instid1(VALU_DEP_2)
	v_cndmask_b32_e64 v10, v12, v10, s0
	v_xor_b32_e32 v11, v11, v3
	s_delay_alu instid0(VALU_DEP_2) | instskip(NEXT) | instid1(VALU_DEP_1)
	v_xor_b32_e32 v10, v10, v3
	v_sub_co_u32 v10, vcc_lo, v10, v3
	s_wait_alu 0xfffd
	s_delay_alu instid0(VALU_DEP_3)
	v_sub_co_ci_u32_e64 v11, null, v11, v3, vcc_lo
.LBB82_19:                              ;   in Loop: Header=BB82_17 Depth=2
	s_wait_alu 0xfffe
	s_and_not1_saveexec_b32 s0, s50
	s_cbranch_execz .LBB82_16
; %bb.20:                               ;   in Loop: Header=BB82_17 Depth=2
	v_cvt_f32_u32_e32 v3, s44
	s_sub_co_i32 s12, 0, s44
	s_delay_alu instid0(VALU_DEP_1) | instskip(NEXT) | instid1(TRANS32_DEP_1)
	v_rcp_iflag_f32_e32 v3, v3
	v_mul_f32_e32 v3, 0x4f7ffffe, v3
	s_delay_alu instid0(VALU_DEP_1) | instskip(SKIP_1) | instid1(VALU_DEP_1)
	v_cvt_u32_f32_e32 v3, v3
	s_wait_alu 0xfffe
	v_mul_lo_u32 v10, s12, v3
	s_delay_alu instid0(VALU_DEP_1) | instskip(NEXT) | instid1(VALU_DEP_1)
	v_mul_hi_u32 v10, v3, v10
	v_add_nc_u32_e32 v3, v3, v10
	s_delay_alu instid0(VALU_DEP_1) | instskip(NEXT) | instid1(VALU_DEP_1)
	v_mul_hi_u32 v3, v6, v3
	v_mul_lo_u32 v10, v3, s44
	v_add_nc_u32_e32 v11, 1, v3
	s_delay_alu instid0(VALU_DEP_2) | instskip(NEXT) | instid1(VALU_DEP_1)
	v_sub_nc_u32_e32 v10, v6, v10
	v_subrev_nc_u32_e32 v12, s44, v10
	v_cmp_le_u32_e32 vcc_lo, s44, v10
	s_wait_alu 0xfffd
	s_delay_alu instid0(VALU_DEP_2) | instskip(NEXT) | instid1(VALU_DEP_1)
	v_dual_cndmask_b32 v10, v10, v12 :: v_dual_cndmask_b32 v3, v3, v11
	v_cmp_le_u32_e32 vcc_lo, s44, v10
	s_delay_alu instid0(VALU_DEP_2) | instskip(SKIP_1) | instid1(VALU_DEP_1)
	v_add_nc_u32_e32 v11, 1, v3
	s_wait_alu 0xfffd
	v_dual_cndmask_b32 v10, v3, v11 :: v_dual_mov_b32 v11, v2
	s_branch .LBB82_16
.LBB82_21:                              ;   in Loop: Header=BB82_22 Depth=2
	s_wait_alu 0xfffe
	s_or_b32 exec_lo, exec_lo, s0
	v_mul_lo_u32 v3, v11, s42
	v_mul_lo_u32 v24, v10, s43
	v_mad_co_u64_u32 v[20:21], null, v10, s42, 0
	v_mul_lo_u32 v25, v13, s46
	v_mul_lo_u32 v26, v12, s47
	v_mad_co_u64_u32 v[22:23], null, v12, s46, 0
	s_load_b64 s[42:43], s[36:37], 0x0
	s_add_nc_u64 s[40:41], s[40:41], -4
	v_add3_u32 v3, v21, v24, v3
	v_sub_co_u32 v6, vcc_lo, v6, v20
	v_mul_lo_u32 v20, v15, s50
	v_add3_u32 v21, v23, v26, v25
	s_wait_alu 0xfffd
	v_sub_co_ci_u32_e64 v3, null, v7, v3, vcc_lo
	v_mul_lo_u32 v23, s45, v6
	v_mad_co_u64_u32 v[6:7], null, s44, v6, v[8:9]
	s_delay_alu instid0(VALU_DEP_3)
	v_mul_lo_u32 v3, s44, v3
	v_mul_lo_u32 v24, v14, s51
	v_mad_co_u64_u32 v[8:9], null, v14, s50, 0
	v_sub_co_u32 v10, vcc_lo, v10, v22
	s_wait_alu 0xfffd
	v_sub_co_ci_u32_e64 v11, null, v11, v21, vcc_lo
	v_add3_u32 v7, v23, v7, v3
	s_add_nc_u64 s[36:37], s[36:37], s[16:17]
	s_delay_alu instid0(VALU_DEP_4)
	v_add3_u32 v3, v9, v24, v20
	v_mul_lo_u32 v20, s49, v10
	v_mul_lo_u32 v11, s48, v11
	v_mad_co_u64_u32 v[6:7], null, s48, v10, v[6:7]
	v_sub_co_u32 v10, vcc_lo, v12, v8
	s_wait_alu 0xfffd
	v_sub_co_ci_u32_e64 v3, null, v13, v3, vcc_lo
	v_mul_lo_u32 v12, v17, s54
	v_mul_lo_u32 v13, v16, s55
	v_mad_co_u64_u32 v[8:9], null, v16, s54, 0
	v_add3_u32 v7, v20, v7, v11
	v_mul_lo_u32 v3, s52, v3
	s_cmp_eq_u64 s[40:41], 0
	s_add_nc_u64 s[38:39], s[38:39], s[16:17]
	s_delay_alu instid0(VALU_DEP_2) | instskip(SKIP_4) | instid1(VALU_DEP_2)
	v_mad_co_u64_u32 v[6:7], null, s52, v10, v[6:7]
	v_mul_lo_u32 v10, s53, v10
	v_add3_u32 v9, v9, v13, v12
	v_sub_co_u32 v8, vcc_lo, v14, v8
	s_wait_alu 0xfffd
	v_sub_co_ci_u32_e64 v9, null, v15, v9, vcc_lo
	s_delay_alu instid0(VALU_DEP_4) | instskip(SKIP_2) | instid1(VALU_DEP_3)
	v_add3_u32 v7, v10, v7, v3
	s_wait_kmcnt 0x0
	v_mul_lo_u32 v10, s43, v8
	v_mul_lo_u32 v3, s42, v9
	s_delay_alu instid0(VALU_DEP_3) | instskip(SKIP_1) | instid1(VALU_DEP_2)
	v_mad_co_u64_u32 v[8:9], null, s42, v8, v[6:7]
	v_dual_mov_b32 v6, v16 :: v_dual_mov_b32 v7, v17
	v_add3_u32 v9, v10, v9, v3
	s_cbranch_scc1 .LBB82_38
.LBB82_22:                              ;   Parent Loop BB82_3 Depth=1
                                        ; =>  This Inner Loop Header: Depth=2
	s_load_b64 s[42:43], s[38:39], 0x18
                                        ; implicit-def: $vgpr10_vgpr11
	s_mov_b32 s0, exec_lo
	s_wait_kmcnt 0x0
	v_or_b32_e32 v3, s43, v7
	s_delay_alu instid0(VALU_DEP_1)
	v_cmpx_ne_u64_e32 0, v[2:3]
	s_wait_alu 0xfffe
	s_xor_b32 s48, exec_lo, s0
	s_cbranch_execz .LBB82_24
; %bb.23:                               ;   in Loop: Header=BB82_22 Depth=2
	s_ashr_i32 s44, s43, 31
	v_ashrrev_i32_e32 v3, 31, v7
	s_wait_alu 0xfffe
	s_mov_b32 s45, s44
	s_wait_alu 0xfffe
	s_add_nc_u64 s[46:47], s[42:43], s[44:45]
	v_add_co_u32 v10, vcc_lo, v6, v3
	s_wait_alu 0xfffe
	s_xor_b64 s[46:47], s[46:47], s[44:45]
	s_wait_alu 0xfffd
	v_add_co_ci_u32_e64 v11, null, v7, v3, vcc_lo
	s_wait_alu 0xfffe
	s_cvt_f32_u32 s0, s46
	s_cvt_f32_u32 s12, s47
	s_sub_nc_u64 s[52:53], 0, s[46:47]
	v_xor_b32_e32 v16, v10, v3
	v_xor_b32_e32 v17, v11, v3
	s_wait_alu 0xfffe
	s_fmamk_f32 s0, s12, 0x4f800000, s0
	v_xor_b32_e32 v3, s44, v3
	s_wait_alu 0xfffe
	s_delay_alu instid0(SALU_CYCLE_1) | instskip(NEXT) | instid1(TRANS32_DEP_1)
	v_s_rcp_f32 s0, s0
	s_mul_f32 s0, s0, 0x5f7ffffc
	s_wait_alu 0xfffe
	s_delay_alu instid0(SALU_CYCLE_2) | instskip(SKIP_1) | instid1(SALU_CYCLE_2)
	s_mul_f32 s12, s0, 0x2f800000
	s_wait_alu 0xfffe
	s_trunc_f32 s12, s12
	s_wait_alu 0xfffe
	s_delay_alu instid0(SALU_CYCLE_2) | instskip(SKIP_2) | instid1(SALU_CYCLE_1)
	s_fmamk_f32 s0, s12, 0xcf800000, s0
	s_cvt_u32_f32 s51, s12
	s_wait_alu 0xfffe
	s_cvt_u32_f32 s50, s0
	s_wait_alu 0xfffe
	s_delay_alu instid0(SALU_CYCLE_2)
	s_mul_u64 s[54:55], s[52:53], s[50:51]
	s_wait_alu 0xfffe
	s_mul_hi_u32 s57, s50, s55
	s_mul_i32 s56, s50, s55
	s_mul_hi_u32 s12, s50, s54
	s_mul_i32 s45, s51, s54
	s_wait_alu 0xfffe
	s_add_nc_u64 s[56:57], s[12:13], s[56:57]
	s_mul_hi_u32 s0, s51, s54
	s_mul_hi_u32 s49, s51, s55
	s_wait_alu 0xfffe
	s_add_co_u32 s12, s56, s45
	s_add_co_ci_u32 s12, s57, s0
	s_mul_i32 s54, s51, s55
	s_add_co_ci_u32 s55, s49, 0
	s_wait_alu 0xfffe
	s_add_nc_u64 s[54:55], s[12:13], s[54:55]
	s_wait_alu 0xfffe
	s_add_co_u32 s50, s50, s54
	s_cselect_b32 s0, -1, 0
	s_wait_alu 0xfffe
	s_cmp_lg_u32 s0, 0
	s_add_co_ci_u32 s51, s51, s55
	s_wait_alu 0xfffe
	s_mul_u64 s[52:53], s[52:53], s[50:51]
	s_wait_alu 0xfffe
	s_mul_hi_u32 s55, s50, s53
	s_mul_i32 s54, s50, s53
	s_mul_hi_u32 s12, s50, s52
	s_mul_i32 s45, s51, s52
	s_wait_alu 0xfffe
	s_add_nc_u64 s[54:55], s[12:13], s[54:55]
	s_mul_hi_u32 s0, s51, s52
	s_mul_hi_u32 s49, s51, s53
	s_wait_alu 0xfffe
	s_add_co_u32 s12, s54, s45
	s_add_co_ci_u32 s12, s55, s0
	s_mul_i32 s52, s51, s53
	s_add_co_ci_u32 s53, s49, 0
	s_wait_alu 0xfffe
	s_add_nc_u64 s[52:53], s[12:13], s[52:53]
	s_wait_alu 0xfffe
	s_add_co_u32 s0, s50, s52
	s_cselect_b32 s12, -1, 0
	s_wait_alu 0xfffe
	v_mul_hi_u32 v20, v16, s0
	s_cmp_lg_u32 s12, 0
	v_mad_co_u64_u32 v[12:13], null, v17, s0, 0
	s_add_co_ci_u32 s12, s51, s53
	s_wait_alu 0xfffe
	v_mad_co_u64_u32 v[10:11], null, v16, s12, 0
	v_mad_co_u64_u32 v[14:15], null, v17, s12, 0
	s_delay_alu instid0(VALU_DEP_2) | instskip(SKIP_1) | instid1(VALU_DEP_3)
	v_add_co_u32 v10, vcc_lo, v20, v10
	s_wait_alu 0xfffd
	v_add_co_ci_u32_e64 v11, null, 0, v11, vcc_lo
	s_delay_alu instid0(VALU_DEP_2) | instskip(SKIP_1) | instid1(VALU_DEP_2)
	v_add_co_u32 v10, vcc_lo, v10, v12
	s_wait_alu 0xfffd
	v_add_co_ci_u32_e32 v10, vcc_lo, v11, v13, vcc_lo
	s_wait_alu 0xfffd
	v_add_co_ci_u32_e32 v11, vcc_lo, 0, v15, vcc_lo
	s_delay_alu instid0(VALU_DEP_2) | instskip(SKIP_1) | instid1(VALU_DEP_2)
	v_add_co_u32 v12, vcc_lo, v10, v14
	s_wait_alu 0xfffd
	v_add_co_ci_u32_e64 v13, null, 0, v11, vcc_lo
	s_delay_alu instid0(VALU_DEP_2) | instskip(SKIP_1) | instid1(VALU_DEP_3)
	v_mul_lo_u32 v14, s47, v12
	v_mad_co_u64_u32 v[10:11], null, s46, v12, 0
	v_mul_lo_u32 v15, s46, v13
	s_delay_alu instid0(VALU_DEP_2) | instskip(NEXT) | instid1(VALU_DEP_2)
	v_sub_co_u32 v10, vcc_lo, v16, v10
	v_add3_u32 v11, v11, v15, v14
	v_add_co_u32 v15, s0, v12, 2
	s_wait_alu 0xf1ff
	v_add_co_ci_u32_e64 v16, null, 0, v13, s0
	s_delay_alu instid0(VALU_DEP_3) | instskip(SKIP_3) | instid1(VALU_DEP_3)
	v_sub_nc_u32_e32 v14, v17, v11
	v_sub_co_u32 v20, s0, v10, s46
	s_wait_alu 0xfffd
	v_sub_co_ci_u32_e64 v11, null, v17, v11, vcc_lo
	v_subrev_co_ci_u32_e64 v14, null, s47, v14, vcc_lo
	s_delay_alu instid0(VALU_DEP_3) | instskip(SKIP_1) | instid1(VALU_DEP_2)
	v_cmp_le_u32_e32 vcc_lo, s46, v20
	s_wait_alu 0xf1ff
	v_subrev_co_ci_u32_e64 v14, null, 0, v14, s0
	s_wait_alu 0xfffd
	v_cndmask_b32_e64 v17, 0, -1, vcc_lo
	s_delay_alu instid0(VALU_DEP_2)
	v_cmp_le_u32_e32 vcc_lo, s47, v14
	s_wait_alu 0xfffd
	v_cndmask_b32_e64 v20, 0, -1, vcc_lo
	v_cmp_le_u32_e32 vcc_lo, s46, v10
	s_wait_alu 0xfffd
	v_cndmask_b32_e64 v10, 0, -1, vcc_lo
	;; [unrolled: 3-line block ×3, first 2 shown]
	v_cmp_eq_u32_e32 vcc_lo, s47, v14
	s_wait_alu 0xfffd
	v_cndmask_b32_e32 v14, v20, v17, vcc_lo
	v_add_co_u32 v17, vcc_lo, v12, 1
	s_wait_alu 0xfffd
	v_add_co_ci_u32_e64 v20, null, 0, v13, vcc_lo
	v_cmp_eq_u32_e32 vcc_lo, s47, v11
	s_wait_alu 0xfffd
	v_cndmask_b32_e32 v10, v21, v10, vcc_lo
	v_cmp_ne_u32_e32 vcc_lo, 0, v14
	s_wait_alu 0xfffd
	v_cndmask_b32_e32 v11, v20, v16, vcc_lo
	s_delay_alu instid0(VALU_DEP_3) | instskip(SKIP_2) | instid1(VALU_DEP_2)
	v_cmp_ne_u32_e64 s0, 0, v10
	v_cndmask_b32_e32 v10, v17, v15, vcc_lo
	s_wait_alu 0xf1ff
	v_cndmask_b32_e64 v11, v13, v11, s0
	s_delay_alu instid0(VALU_DEP_2) | instskip(NEXT) | instid1(VALU_DEP_2)
	v_cndmask_b32_e64 v10, v12, v10, s0
	v_xor_b32_e32 v11, v11, v3
	s_delay_alu instid0(VALU_DEP_2) | instskip(NEXT) | instid1(VALU_DEP_1)
	v_xor_b32_e32 v10, v10, v3
	v_sub_co_u32 v10, vcc_lo, v10, v3
	s_wait_alu 0xfffd
	s_delay_alu instid0(VALU_DEP_3)
	v_sub_co_ci_u32_e64 v11, null, v11, v3, vcc_lo
.LBB82_24:                              ;   in Loop: Header=BB82_22 Depth=2
	s_wait_alu 0xfffe
	s_and_not1_saveexec_b32 s0, s48
	s_cbranch_execz .LBB82_26
; %bb.25:                               ;   in Loop: Header=BB82_22 Depth=2
	v_cvt_f32_u32_e32 v3, s42
	s_sub_co_i32 s12, 0, s42
	s_delay_alu instid0(VALU_DEP_1) | instskip(NEXT) | instid1(TRANS32_DEP_1)
	v_rcp_iflag_f32_e32 v3, v3
	v_mul_f32_e32 v3, 0x4f7ffffe, v3
	s_delay_alu instid0(VALU_DEP_1) | instskip(SKIP_1) | instid1(VALU_DEP_1)
	v_cvt_u32_f32_e32 v3, v3
	s_wait_alu 0xfffe
	v_mul_lo_u32 v10, s12, v3
	s_delay_alu instid0(VALU_DEP_1) | instskip(NEXT) | instid1(VALU_DEP_1)
	v_mul_hi_u32 v10, v3, v10
	v_add_nc_u32_e32 v3, v3, v10
	s_delay_alu instid0(VALU_DEP_1) | instskip(NEXT) | instid1(VALU_DEP_1)
	v_mul_hi_u32 v3, v6, v3
	v_mul_lo_u32 v10, v3, s42
	v_add_nc_u32_e32 v11, 1, v3
	s_delay_alu instid0(VALU_DEP_2) | instskip(NEXT) | instid1(VALU_DEP_1)
	v_sub_nc_u32_e32 v10, v6, v10
	v_subrev_nc_u32_e32 v12, s42, v10
	v_cmp_le_u32_e32 vcc_lo, s42, v10
	s_wait_alu 0xfffd
	s_delay_alu instid0(VALU_DEP_2) | instskip(NEXT) | instid1(VALU_DEP_1)
	v_dual_cndmask_b32 v10, v10, v12 :: v_dual_cndmask_b32 v3, v3, v11
	v_cmp_le_u32_e32 vcc_lo, s42, v10
	s_delay_alu instid0(VALU_DEP_2) | instskip(SKIP_1) | instid1(VALU_DEP_1)
	v_add_nc_u32_e32 v11, 1, v3
	s_wait_alu 0xfffd
	v_dual_cndmask_b32 v10, v3, v11 :: v_dual_mov_b32 v11, v2
.LBB82_26:                              ;   in Loop: Header=BB82_22 Depth=2
	s_wait_alu 0xfffe
	s_or_b32 exec_lo, exec_lo, s0
	s_load_b64 s[46:47], s[38:39], 0x10
	s_load_b64 s[44:45], s[36:37], 0x18
                                        ; implicit-def: $vgpr12_vgpr13
	s_mov_b32 s0, exec_lo
	s_wait_kmcnt 0x0
	v_or_b32_e32 v3, s47, v11
	s_delay_alu instid0(VALU_DEP_1)
	v_cmpx_ne_u64_e32 0, v[2:3]
	s_wait_alu 0xfffe
	s_xor_b32 s52, exec_lo, s0
	s_cbranch_execz .LBB82_28
; %bb.27:                               ;   in Loop: Header=BB82_22 Depth=2
	s_ashr_i32 s48, s47, 31
	v_ashrrev_i32_e32 v3, 31, v11
	s_wait_alu 0xfffe
	s_mov_b32 s49, s48
	s_wait_alu 0xfffe
	s_add_nc_u64 s[50:51], s[46:47], s[48:49]
	v_add_co_u32 v12, vcc_lo, v10, v3
	s_wait_alu 0xfffe
	s_xor_b64 s[50:51], s[50:51], s[48:49]
	s_wait_alu 0xfffd
	v_add_co_ci_u32_e64 v13, null, v11, v3, vcc_lo
	s_wait_alu 0xfffe
	s_cvt_f32_u32 s0, s50
	s_cvt_f32_u32 s12, s51
	s_sub_nc_u64 s[56:57], 0, s[50:51]
	v_xor_b32_e32 v20, v12, v3
	v_xor_b32_e32 v21, v13, v3
	s_wait_alu 0xfffe
	s_fmamk_f32 s0, s12, 0x4f800000, s0
	v_xor_b32_e32 v3, s48, v3
	s_wait_alu 0xfffe
	s_delay_alu instid0(SALU_CYCLE_1) | instskip(NEXT) | instid1(TRANS32_DEP_1)
	v_s_rcp_f32 s0, s0
	s_mul_f32 s0, s0, 0x5f7ffffc
	s_wait_alu 0xfffe
	s_delay_alu instid0(SALU_CYCLE_2) | instskip(SKIP_1) | instid1(SALU_CYCLE_2)
	s_mul_f32 s12, s0, 0x2f800000
	s_wait_alu 0xfffe
	s_trunc_f32 s12, s12
	s_wait_alu 0xfffe
	s_delay_alu instid0(SALU_CYCLE_2) | instskip(SKIP_2) | instid1(SALU_CYCLE_1)
	s_fmamk_f32 s0, s12, 0xcf800000, s0
	s_cvt_u32_f32 s55, s12
	s_wait_alu 0xfffe
	s_cvt_u32_f32 s54, s0
	s_wait_alu 0xfffe
	s_delay_alu instid0(SALU_CYCLE_2)
	s_mul_u64 s[58:59], s[56:57], s[54:55]
	s_wait_alu 0xfffe
	s_mul_hi_u32 s65, s54, s59
	s_mul_i32 s64, s54, s59
	s_mul_hi_u32 s12, s54, s58
	s_mul_i32 s49, s55, s58
	s_wait_alu 0xfffe
	s_add_nc_u64 s[64:65], s[12:13], s[64:65]
	s_mul_hi_u32 s0, s55, s58
	s_mul_hi_u32 s53, s55, s59
	s_add_co_u32 s12, s64, s49
	s_wait_alu 0xfffe
	s_add_co_ci_u32 s12, s65, s0
	s_mul_i32 s58, s55, s59
	s_add_co_ci_u32 s59, s53, 0
	s_wait_alu 0xfffe
	s_add_nc_u64 s[58:59], s[12:13], s[58:59]
	s_wait_alu 0xfffe
	s_add_co_u32 s54, s54, s58
	s_cselect_b32 s0, -1, 0
	s_wait_alu 0xfffe
	s_cmp_lg_u32 s0, 0
	s_add_co_ci_u32 s55, s55, s59
	s_wait_alu 0xfffe
	s_mul_u64 s[56:57], s[56:57], s[54:55]
	s_wait_alu 0xfffe
	s_mul_hi_u32 s59, s54, s57
	s_mul_i32 s58, s54, s57
	s_mul_hi_u32 s12, s54, s56
	s_mul_i32 s49, s55, s56
	s_wait_alu 0xfffe
	s_add_nc_u64 s[58:59], s[12:13], s[58:59]
	s_mul_hi_u32 s0, s55, s56
	s_mul_hi_u32 s53, s55, s57
	s_wait_alu 0xfffe
	s_add_co_u32 s12, s58, s49
	s_add_co_ci_u32 s12, s59, s0
	s_mul_i32 s56, s55, s57
	s_add_co_ci_u32 s57, s53, 0
	s_wait_alu 0xfffe
	s_add_nc_u64 s[56:57], s[12:13], s[56:57]
	s_wait_alu 0xfffe
	s_add_co_u32 s0, s54, s56
	s_cselect_b32 s12, -1, 0
	s_wait_alu 0xfffe
	v_mul_hi_u32 v22, v20, s0
	s_cmp_lg_u32 s12, 0
	v_mad_co_u64_u32 v[14:15], null, v21, s0, 0
	s_add_co_ci_u32 s12, s55, s57
	s_wait_alu 0xfffe
	v_mad_co_u64_u32 v[12:13], null, v20, s12, 0
	v_mad_co_u64_u32 v[16:17], null, v21, s12, 0
	s_delay_alu instid0(VALU_DEP_2) | instskip(SKIP_1) | instid1(VALU_DEP_3)
	v_add_co_u32 v12, vcc_lo, v22, v12
	s_wait_alu 0xfffd
	v_add_co_ci_u32_e64 v13, null, 0, v13, vcc_lo
	s_delay_alu instid0(VALU_DEP_2) | instskip(SKIP_1) | instid1(VALU_DEP_2)
	v_add_co_u32 v12, vcc_lo, v12, v14
	s_wait_alu 0xfffd
	v_add_co_ci_u32_e32 v12, vcc_lo, v13, v15, vcc_lo
	s_wait_alu 0xfffd
	v_add_co_ci_u32_e32 v13, vcc_lo, 0, v17, vcc_lo
	s_delay_alu instid0(VALU_DEP_2) | instskip(SKIP_1) | instid1(VALU_DEP_2)
	v_add_co_u32 v14, vcc_lo, v12, v16
	s_wait_alu 0xfffd
	v_add_co_ci_u32_e64 v15, null, 0, v13, vcc_lo
	s_delay_alu instid0(VALU_DEP_2) | instskip(SKIP_1) | instid1(VALU_DEP_3)
	v_mul_lo_u32 v16, s51, v14
	v_mad_co_u64_u32 v[12:13], null, s50, v14, 0
	v_mul_lo_u32 v17, s50, v15
	s_delay_alu instid0(VALU_DEP_2) | instskip(NEXT) | instid1(VALU_DEP_2)
	v_sub_co_u32 v12, vcc_lo, v20, v12
	v_add3_u32 v13, v13, v17, v16
	v_add_co_u32 v17, s0, v14, 2
	s_wait_alu 0xf1ff
	v_add_co_ci_u32_e64 v20, null, 0, v15, s0
	s_delay_alu instid0(VALU_DEP_3) | instskip(SKIP_3) | instid1(VALU_DEP_3)
	v_sub_nc_u32_e32 v16, v21, v13
	v_sub_co_u32 v22, s0, v12, s50
	s_wait_alu 0xfffd
	v_sub_co_ci_u32_e64 v13, null, v21, v13, vcc_lo
	v_subrev_co_ci_u32_e64 v16, null, s51, v16, vcc_lo
	s_delay_alu instid0(VALU_DEP_3) | instskip(SKIP_1) | instid1(VALU_DEP_2)
	v_cmp_le_u32_e32 vcc_lo, s50, v22
	s_wait_alu 0xf1ff
	v_subrev_co_ci_u32_e64 v16, null, 0, v16, s0
	s_wait_alu 0xfffd
	v_cndmask_b32_e64 v21, 0, -1, vcc_lo
	s_delay_alu instid0(VALU_DEP_2)
	v_cmp_le_u32_e32 vcc_lo, s51, v16
	s_wait_alu 0xfffd
	v_cndmask_b32_e64 v22, 0, -1, vcc_lo
	v_cmp_le_u32_e32 vcc_lo, s50, v12
	s_wait_alu 0xfffd
	v_cndmask_b32_e64 v12, 0, -1, vcc_lo
	;; [unrolled: 3-line block ×3, first 2 shown]
	v_cmp_eq_u32_e32 vcc_lo, s51, v16
	s_wait_alu 0xfffd
	v_cndmask_b32_e32 v16, v22, v21, vcc_lo
	v_add_co_u32 v21, vcc_lo, v14, 1
	s_wait_alu 0xfffd
	v_add_co_ci_u32_e64 v22, null, 0, v15, vcc_lo
	v_cmp_eq_u32_e32 vcc_lo, s51, v13
	s_wait_alu 0xfffd
	v_cndmask_b32_e32 v12, v23, v12, vcc_lo
	v_cmp_ne_u32_e32 vcc_lo, 0, v16
	s_delay_alu instid0(VALU_DEP_2) | instskip(SKIP_3) | instid1(VALU_DEP_1)
	v_cmp_ne_u32_e64 s0, 0, v12
	s_wait_alu 0xfffd
	v_dual_cndmask_b32 v13, v22, v20 :: v_dual_cndmask_b32 v12, v21, v17
	s_wait_alu 0xf1ff
	v_cndmask_b32_e64 v13, v15, v13, s0
	s_delay_alu instid0(VALU_DEP_2) | instskip(NEXT) | instid1(VALU_DEP_2)
	v_cndmask_b32_e64 v12, v14, v12, s0
	v_xor_b32_e32 v13, v13, v3
	s_delay_alu instid0(VALU_DEP_2) | instskip(NEXT) | instid1(VALU_DEP_1)
	v_xor_b32_e32 v12, v12, v3
	v_sub_co_u32 v12, vcc_lo, v12, v3
	s_wait_alu 0xfffd
	s_delay_alu instid0(VALU_DEP_3)
	v_sub_co_ci_u32_e64 v13, null, v13, v3, vcc_lo
.LBB82_28:                              ;   in Loop: Header=BB82_22 Depth=2
	s_wait_alu 0xfffe
	s_and_not1_saveexec_b32 s0, s52
	s_cbranch_execz .LBB82_30
; %bb.29:                               ;   in Loop: Header=BB82_22 Depth=2
	v_cvt_f32_u32_e32 v3, s46
	s_sub_co_i32 s12, 0, s46
	s_delay_alu instid0(VALU_DEP_1) | instskip(NEXT) | instid1(TRANS32_DEP_1)
	v_rcp_iflag_f32_e32 v3, v3
	v_mul_f32_e32 v3, 0x4f7ffffe, v3
	s_delay_alu instid0(VALU_DEP_1) | instskip(SKIP_1) | instid1(VALU_DEP_1)
	v_cvt_u32_f32_e32 v3, v3
	s_wait_alu 0xfffe
	v_mul_lo_u32 v12, s12, v3
	s_delay_alu instid0(VALU_DEP_1) | instskip(NEXT) | instid1(VALU_DEP_1)
	v_mul_hi_u32 v12, v3, v12
	v_add_nc_u32_e32 v3, v3, v12
	s_delay_alu instid0(VALU_DEP_1) | instskip(NEXT) | instid1(VALU_DEP_1)
	v_mul_hi_u32 v3, v10, v3
	v_mul_lo_u32 v12, v3, s46
	v_add_nc_u32_e32 v13, 1, v3
	s_delay_alu instid0(VALU_DEP_2) | instskip(NEXT) | instid1(VALU_DEP_1)
	v_sub_nc_u32_e32 v12, v10, v12
	v_subrev_nc_u32_e32 v14, s46, v12
	v_cmp_le_u32_e32 vcc_lo, s46, v12
	s_wait_alu 0xfffd
	s_delay_alu instid0(VALU_DEP_2) | instskip(NEXT) | instid1(VALU_DEP_1)
	v_dual_cndmask_b32 v12, v12, v14 :: v_dual_cndmask_b32 v3, v3, v13
	v_cmp_le_u32_e32 vcc_lo, s46, v12
	s_delay_alu instid0(VALU_DEP_2) | instskip(SKIP_1) | instid1(VALU_DEP_1)
	v_add_nc_u32_e32 v13, 1, v3
	s_wait_alu 0xfffd
	v_dual_cndmask_b32 v12, v3, v13 :: v_dual_mov_b32 v13, v2
.LBB82_30:                              ;   in Loop: Header=BB82_22 Depth=2
	s_wait_alu 0xfffe
	s_or_b32 exec_lo, exec_lo, s0
	s_load_b64 s[50:51], s[38:39], 0x8
	s_load_b64 s[48:49], s[36:37], 0x10
                                        ; implicit-def: $vgpr14_vgpr15
	s_mov_b32 s0, exec_lo
	s_wait_kmcnt 0x0
	v_or_b32_e32 v3, s51, v13
	s_delay_alu instid0(VALU_DEP_1)
	v_cmpx_ne_u64_e32 0, v[2:3]
	s_wait_alu 0xfffe
	s_xor_b32 s56, exec_lo, s0
	s_cbranch_execz .LBB82_32
; %bb.31:                               ;   in Loop: Header=BB82_22 Depth=2
	s_ashr_i32 s52, s51, 31
	v_ashrrev_i32_e32 v3, 31, v13
	s_wait_alu 0xfffe
	s_mov_b32 s53, s52
	s_wait_alu 0xfffe
	s_add_nc_u64 s[54:55], s[50:51], s[52:53]
	v_add_co_u32 v14, vcc_lo, v12, v3
	s_wait_alu 0xfffe
	s_xor_b64 s[54:55], s[54:55], s[52:53]
	s_wait_alu 0xfffd
	v_add_co_ci_u32_e64 v15, null, v13, v3, vcc_lo
	s_wait_alu 0xfffe
	s_cvt_f32_u32 s0, s54
	s_cvt_f32_u32 s12, s55
	s_sub_nc_u64 s[64:65], 0, s[54:55]
	v_xor_b32_e32 v22, v14, v3
	v_xor_b32_e32 v23, v15, v3
	s_wait_alu 0xfffe
	s_fmamk_f32 s0, s12, 0x4f800000, s0
	v_xor_b32_e32 v3, s52, v3
	s_wait_alu 0xfffe
	s_delay_alu instid0(SALU_CYCLE_1) | instskip(NEXT) | instid1(TRANS32_DEP_1)
	v_s_rcp_f32 s0, s0
	s_mul_f32 s0, s0, 0x5f7ffffc
	s_wait_alu 0xfffe
	s_delay_alu instid0(SALU_CYCLE_2) | instskip(SKIP_1) | instid1(SALU_CYCLE_2)
	s_mul_f32 s12, s0, 0x2f800000
	s_wait_alu 0xfffe
	s_trunc_f32 s12, s12
	s_wait_alu 0xfffe
	s_delay_alu instid0(SALU_CYCLE_2) | instskip(SKIP_2) | instid1(SALU_CYCLE_1)
	s_fmamk_f32 s0, s12, 0xcf800000, s0
	s_cvt_u32_f32 s59, s12
	s_wait_alu 0xfffe
	s_cvt_u32_f32 s58, s0
	s_wait_alu 0xfffe
	s_delay_alu instid0(SALU_CYCLE_2) | instskip(NEXT) | instid1(SALU_CYCLE_1)
	s_mul_u64 s[66:67], s[64:65], s[58:59]
	s_mul_hi_u32 s69, s58, s67
	s_mul_i32 s68, s58, s67
	s_mul_hi_u32 s12, s58, s66
	s_mul_i32 s53, s59, s66
	s_wait_alu 0xfffe
	s_add_nc_u64 s[68:69], s[12:13], s[68:69]
	s_mul_hi_u32 s0, s59, s66
	s_mul_hi_u32 s57, s59, s67
	s_add_co_u32 s12, s68, s53
	s_wait_alu 0xfffe
	s_add_co_ci_u32 s12, s69, s0
	s_mul_i32 s66, s59, s67
	s_add_co_ci_u32 s67, s57, 0
	s_wait_alu 0xfffe
	s_add_nc_u64 s[66:67], s[12:13], s[66:67]
	s_delay_alu instid0(SALU_CYCLE_1)
	s_add_co_u32 s58, s58, s66
	s_cselect_b32 s0, -1, 0
	s_wait_alu 0xfffe
	s_cmp_lg_u32 s0, 0
	s_add_co_ci_u32 s59, s59, s67
	s_wait_alu 0xfffe
	s_mul_u64 s[64:65], s[64:65], s[58:59]
	s_delay_alu instid0(SALU_CYCLE_1)
	s_mul_hi_u32 s67, s58, s65
	s_mul_i32 s66, s58, s65
	s_mul_hi_u32 s12, s58, s64
	s_mul_i32 s53, s59, s64
	s_wait_alu 0xfffe
	s_add_nc_u64 s[66:67], s[12:13], s[66:67]
	s_mul_hi_u32 s0, s59, s64
	s_mul_hi_u32 s57, s59, s65
	s_add_co_u32 s12, s66, s53
	s_wait_alu 0xfffe
	s_add_co_ci_u32 s12, s67, s0
	s_mul_i32 s64, s59, s65
	s_add_co_ci_u32 s65, s57, 0
	s_wait_alu 0xfffe
	s_add_nc_u64 s[64:65], s[12:13], s[64:65]
	s_delay_alu instid0(SALU_CYCLE_1)
	s_add_co_u32 s0, s58, s64
	s_cselect_b32 s12, -1, 0
	s_wait_alu 0xfffe
	v_mul_hi_u32 v24, v22, s0
	s_cmp_lg_u32 s12, 0
	v_mad_co_u64_u32 v[16:17], null, v23, s0, 0
	s_add_co_ci_u32 s12, s59, s65
	s_wait_alu 0xfffe
	v_mad_co_u64_u32 v[14:15], null, v22, s12, 0
	v_mad_co_u64_u32 v[20:21], null, v23, s12, 0
	s_delay_alu instid0(VALU_DEP_2) | instskip(SKIP_1) | instid1(VALU_DEP_3)
	v_add_co_u32 v14, vcc_lo, v24, v14
	s_wait_alu 0xfffd
	v_add_co_ci_u32_e64 v15, null, 0, v15, vcc_lo
	s_delay_alu instid0(VALU_DEP_2) | instskip(SKIP_1) | instid1(VALU_DEP_2)
	v_add_co_u32 v14, vcc_lo, v14, v16
	s_wait_alu 0xfffd
	v_add_co_ci_u32_e32 v14, vcc_lo, v15, v17, vcc_lo
	s_wait_alu 0xfffd
	v_add_co_ci_u32_e32 v15, vcc_lo, 0, v21, vcc_lo
	s_delay_alu instid0(VALU_DEP_2) | instskip(SKIP_1) | instid1(VALU_DEP_2)
	v_add_co_u32 v16, vcc_lo, v14, v20
	s_wait_alu 0xfffd
	v_add_co_ci_u32_e64 v17, null, 0, v15, vcc_lo
	s_delay_alu instid0(VALU_DEP_2) | instskip(SKIP_1) | instid1(VALU_DEP_3)
	v_mul_lo_u32 v20, s55, v16
	v_mad_co_u64_u32 v[14:15], null, s54, v16, 0
	v_mul_lo_u32 v21, s54, v17
	s_delay_alu instid0(VALU_DEP_2) | instskip(NEXT) | instid1(VALU_DEP_2)
	v_sub_co_u32 v14, vcc_lo, v22, v14
	v_add3_u32 v15, v15, v21, v20
	v_add_co_u32 v21, s0, v16, 2
	s_wait_alu 0xf1ff
	v_add_co_ci_u32_e64 v22, null, 0, v17, s0
	s_delay_alu instid0(VALU_DEP_3) | instskip(SKIP_3) | instid1(VALU_DEP_3)
	v_sub_nc_u32_e32 v20, v23, v15
	v_sub_co_u32 v24, s0, v14, s54
	s_wait_alu 0xfffd
	v_sub_co_ci_u32_e64 v15, null, v23, v15, vcc_lo
	v_subrev_co_ci_u32_e64 v20, null, s55, v20, vcc_lo
	s_delay_alu instid0(VALU_DEP_3) | instskip(SKIP_1) | instid1(VALU_DEP_2)
	v_cmp_le_u32_e32 vcc_lo, s54, v24
	s_wait_alu 0xf1ff
	v_subrev_co_ci_u32_e64 v20, null, 0, v20, s0
	s_wait_alu 0xfffd
	v_cndmask_b32_e64 v23, 0, -1, vcc_lo
	s_delay_alu instid0(VALU_DEP_2)
	v_cmp_le_u32_e32 vcc_lo, s55, v20
	s_wait_alu 0xfffd
	v_cndmask_b32_e64 v24, 0, -1, vcc_lo
	v_cmp_le_u32_e32 vcc_lo, s54, v14
	s_wait_alu 0xfffd
	v_cndmask_b32_e64 v14, 0, -1, vcc_lo
	;; [unrolled: 3-line block ×3, first 2 shown]
	v_cmp_eq_u32_e32 vcc_lo, s55, v20
	s_wait_alu 0xfffd
	v_cndmask_b32_e32 v20, v24, v23, vcc_lo
	v_add_co_u32 v23, vcc_lo, v16, 1
	s_wait_alu 0xfffd
	v_add_co_ci_u32_e64 v24, null, 0, v17, vcc_lo
	v_cmp_eq_u32_e32 vcc_lo, s55, v15
	s_wait_alu 0xfffd
	v_cndmask_b32_e32 v14, v25, v14, vcc_lo
	v_cmp_ne_u32_e32 vcc_lo, 0, v20
	s_delay_alu instid0(VALU_DEP_2) | instskip(SKIP_3) | instid1(VALU_DEP_1)
	v_cmp_ne_u32_e64 s0, 0, v14
	s_wait_alu 0xfffd
	v_dual_cndmask_b32 v15, v24, v22 :: v_dual_cndmask_b32 v14, v23, v21
	s_wait_alu 0xf1ff
	v_cndmask_b32_e64 v15, v17, v15, s0
	s_delay_alu instid0(VALU_DEP_2) | instskip(NEXT) | instid1(VALU_DEP_2)
	v_cndmask_b32_e64 v14, v16, v14, s0
	v_xor_b32_e32 v15, v15, v3
	s_delay_alu instid0(VALU_DEP_2) | instskip(NEXT) | instid1(VALU_DEP_1)
	v_xor_b32_e32 v14, v14, v3
	v_sub_co_u32 v14, vcc_lo, v14, v3
	s_wait_alu 0xfffd
	s_delay_alu instid0(VALU_DEP_3)
	v_sub_co_ci_u32_e64 v15, null, v15, v3, vcc_lo
.LBB82_32:                              ;   in Loop: Header=BB82_22 Depth=2
	s_wait_alu 0xfffe
	s_and_not1_saveexec_b32 s0, s56
	s_cbranch_execz .LBB82_34
; %bb.33:                               ;   in Loop: Header=BB82_22 Depth=2
	v_cvt_f32_u32_e32 v3, s50
	s_sub_co_i32 s12, 0, s50
	s_delay_alu instid0(VALU_DEP_1) | instskip(NEXT) | instid1(TRANS32_DEP_1)
	v_rcp_iflag_f32_e32 v3, v3
	v_mul_f32_e32 v3, 0x4f7ffffe, v3
	s_delay_alu instid0(VALU_DEP_1) | instskip(SKIP_1) | instid1(VALU_DEP_1)
	v_cvt_u32_f32_e32 v3, v3
	s_wait_alu 0xfffe
	v_mul_lo_u32 v14, s12, v3
	s_delay_alu instid0(VALU_DEP_1) | instskip(NEXT) | instid1(VALU_DEP_1)
	v_mul_hi_u32 v14, v3, v14
	v_add_nc_u32_e32 v3, v3, v14
	s_delay_alu instid0(VALU_DEP_1) | instskip(NEXT) | instid1(VALU_DEP_1)
	v_mul_hi_u32 v3, v12, v3
	v_mul_lo_u32 v14, v3, s50
	v_add_nc_u32_e32 v15, 1, v3
	s_delay_alu instid0(VALU_DEP_2) | instskip(NEXT) | instid1(VALU_DEP_1)
	v_sub_nc_u32_e32 v14, v12, v14
	v_subrev_nc_u32_e32 v16, s50, v14
	v_cmp_le_u32_e32 vcc_lo, s50, v14
	s_wait_alu 0xfffd
	s_delay_alu instid0(VALU_DEP_2) | instskip(NEXT) | instid1(VALU_DEP_1)
	v_dual_cndmask_b32 v14, v14, v16 :: v_dual_cndmask_b32 v3, v3, v15
	v_cmp_le_u32_e32 vcc_lo, s50, v14
	s_delay_alu instid0(VALU_DEP_2) | instskip(SKIP_1) | instid1(VALU_DEP_1)
	v_add_nc_u32_e32 v15, 1, v3
	s_wait_alu 0xfffd
	v_dual_cndmask_b32 v14, v3, v15 :: v_dual_mov_b32 v15, v2
.LBB82_34:                              ;   in Loop: Header=BB82_22 Depth=2
	s_wait_alu 0xfffe
	s_or_b32 exec_lo, exec_lo, s0
	s_load_b64 s[54:55], s[38:39], 0x0
	s_load_b64 s[52:53], s[36:37], 0x8
                                        ; implicit-def: $vgpr16_vgpr17
	s_mov_b32 s0, exec_lo
	s_wait_kmcnt 0x0
	v_or_b32_e32 v3, s55, v15
	s_delay_alu instid0(VALU_DEP_1)
	v_cmpx_ne_u64_e32 0, v[2:3]
	s_wait_alu 0xfffe
	s_xor_b32 s63, exec_lo, s0
	s_cbranch_execz .LBB82_36
; %bb.35:                               ;   in Loop: Header=BB82_22 Depth=2
	s_ashr_i32 s56, s55, 31
	v_ashrrev_i32_e32 v3, 31, v15
	s_wait_alu 0xfffe
	s_mov_b32 s57, s56
	s_wait_alu 0xfffe
	s_add_nc_u64 s[58:59], s[54:55], s[56:57]
	v_add_co_u32 v16, vcc_lo, v14, v3
	s_wait_alu 0xfffe
	s_xor_b64 s[58:59], s[58:59], s[56:57]
	s_wait_alu 0xfffd
	v_add_co_ci_u32_e64 v17, null, v15, v3, vcc_lo
	s_wait_alu 0xfffe
	s_cvt_f32_u32 s0, s58
	s_cvt_f32_u32 s12, s59
	s_sub_nc_u64 s[66:67], 0, s[58:59]
	v_xor_b32_e32 v24, v16, v3
	v_xor_b32_e32 v25, v17, v3
	s_wait_alu 0xfffe
	s_fmamk_f32 s0, s12, 0x4f800000, s0
	v_xor_b32_e32 v3, s56, v3
	s_wait_alu 0xfffe
	s_delay_alu instid0(SALU_CYCLE_1) | instskip(NEXT) | instid1(TRANS32_DEP_1)
	v_s_rcp_f32 s0, s0
	s_mul_f32 s0, s0, 0x5f7ffffc
	s_wait_alu 0xfffe
	s_delay_alu instid0(SALU_CYCLE_2) | instskip(SKIP_1) | instid1(SALU_CYCLE_2)
	s_mul_f32 s12, s0, 0x2f800000
	s_wait_alu 0xfffe
	s_trunc_f32 s12, s12
	s_wait_alu 0xfffe
	s_delay_alu instid0(SALU_CYCLE_2) | instskip(SKIP_2) | instid1(SALU_CYCLE_1)
	s_fmamk_f32 s0, s12, 0xcf800000, s0
	s_cvt_u32_f32 s65, s12
	s_wait_alu 0xfffe
	s_cvt_u32_f32 s64, s0
	s_delay_alu instid0(SALU_CYCLE_3) | instskip(NEXT) | instid1(SALU_CYCLE_1)
	s_mul_u64 s[68:69], s[66:67], s[64:65]
	s_mul_hi_u32 s71, s64, s69
	s_mul_i32 s70, s64, s69
	s_mul_hi_u32 s12, s64, s68
	s_mul_i32 s57, s65, s68
	s_wait_alu 0xfffe
	s_add_nc_u64 s[70:71], s[12:13], s[70:71]
	s_mul_hi_u32 s0, s65, s68
	s_mul_hi_u32 s72, s65, s69
	s_add_co_u32 s12, s70, s57
	s_wait_alu 0xfffe
	s_add_co_ci_u32 s12, s71, s0
	s_mul_i32 s68, s65, s69
	s_add_co_ci_u32 s69, s72, 0
	s_wait_alu 0xfffe
	s_add_nc_u64 s[68:69], s[12:13], s[68:69]
	s_delay_alu instid0(SALU_CYCLE_1) | instskip(SKIP_4) | instid1(SALU_CYCLE_1)
	s_add_co_u32 s64, s64, s68
	s_cselect_b32 s0, -1, 0
	s_wait_alu 0xfffe
	s_cmp_lg_u32 s0, 0
	s_add_co_ci_u32 s65, s65, s69
	s_mul_u64 s[66:67], s[66:67], s[64:65]
	s_delay_alu instid0(SALU_CYCLE_1)
	s_mul_hi_u32 s69, s64, s67
	s_mul_i32 s68, s64, s67
	s_mul_hi_u32 s12, s64, s66
	s_mul_i32 s57, s65, s66
	s_wait_alu 0xfffe
	s_add_nc_u64 s[68:69], s[12:13], s[68:69]
	s_mul_hi_u32 s0, s65, s66
	s_mul_hi_u32 s70, s65, s67
	s_add_co_u32 s12, s68, s57
	s_wait_alu 0xfffe
	s_add_co_ci_u32 s12, s69, s0
	s_mul_i32 s66, s65, s67
	s_add_co_ci_u32 s67, s70, 0
	s_wait_alu 0xfffe
	s_add_nc_u64 s[66:67], s[12:13], s[66:67]
	s_delay_alu instid0(SALU_CYCLE_1)
	s_add_co_u32 s0, s64, s66
	s_cselect_b32 s12, -1, 0
	s_wait_alu 0xfffe
	v_mul_hi_u32 v26, v24, s0
	s_cmp_lg_u32 s12, 0
	v_mad_co_u64_u32 v[20:21], null, v25, s0, 0
	s_add_co_ci_u32 s12, s65, s67
	s_wait_alu 0xfffe
	v_mad_co_u64_u32 v[16:17], null, v24, s12, 0
	v_mad_co_u64_u32 v[22:23], null, v25, s12, 0
	s_delay_alu instid0(VALU_DEP_2) | instskip(SKIP_1) | instid1(VALU_DEP_3)
	v_add_co_u32 v16, vcc_lo, v26, v16
	s_wait_alu 0xfffd
	v_add_co_ci_u32_e64 v17, null, 0, v17, vcc_lo
	s_delay_alu instid0(VALU_DEP_2) | instskip(SKIP_1) | instid1(VALU_DEP_2)
	v_add_co_u32 v16, vcc_lo, v16, v20
	s_wait_alu 0xfffd
	v_add_co_ci_u32_e32 v16, vcc_lo, v17, v21, vcc_lo
	s_wait_alu 0xfffd
	v_add_co_ci_u32_e32 v17, vcc_lo, 0, v23, vcc_lo
	s_delay_alu instid0(VALU_DEP_2) | instskip(SKIP_1) | instid1(VALU_DEP_2)
	v_add_co_u32 v20, vcc_lo, v16, v22
	s_wait_alu 0xfffd
	v_add_co_ci_u32_e64 v21, null, 0, v17, vcc_lo
	s_delay_alu instid0(VALU_DEP_2) | instskip(SKIP_1) | instid1(VALU_DEP_3)
	v_mul_lo_u32 v22, s59, v20
	v_mad_co_u64_u32 v[16:17], null, s58, v20, 0
	v_mul_lo_u32 v23, s58, v21
	s_delay_alu instid0(VALU_DEP_2) | instskip(NEXT) | instid1(VALU_DEP_2)
	v_sub_co_u32 v16, vcc_lo, v24, v16
	v_add3_u32 v17, v17, v23, v22
	v_add_co_u32 v23, s0, v20, 2
	s_wait_alu 0xf1ff
	v_add_co_ci_u32_e64 v24, null, 0, v21, s0
	s_delay_alu instid0(VALU_DEP_3) | instskip(SKIP_3) | instid1(VALU_DEP_3)
	v_sub_nc_u32_e32 v22, v25, v17
	v_sub_co_u32 v26, s0, v16, s58
	s_wait_alu 0xfffd
	v_sub_co_ci_u32_e64 v17, null, v25, v17, vcc_lo
	v_subrev_co_ci_u32_e64 v22, null, s59, v22, vcc_lo
	s_delay_alu instid0(VALU_DEP_3) | instskip(SKIP_1) | instid1(VALU_DEP_2)
	v_cmp_le_u32_e32 vcc_lo, s58, v26
	s_wait_alu 0xf1ff
	v_subrev_co_ci_u32_e64 v22, null, 0, v22, s0
	s_wait_alu 0xfffd
	v_cndmask_b32_e64 v25, 0, -1, vcc_lo
	s_delay_alu instid0(VALU_DEP_2)
	v_cmp_le_u32_e32 vcc_lo, s59, v22
	s_wait_alu 0xfffd
	v_cndmask_b32_e64 v26, 0, -1, vcc_lo
	v_cmp_le_u32_e32 vcc_lo, s58, v16
	s_wait_alu 0xfffd
	v_cndmask_b32_e64 v16, 0, -1, vcc_lo
	;; [unrolled: 3-line block ×3, first 2 shown]
	v_cmp_eq_u32_e32 vcc_lo, s59, v22
	s_wait_alu 0xfffd
	v_cndmask_b32_e32 v22, v26, v25, vcc_lo
	v_add_co_u32 v25, vcc_lo, v20, 1
	s_wait_alu 0xfffd
	v_add_co_ci_u32_e64 v26, null, 0, v21, vcc_lo
	v_cmp_eq_u32_e32 vcc_lo, s59, v17
	s_wait_alu 0xfffd
	v_cndmask_b32_e32 v16, v27, v16, vcc_lo
	v_cmp_ne_u32_e32 vcc_lo, 0, v22
	s_delay_alu instid0(VALU_DEP_2) | instskip(SKIP_3) | instid1(VALU_DEP_1)
	v_cmp_ne_u32_e64 s0, 0, v16
	s_wait_alu 0xfffd
	v_dual_cndmask_b32 v17, v26, v24 :: v_dual_cndmask_b32 v16, v25, v23
	s_wait_alu 0xf1ff
	v_cndmask_b32_e64 v17, v21, v17, s0
	s_delay_alu instid0(VALU_DEP_2) | instskip(NEXT) | instid1(VALU_DEP_2)
	v_cndmask_b32_e64 v16, v20, v16, s0
	v_xor_b32_e32 v17, v17, v3
	s_delay_alu instid0(VALU_DEP_2) | instskip(NEXT) | instid1(VALU_DEP_1)
	v_xor_b32_e32 v16, v16, v3
	v_sub_co_u32 v16, vcc_lo, v16, v3
	s_wait_alu 0xfffd
	s_delay_alu instid0(VALU_DEP_3)
	v_sub_co_ci_u32_e64 v17, null, v17, v3, vcc_lo
.LBB82_36:                              ;   in Loop: Header=BB82_22 Depth=2
	s_and_not1_saveexec_b32 s0, s63
	s_cbranch_execz .LBB82_21
; %bb.37:                               ;   in Loop: Header=BB82_22 Depth=2
	v_cvt_f32_u32_e32 v3, s54
	s_sub_co_i32 s12, 0, s54
	s_delay_alu instid0(VALU_DEP_1) | instskip(NEXT) | instid1(TRANS32_DEP_1)
	v_rcp_iflag_f32_e32 v3, v3
	v_mul_f32_e32 v3, 0x4f7ffffe, v3
	s_delay_alu instid0(VALU_DEP_1) | instskip(SKIP_1) | instid1(VALU_DEP_1)
	v_cvt_u32_f32_e32 v3, v3
	s_wait_alu 0xfffe
	v_mul_lo_u32 v16, s12, v3
	s_delay_alu instid0(VALU_DEP_1) | instskip(NEXT) | instid1(VALU_DEP_1)
	v_mul_hi_u32 v16, v3, v16
	v_add_nc_u32_e32 v3, v3, v16
	s_delay_alu instid0(VALU_DEP_1) | instskip(NEXT) | instid1(VALU_DEP_1)
	v_mul_hi_u32 v3, v14, v3
	v_mul_lo_u32 v16, v3, s54
	v_add_nc_u32_e32 v17, 1, v3
	s_delay_alu instid0(VALU_DEP_2) | instskip(NEXT) | instid1(VALU_DEP_1)
	v_sub_nc_u32_e32 v16, v14, v16
	v_subrev_nc_u32_e32 v20, s54, v16
	v_cmp_le_u32_e32 vcc_lo, s54, v16
	s_wait_alu 0xfffd
	s_delay_alu instid0(VALU_DEP_2) | instskip(NEXT) | instid1(VALU_DEP_1)
	v_dual_cndmask_b32 v16, v16, v20 :: v_dual_cndmask_b32 v3, v3, v17
	v_cmp_le_u32_e32 vcc_lo, s54, v16
	s_delay_alu instid0(VALU_DEP_2) | instskip(SKIP_1) | instid1(VALU_DEP_1)
	v_add_nc_u32_e32 v17, 1, v3
	s_wait_alu 0xfffd
	v_dual_cndmask_b32 v16, v3, v17 :: v_dual_mov_b32 v17, v2
	s_branch .LBB82_21
.LBB82_38:                              ;   in Loop: Header=BB82_3 Depth=1
	s_load_b64 s[36:37], s[22:23], 0x0
	s_wait_kmcnt 0x0
	v_cmp_gt_i64_e32 vcc_lo, s[36:37], v[4:5]
	s_and_b32 exec_lo, exec_lo, vcc_lo
	s_cbranch_execz .LBB82_2
; %bb.39:                               ;   in Loop: Header=BB82_3 Depth=1
	v_lshlrev_b64_e32 v[5:6], 4, v[8:9]
	v_dual_mov_b32 v3, v2 :: v_dual_mov_b32 v4, v2
	s_delay_alu instid0(VALU_DEP_2) | instskip(SKIP_1) | instid1(VALU_DEP_3)
	v_add_co_u32 v7, vcc_lo, s8, v5
	s_wait_alu 0xfffd
	v_add_co_ci_u32_e64 v8, null, s9, v6, vcc_lo
	v_mov_b32_e32 v5, v2
	global_store_b128 v[7:8], v[2:5], off
	s_branch .LBB82_2
.LBB82_40:
	s_endpgm
	.section	.rodata,"a",@progbits
	.p2align	6, 0x0
	.amdhsa_kernel _ZN2at6native16triu_tril_kernelIN3c107complexIdEElLb1ELi1ELb1EEEvNS_4cuda6detail10TensorInfoIT_T0_EENS7_IKS8_S9_EEllS9_
		.amdhsa_group_segment_fixed_size 0
		.amdhsa_private_segment_fixed_size 0
		.amdhsa_kernarg_size 1112
		.amdhsa_user_sgpr_count 2
		.amdhsa_user_sgpr_dispatch_ptr 0
		.amdhsa_user_sgpr_queue_ptr 0
		.amdhsa_user_sgpr_kernarg_segment_ptr 1
		.amdhsa_user_sgpr_dispatch_id 0
		.amdhsa_user_sgpr_private_segment_size 0
		.amdhsa_wavefront_size32 1
		.amdhsa_uses_dynamic_stack 0
		.amdhsa_enable_private_segment 0
		.amdhsa_system_sgpr_workgroup_id_x 1
		.amdhsa_system_sgpr_workgroup_id_y 0
		.amdhsa_system_sgpr_workgroup_id_z 0
		.amdhsa_system_sgpr_workgroup_info 0
		.amdhsa_system_vgpr_workitem_id 0
		.amdhsa_next_free_vgpr 28
		.amdhsa_next_free_sgpr 73
		.amdhsa_reserve_vcc 1
		.amdhsa_float_round_mode_32 0
		.amdhsa_float_round_mode_16_64 0
		.amdhsa_float_denorm_mode_32 3
		.amdhsa_float_denorm_mode_16_64 3
		.amdhsa_fp16_overflow 0
		.amdhsa_workgroup_processor_mode 1
		.amdhsa_memory_ordered 1
		.amdhsa_forward_progress 1
		.amdhsa_inst_pref_size 65
		.amdhsa_round_robin_scheduling 0
		.amdhsa_exception_fp_ieee_invalid_op 0
		.amdhsa_exception_fp_denorm_src 0
		.amdhsa_exception_fp_ieee_div_zero 0
		.amdhsa_exception_fp_ieee_overflow 0
		.amdhsa_exception_fp_ieee_underflow 0
		.amdhsa_exception_fp_ieee_inexact 0
		.amdhsa_exception_int_div_zero 0
	.end_amdhsa_kernel
	.section	.text._ZN2at6native16triu_tril_kernelIN3c107complexIdEElLb1ELi1ELb1EEEvNS_4cuda6detail10TensorInfoIT_T0_EENS7_IKS8_S9_EEllS9_,"axG",@progbits,_ZN2at6native16triu_tril_kernelIN3c107complexIdEElLb1ELi1ELb1EEEvNS_4cuda6detail10TensorInfoIT_T0_EENS7_IKS8_S9_EEllS9_,comdat
.Lfunc_end82:
	.size	_ZN2at6native16triu_tril_kernelIN3c107complexIdEElLb1ELi1ELb1EEEvNS_4cuda6detail10TensorInfoIT_T0_EENS7_IKS8_S9_EEllS9_, .Lfunc_end82-_ZN2at6native16triu_tril_kernelIN3c107complexIdEElLb1ELi1ELb1EEEvNS_4cuda6detail10TensorInfoIT_T0_EENS7_IKS8_S9_EEllS9_
                                        ; -- End function
	.set _ZN2at6native16triu_tril_kernelIN3c107complexIdEElLb1ELi1ELb1EEEvNS_4cuda6detail10TensorInfoIT_T0_EENS7_IKS8_S9_EEllS9_.num_vgpr, 28
	.set _ZN2at6native16triu_tril_kernelIN3c107complexIdEElLb1ELi1ELb1EEEvNS_4cuda6detail10TensorInfoIT_T0_EENS7_IKS8_S9_EEllS9_.num_agpr, 0
	.set _ZN2at6native16triu_tril_kernelIN3c107complexIdEElLb1ELi1ELb1EEEvNS_4cuda6detail10TensorInfoIT_T0_EENS7_IKS8_S9_EEllS9_.numbered_sgpr, 73
	.set _ZN2at6native16triu_tril_kernelIN3c107complexIdEElLb1ELi1ELb1EEEvNS_4cuda6detail10TensorInfoIT_T0_EENS7_IKS8_S9_EEllS9_.num_named_barrier, 0
	.set _ZN2at6native16triu_tril_kernelIN3c107complexIdEElLb1ELi1ELb1EEEvNS_4cuda6detail10TensorInfoIT_T0_EENS7_IKS8_S9_EEllS9_.private_seg_size, 0
	.set _ZN2at6native16triu_tril_kernelIN3c107complexIdEElLb1ELi1ELb1EEEvNS_4cuda6detail10TensorInfoIT_T0_EENS7_IKS8_S9_EEllS9_.uses_vcc, 1
	.set _ZN2at6native16triu_tril_kernelIN3c107complexIdEElLb1ELi1ELb1EEEvNS_4cuda6detail10TensorInfoIT_T0_EENS7_IKS8_S9_EEllS9_.uses_flat_scratch, 0
	.set _ZN2at6native16triu_tril_kernelIN3c107complexIdEElLb1ELi1ELb1EEEvNS_4cuda6detail10TensorInfoIT_T0_EENS7_IKS8_S9_EEllS9_.has_dyn_sized_stack, 0
	.set _ZN2at6native16triu_tril_kernelIN3c107complexIdEElLb1ELi1ELb1EEEvNS_4cuda6detail10TensorInfoIT_T0_EENS7_IKS8_S9_EEllS9_.has_recursion, 0
	.set _ZN2at6native16triu_tril_kernelIN3c107complexIdEElLb1ELi1ELb1EEEvNS_4cuda6detail10TensorInfoIT_T0_EENS7_IKS8_S9_EEllS9_.has_indirect_call, 0
	.section	.AMDGPU.csdata,"",@progbits
; Kernel info:
; codeLenInByte = 8196
; TotalNumSgprs: 75
; NumVgprs: 28
; ScratchSize: 0
; MemoryBound: 0
; FloatMode: 240
; IeeeMode: 1
; LDSByteSize: 0 bytes/workgroup (compile time only)
; SGPRBlocks: 0
; VGPRBlocks: 3
; NumSGPRsForWavesPerEU: 75
; NumVGPRsForWavesPerEU: 28
; Occupancy: 16
; WaveLimiterHint : 0
; COMPUTE_PGM_RSRC2:SCRATCH_EN: 0
; COMPUTE_PGM_RSRC2:USER_SGPR: 2
; COMPUTE_PGM_RSRC2:TRAP_HANDLER: 0
; COMPUTE_PGM_RSRC2:TGID_X_EN: 1
; COMPUTE_PGM_RSRC2:TGID_Y_EN: 0
; COMPUTE_PGM_RSRC2:TGID_Z_EN: 0
; COMPUTE_PGM_RSRC2:TIDIG_COMP_CNT: 0
	.section	.text._ZN2at6native16triu_tril_kernelIN3c107complexIdEElLb1ELi1ELb0EEEvNS_4cuda6detail10TensorInfoIT_T0_EENS7_IKS8_S9_EEllS9_,"axG",@progbits,_ZN2at6native16triu_tril_kernelIN3c107complexIdEElLb1ELi1ELb0EEEvNS_4cuda6detail10TensorInfoIT_T0_EENS7_IKS8_S9_EEllS9_,comdat
	.protected	_ZN2at6native16triu_tril_kernelIN3c107complexIdEElLb1ELi1ELb0EEEvNS_4cuda6detail10TensorInfoIT_T0_EENS7_IKS8_S9_EEllS9_ ; -- Begin function _ZN2at6native16triu_tril_kernelIN3c107complexIdEElLb1ELi1ELb0EEEvNS_4cuda6detail10TensorInfoIT_T0_EENS7_IKS8_S9_EEllS9_
	.globl	_ZN2at6native16triu_tril_kernelIN3c107complexIdEElLb1ELi1ELb0EEEvNS_4cuda6detail10TensorInfoIT_T0_EENS7_IKS8_S9_EEllS9_
	.p2align	8
	.type	_ZN2at6native16triu_tril_kernelIN3c107complexIdEElLb1ELi1ELb0EEEvNS_4cuda6detail10TensorInfoIT_T0_EENS7_IKS8_S9_EEllS9_,@function
_ZN2at6native16triu_tril_kernelIN3c107complexIdEElLb1ELi1ELb0EEEvNS_4cuda6detail10TensorInfoIT_T0_EENS7_IKS8_S9_EEllS9_: ; @_ZN2at6native16triu_tril_kernelIN3c107complexIdEElLb1ELi1ELb0EEEvNS_4cuda6detail10TensorInfoIT_T0_EENS7_IKS8_S9_EEllS9_
; %bb.0:
	s_clause 0x1
	s_load_b32 s2, s[0:1], 0x364
	s_load_b128 s[4:7], s[0:1], 0x340
	v_mov_b32_e32 v4, 0
	s_delay_alu instid0(VALU_DEP_1) | instskip(SKIP_3) | instid1(VALU_DEP_1)
	v_mov_b32_e32 v1, v4
	s_wait_kmcnt 0x0
	s_and_b32 s26, s2, 0xffff
	s_mov_b32 s2, exec_lo
	v_mad_co_u64_u32 v[6:7], null, s26, ttmp9, v[0:1]
	s_delay_alu instid0(VALU_DEP_1)
	v_cmpx_gt_i64_e64 s[6:7], v[6:7]
	s_cbranch_execz .LBB83_35
; %bb.1:
	s_clause 0x1
	s_load_b32 s38, s[0:1], 0x338
	s_load_b64 s[2:3], s[0:1], 0x1a0
	s_add_nc_u64 s[20:21], s[0:1], 0x1a0
	s_load_b64 s[22:23], s[0:1], 0x350
	s_add_nc_u64 s[14:15], s[0:1], 0x358
	s_mov_b32 s27, 0
	s_mov_b32 s63, 0
	s_wait_kmcnt 0x0
	s_ashr_i32 s39, s38, 31
	s_add_co_i32 s28, s38, -3
	s_lshl_b64 s[16:17], s[38:39], 3
	s_ashr_i32 s29, s28, 31
	s_add_nc_u64 s[12:13], s[20:21], s[16:17]
	s_add_nc_u64 s[16:17], s[0:1], s[16:17]
	s_add_nc_u64 s[8:9], s[12:13], -8
	s_bitcmp0_b32 s28, 0
	s_load_b128 s[8:11], s[8:9], 0x0
	v_cvt_f32_u32_e32 v0, s22
	s_load_b32 s30, s[14:15], 0x0
	s_clause 0x2
	s_load_b64 s[24:25], s[0:1], 0x0
	s_load_b128 s[12:15], s[12:13], 0xc0
	s_load_b128 s[16:19], s[16:17], 0xc0
	v_cmp_gt_i64_e64 s62, s[38:39], 2
	v_rcp_iflag_f32_e32 v0, v0
	s_cselect_b32 s60, -1, 0
	s_lshl_b64 s[36:37], s[28:29], 3
	s_cmp_lg_u32 s28, 0
	s_add_nc_u64 s[34:35], s[20:21], s[36:37]
	s_add_nc_u64 s[36:37], s[0:1], s[36:37]
	s_cselect_b32 s61, -1, 0
	s_add_nc_u64 s[38:39], s[0:1], 0xc8
	s_ashr_i32 s40, s23, 31
	s_wait_kmcnt 0x0
	v_cvt_f32_u32_e32 v1, s8
	s_mul_i32 s33, s30, s26
	s_add_nc_u64 s[30:31], s[28:29], -1
	s_delay_alu instid0(VALU_DEP_1) | instskip(NEXT) | instid1(TRANS32_DEP_1)
	v_rcp_iflag_f32_e32 v1, v1
	v_dual_mul_f32 v0, 0x4f7ffffe, v0 :: v_dual_mul_f32 v1, 0x4f7ffffe, v1
	s_delay_alu instid0(VALU_DEP_1) | instskip(NEXT) | instid1(VALU_DEP_2)
	v_cvt_u32_f32_e32 v16, v0
	v_cvt_u32_f32_e32 v17, v1
	s_branch .LBB83_3
.LBB83_2:                               ;   in Loop: Header=BB83_3 Depth=1
	s_wait_alu 0xfffe
	s_or_b32 exec_lo, exec_lo, s0
	v_add_co_u32 v6, vcc_lo, v6, s33
	s_wait_alu 0xfffd
	v_add_co_ci_u32_e64 v7, null, 0, v7, vcc_lo
	s_delay_alu instid0(VALU_DEP_1) | instskip(SKIP_1) | instid1(SALU_CYCLE_1)
	v_cmp_le_i64_e32 vcc_lo, s[6:7], v[6:7]
	s_or_b32 s63, vcc_lo, s63
	s_and_not1_b32 exec_lo, exec_lo, s63
	s_cbranch_execz .LBB83_35
.LBB83_3:                               ; =>This Loop Header: Depth=1
                                        ;     Child Loop BB83_21 Depth 2
	v_or_b32_e32 v5, s23, v7
                                        ; implicit-def: $vgpr2_vgpr3
	s_mov_b32 s0, exec_lo
	s_delay_alu instid0(VALU_DEP_1)
	v_cmpx_ne_u64_e32 0, v[4:5]
	s_wait_alu 0xfffe
	s_xor_b32 s1, exec_lo, s0
	s_cbranch_execz .LBB83_5
; %bb.4:                                ;   in Loop: Header=BB83_3 Depth=1
	s_mov_b32 s41, s40
	v_ashrrev_i32_e32 v5, 31, v7
	s_wait_alu 0xfffe
	s_add_nc_u64 s[42:43], s[22:23], s[40:41]
	s_wait_alu 0xfffe
	s_xor_b64 s[42:43], s[42:43], s[40:41]
	v_add_co_u32 v0, vcc_lo, v6, v5
	s_wait_alu 0xfffe
	s_cvt_f32_u32 s0, s42
	s_cvt_f32_u32 s26, s43
	s_sub_nc_u64 s[46:47], 0, s[42:43]
	s_wait_alu 0xfffd
	v_add_co_ci_u32_e64 v1, null, v7, v5, vcc_lo
	s_wait_alu 0xfffe
	s_fmamk_f32 s0, s26, 0x4f800000, s0
	v_xor_b32_e32 v10, v0, v5
	s_delay_alu instid0(VALU_DEP_2) | instskip(SKIP_3) | instid1(TRANS32_DEP_1)
	v_xor_b32_e32 v11, v1, v5
	s_wait_alu 0xfffe
	v_s_rcp_f32 s0, s0
	v_xor_b32_e32 v5, s40, v5
	s_mul_f32 s0, s0, 0x5f7ffffc
	s_wait_alu 0xfffe
	s_delay_alu instid0(SALU_CYCLE_2) | instskip(SKIP_1) | instid1(SALU_CYCLE_2)
	s_mul_f32 s26, s0, 0x2f800000
	s_wait_alu 0xfffe
	s_trunc_f32 s26, s26
	s_wait_alu 0xfffe
	s_delay_alu instid0(SALU_CYCLE_2) | instskip(SKIP_2) | instid1(SALU_CYCLE_1)
	s_fmamk_f32 s0, s26, 0xcf800000, s0
	s_cvt_u32_f32 s45, s26
	s_wait_alu 0xfffe
	s_cvt_u32_f32 s44, s0
	s_wait_alu 0xfffe
	s_delay_alu instid0(SALU_CYCLE_2)
	s_mul_u64 s[48:49], s[46:47], s[44:45]
	s_wait_alu 0xfffe
	s_mul_hi_u32 s51, s44, s49
	s_mul_i32 s50, s44, s49
	s_mul_hi_u32 s26, s44, s48
	s_mul_i32 s41, s45, s48
	s_wait_alu 0xfffe
	s_add_nc_u64 s[50:51], s[26:27], s[50:51]
	s_mul_hi_u32 s0, s45, s48
	s_mul_hi_u32 s52, s45, s49
	s_wait_alu 0xfffe
	s_add_co_u32 s26, s50, s41
	s_add_co_ci_u32 s26, s51, s0
	s_mul_i32 s48, s45, s49
	s_add_co_ci_u32 s49, s52, 0
	s_wait_alu 0xfffe
	s_add_nc_u64 s[48:49], s[26:27], s[48:49]
	s_wait_alu 0xfffe
	s_add_co_u32 s44, s44, s48
	s_cselect_b32 s0, -1, 0
	s_wait_alu 0xfffe
	s_cmp_lg_u32 s0, 0
	s_add_co_ci_u32 s45, s45, s49
	s_wait_alu 0xfffe
	s_mul_u64 s[46:47], s[46:47], s[44:45]
	s_wait_alu 0xfffe
	s_mul_hi_u32 s49, s44, s47
	s_mul_i32 s48, s44, s47
	s_mul_hi_u32 s26, s44, s46
	s_mul_i32 s41, s45, s46
	s_wait_alu 0xfffe
	s_add_nc_u64 s[48:49], s[26:27], s[48:49]
	s_mul_hi_u32 s0, s45, s46
	s_mul_hi_u32 s50, s45, s47
	s_wait_alu 0xfffe
	s_add_co_u32 s26, s48, s41
	s_add_co_ci_u32 s26, s49, s0
	s_mul_i32 s46, s45, s47
	s_add_co_ci_u32 s47, s50, 0
	s_wait_alu 0xfffe
	s_add_nc_u64 s[46:47], s[26:27], s[46:47]
	s_wait_alu 0xfffe
	s_add_co_u32 s0, s44, s46
	s_cselect_b32 s26, -1, 0
	s_wait_alu 0xfffe
	v_mul_hi_u32 v12, v10, s0
	s_cmp_lg_u32 s26, 0
	v_mad_co_u64_u32 v[2:3], null, v11, s0, 0
	s_add_co_ci_u32 s26, s45, s47
	s_wait_alu 0xfffe
	v_mad_co_u64_u32 v[0:1], null, v10, s26, 0
	v_mad_co_u64_u32 v[8:9], null, v11, s26, 0
	s_delay_alu instid0(VALU_DEP_2) | instskip(SKIP_1) | instid1(VALU_DEP_3)
	v_add_co_u32 v0, vcc_lo, v12, v0
	s_wait_alu 0xfffd
	v_add_co_ci_u32_e64 v1, null, 0, v1, vcc_lo
	s_delay_alu instid0(VALU_DEP_2) | instskip(SKIP_1) | instid1(VALU_DEP_2)
	v_add_co_u32 v0, vcc_lo, v0, v2
	s_wait_alu 0xfffd
	v_add_co_ci_u32_e32 v0, vcc_lo, v1, v3, vcc_lo
	s_wait_alu 0xfffd
	v_add_co_ci_u32_e32 v1, vcc_lo, 0, v9, vcc_lo
	s_delay_alu instid0(VALU_DEP_2) | instskip(SKIP_1) | instid1(VALU_DEP_2)
	v_add_co_u32 v2, vcc_lo, v0, v8
	s_wait_alu 0xfffd
	v_add_co_ci_u32_e64 v3, null, 0, v1, vcc_lo
	s_delay_alu instid0(VALU_DEP_2) | instskip(SKIP_1) | instid1(VALU_DEP_3)
	v_mul_lo_u32 v8, s43, v2
	v_mad_co_u64_u32 v[0:1], null, s42, v2, 0
	v_mul_lo_u32 v9, s42, v3
	s_delay_alu instid0(VALU_DEP_2) | instskip(NEXT) | instid1(VALU_DEP_2)
	v_sub_co_u32 v0, vcc_lo, v10, v0
	v_add3_u32 v1, v1, v9, v8
	v_add_co_u32 v9, s0, v2, 2
	s_wait_alu 0xf1ff
	v_add_co_ci_u32_e64 v10, null, 0, v3, s0
	s_delay_alu instid0(VALU_DEP_3) | instskip(SKIP_3) | instid1(VALU_DEP_3)
	v_sub_nc_u32_e32 v8, v11, v1
	v_sub_co_u32 v12, s0, v0, s42
	s_wait_alu 0xfffd
	v_sub_co_ci_u32_e64 v1, null, v11, v1, vcc_lo
	v_subrev_co_ci_u32_e64 v8, null, s43, v8, vcc_lo
	s_delay_alu instid0(VALU_DEP_3) | instskip(SKIP_1) | instid1(VALU_DEP_2)
	v_cmp_le_u32_e32 vcc_lo, s42, v12
	s_wait_alu 0xf1ff
	v_subrev_co_ci_u32_e64 v8, null, 0, v8, s0
	s_wait_alu 0xfffd
	v_cndmask_b32_e64 v11, 0, -1, vcc_lo
	s_delay_alu instid0(VALU_DEP_2)
	v_cmp_le_u32_e32 vcc_lo, s43, v8
	s_wait_alu 0xfffd
	v_cndmask_b32_e64 v12, 0, -1, vcc_lo
	v_cmp_le_u32_e32 vcc_lo, s42, v0
	s_wait_alu 0xfffd
	v_cndmask_b32_e64 v0, 0, -1, vcc_lo
	;; [unrolled: 3-line block ×3, first 2 shown]
	v_cmp_eq_u32_e32 vcc_lo, s43, v8
	s_wait_alu 0xfffd
	v_cndmask_b32_e32 v8, v12, v11, vcc_lo
	v_add_co_u32 v11, vcc_lo, v2, 1
	s_wait_alu 0xfffd
	v_add_co_ci_u32_e64 v12, null, 0, v3, vcc_lo
	v_cmp_eq_u32_e32 vcc_lo, s43, v1
	s_wait_alu 0xfffd
	v_cndmask_b32_e32 v0, v13, v0, vcc_lo
	v_cmp_ne_u32_e32 vcc_lo, 0, v8
	s_wait_alu 0xfffd
	v_cndmask_b32_e32 v1, v12, v10, vcc_lo
	s_delay_alu instid0(VALU_DEP_3) | instskip(SKIP_2) | instid1(VALU_DEP_2)
	v_cmp_ne_u32_e64 s0, 0, v0
	v_cndmask_b32_e32 v0, v11, v9, vcc_lo
	s_wait_alu 0xf1ff
	v_cndmask_b32_e64 v1, v3, v1, s0
	s_delay_alu instid0(VALU_DEP_2) | instskip(NEXT) | instid1(VALU_DEP_2)
	v_cndmask_b32_e64 v0, v2, v0, s0
	v_xor_b32_e32 v1, v1, v5
	s_delay_alu instid0(VALU_DEP_2) | instskip(NEXT) | instid1(VALU_DEP_1)
	v_xor_b32_e32 v0, v0, v5
	v_sub_co_u32 v2, vcc_lo, v0, v5
	s_wait_alu 0xfffd
	s_delay_alu instid0(VALU_DEP_3)
	v_sub_co_ci_u32_e64 v3, null, v1, v5, vcc_lo
.LBB83_5:                               ;   in Loop: Header=BB83_3 Depth=1
	s_wait_alu 0xfffe
	s_and_not1_saveexec_b32 s0, s1
	s_cbranch_execz .LBB83_7
; %bb.6:                                ;   in Loop: Header=BB83_3 Depth=1
	s_sub_co_i32 s1, 0, s22
	s_wait_alu 0xfffe
	v_mul_lo_u32 v0, s1, v16
	s_delay_alu instid0(VALU_DEP_1) | instskip(NEXT) | instid1(VALU_DEP_1)
	v_mul_hi_u32 v0, v16, v0
	v_add_nc_u32_e32 v0, v16, v0
	s_delay_alu instid0(VALU_DEP_1) | instskip(NEXT) | instid1(VALU_DEP_1)
	v_mul_hi_u32 v0, v6, v0
	v_mul_lo_u32 v1, v0, s22
	v_add_nc_u32_e32 v2, 1, v0
	s_delay_alu instid0(VALU_DEP_2) | instskip(NEXT) | instid1(VALU_DEP_1)
	v_sub_nc_u32_e32 v1, v6, v1
	v_subrev_nc_u32_e32 v3, s22, v1
	v_cmp_le_u32_e32 vcc_lo, s22, v1
	s_wait_alu 0xfffd
	s_delay_alu instid0(VALU_DEP_2) | instskip(SKIP_2) | instid1(VALU_DEP_3)
	v_cndmask_b32_e32 v1, v1, v3, vcc_lo
	v_mov_b32_e32 v3, v4
	v_cndmask_b32_e32 v0, v0, v2, vcc_lo
	v_cmp_le_u32_e32 vcc_lo, s22, v1
	s_delay_alu instid0(VALU_DEP_2) | instskip(SKIP_1) | instid1(VALU_DEP_1)
	v_add_nc_u32_e32 v2, 1, v0
	s_wait_alu 0xfffd
	v_cndmask_b32_e32 v2, v0, v2, vcc_lo
.LBB83_7:                               ;   in Loop: Header=BB83_3 Depth=1
	s_wait_alu 0xfffe
	s_or_b32 exec_lo, exec_lo, s0
	v_or_b32_e32 v5, s9, v3
                                        ; implicit-def: $vgpr0_vgpr1
	s_mov_b32 s0, exec_lo
	s_delay_alu instid0(VALU_DEP_1)
	v_cmpx_ne_u64_e32 0, v[4:5]
	s_wait_alu 0xfffe
	s_xor_b32 s1, exec_lo, s0
	s_cbranch_execz .LBB83_9
; %bb.8:                                ;   in Loop: Header=BB83_3 Depth=1
	s_ashr_i32 s42, s9, 31
	v_ashrrev_i32_e32 v5, 31, v3
	s_wait_alu 0xfffe
	s_mov_b32 s43, s42
	s_wait_alu 0xfffe
	s_add_nc_u64 s[44:45], s[8:9], s[42:43]
	v_add_co_u32 v0, vcc_lo, v2, v5
	s_wait_alu 0xfffe
	s_xor_b64 s[44:45], s[44:45], s[42:43]
	s_wait_alu 0xfffd
	v_add_co_ci_u32_e64 v1, null, v3, v5, vcc_lo
	s_wait_alu 0xfffe
	s_cvt_f32_u32 s0, s44
	s_cvt_f32_u32 s26, s45
	s_sub_nc_u64 s[48:49], 0, s[44:45]
	v_xor_b32_e32 v12, v0, v5
	v_xor_b32_e32 v13, v1, v5
	s_wait_alu 0xfffe
	s_fmamk_f32 s0, s26, 0x4f800000, s0
	v_xor_b32_e32 v5, s42, v5
	s_wait_alu 0xfffe
	s_delay_alu instid0(SALU_CYCLE_1) | instskip(NEXT) | instid1(TRANS32_DEP_1)
	v_s_rcp_f32 s0, s0
	s_mul_f32 s0, s0, 0x5f7ffffc
	s_wait_alu 0xfffe
	s_delay_alu instid0(SALU_CYCLE_2) | instskip(SKIP_1) | instid1(SALU_CYCLE_2)
	s_mul_f32 s26, s0, 0x2f800000
	s_wait_alu 0xfffe
	s_trunc_f32 s26, s26
	s_wait_alu 0xfffe
	s_delay_alu instid0(SALU_CYCLE_2) | instskip(SKIP_2) | instid1(SALU_CYCLE_1)
	s_fmamk_f32 s0, s26, 0xcf800000, s0
	s_cvt_u32_f32 s47, s26
	s_wait_alu 0xfffe
	s_cvt_u32_f32 s46, s0
	s_wait_alu 0xfffe
	s_delay_alu instid0(SALU_CYCLE_2)
	s_mul_u64 s[50:51], s[48:49], s[46:47]
	s_wait_alu 0xfffe
	s_mul_hi_u32 s53, s46, s51
	s_mul_i32 s52, s46, s51
	s_mul_hi_u32 s26, s46, s50
	s_mul_i32 s41, s47, s50
	s_wait_alu 0xfffe
	s_add_nc_u64 s[52:53], s[26:27], s[52:53]
	s_mul_hi_u32 s0, s47, s50
	s_mul_hi_u32 s43, s47, s51
	s_wait_alu 0xfffe
	s_add_co_u32 s26, s52, s41
	s_add_co_ci_u32 s26, s53, s0
	s_mul_i32 s50, s47, s51
	s_add_co_ci_u32 s51, s43, 0
	s_wait_alu 0xfffe
	s_add_nc_u64 s[50:51], s[26:27], s[50:51]
	s_wait_alu 0xfffe
	s_add_co_u32 s46, s46, s50
	s_cselect_b32 s0, -1, 0
	s_wait_alu 0xfffe
	s_cmp_lg_u32 s0, 0
	s_add_co_ci_u32 s47, s47, s51
	s_wait_alu 0xfffe
	s_mul_u64 s[48:49], s[48:49], s[46:47]
	s_wait_alu 0xfffe
	s_mul_hi_u32 s51, s46, s49
	s_mul_i32 s50, s46, s49
	s_mul_hi_u32 s26, s46, s48
	s_mul_i32 s41, s47, s48
	s_wait_alu 0xfffe
	s_add_nc_u64 s[50:51], s[26:27], s[50:51]
	s_mul_hi_u32 s0, s47, s48
	s_mul_hi_u32 s43, s47, s49
	s_wait_alu 0xfffe
	s_add_co_u32 s26, s50, s41
	s_add_co_ci_u32 s26, s51, s0
	s_mul_i32 s48, s47, s49
	s_add_co_ci_u32 s49, s43, 0
	s_wait_alu 0xfffe
	s_add_nc_u64 s[48:49], s[26:27], s[48:49]
	s_wait_alu 0xfffe
	s_add_co_u32 s0, s46, s48
	s_cselect_b32 s26, -1, 0
	s_wait_alu 0xfffe
	v_mul_hi_u32 v14, v12, s0
	s_cmp_lg_u32 s26, 0
	v_mad_co_u64_u32 v[8:9], null, v13, s0, 0
	s_add_co_ci_u32 s26, s47, s49
	s_wait_alu 0xfffe
	v_mad_co_u64_u32 v[0:1], null, v12, s26, 0
	v_mad_co_u64_u32 v[10:11], null, v13, s26, 0
	s_delay_alu instid0(VALU_DEP_2) | instskip(SKIP_1) | instid1(VALU_DEP_3)
	v_add_co_u32 v0, vcc_lo, v14, v0
	s_wait_alu 0xfffd
	v_add_co_ci_u32_e64 v1, null, 0, v1, vcc_lo
	s_delay_alu instid0(VALU_DEP_2) | instskip(SKIP_1) | instid1(VALU_DEP_2)
	v_add_co_u32 v0, vcc_lo, v0, v8
	s_wait_alu 0xfffd
	v_add_co_ci_u32_e32 v0, vcc_lo, v1, v9, vcc_lo
	s_wait_alu 0xfffd
	v_add_co_ci_u32_e32 v1, vcc_lo, 0, v11, vcc_lo
	s_delay_alu instid0(VALU_DEP_2) | instskip(SKIP_1) | instid1(VALU_DEP_2)
	v_add_co_u32 v8, vcc_lo, v0, v10
	s_wait_alu 0xfffd
	v_add_co_ci_u32_e64 v9, null, 0, v1, vcc_lo
	s_delay_alu instid0(VALU_DEP_2) | instskip(SKIP_1) | instid1(VALU_DEP_3)
	v_mul_lo_u32 v10, s45, v8
	v_mad_co_u64_u32 v[0:1], null, s44, v8, 0
	v_mul_lo_u32 v11, s44, v9
	s_delay_alu instid0(VALU_DEP_2) | instskip(NEXT) | instid1(VALU_DEP_2)
	v_sub_co_u32 v0, vcc_lo, v12, v0
	v_add3_u32 v1, v1, v11, v10
	v_add_co_u32 v11, s0, v8, 2
	s_wait_alu 0xf1ff
	v_add_co_ci_u32_e64 v12, null, 0, v9, s0
	s_delay_alu instid0(VALU_DEP_3) | instskip(SKIP_3) | instid1(VALU_DEP_3)
	v_sub_nc_u32_e32 v10, v13, v1
	v_sub_co_u32 v14, s0, v0, s44
	s_wait_alu 0xfffd
	v_sub_co_ci_u32_e64 v1, null, v13, v1, vcc_lo
	v_subrev_co_ci_u32_e64 v10, null, s45, v10, vcc_lo
	s_delay_alu instid0(VALU_DEP_3) | instskip(SKIP_1) | instid1(VALU_DEP_2)
	v_cmp_le_u32_e32 vcc_lo, s44, v14
	s_wait_alu 0xf1ff
	v_subrev_co_ci_u32_e64 v10, null, 0, v10, s0
	s_wait_alu 0xfffd
	v_cndmask_b32_e64 v13, 0, -1, vcc_lo
	s_delay_alu instid0(VALU_DEP_2)
	v_cmp_le_u32_e32 vcc_lo, s45, v10
	s_wait_alu 0xfffd
	v_cndmask_b32_e64 v14, 0, -1, vcc_lo
	v_cmp_le_u32_e32 vcc_lo, s44, v0
	s_wait_alu 0xfffd
	v_cndmask_b32_e64 v0, 0, -1, vcc_lo
	;; [unrolled: 3-line block ×3, first 2 shown]
	v_cmp_eq_u32_e32 vcc_lo, s45, v10
	s_wait_alu 0xfffd
	v_cndmask_b32_e32 v10, v14, v13, vcc_lo
	v_add_co_u32 v13, vcc_lo, v8, 1
	s_wait_alu 0xfffd
	v_add_co_ci_u32_e64 v14, null, 0, v9, vcc_lo
	v_cmp_eq_u32_e32 vcc_lo, s45, v1
	s_wait_alu 0xfffd
	v_cndmask_b32_e32 v0, v15, v0, vcc_lo
	v_cmp_ne_u32_e32 vcc_lo, 0, v10
	s_delay_alu instid0(VALU_DEP_2) | instskip(SKIP_3) | instid1(VALU_DEP_1)
	v_cmp_ne_u32_e64 s0, 0, v0
	s_wait_alu 0xfffd
	v_dual_cndmask_b32 v1, v14, v12 :: v_dual_cndmask_b32 v0, v13, v11
	s_wait_alu 0xf1ff
	v_cndmask_b32_e64 v1, v9, v1, s0
	s_delay_alu instid0(VALU_DEP_2) | instskip(NEXT) | instid1(VALU_DEP_2)
	v_cndmask_b32_e64 v0, v8, v0, s0
	v_xor_b32_e32 v1, v1, v5
	s_delay_alu instid0(VALU_DEP_2) | instskip(NEXT) | instid1(VALU_DEP_1)
	v_xor_b32_e32 v0, v0, v5
	v_sub_co_u32 v0, vcc_lo, v0, v5
	s_wait_alu 0xfffd
	s_delay_alu instid0(VALU_DEP_3)
	v_sub_co_ci_u32_e64 v1, null, v1, v5, vcc_lo
.LBB83_9:                               ;   in Loop: Header=BB83_3 Depth=1
	s_wait_alu 0xfffe
	s_and_not1_saveexec_b32 s0, s1
	s_cbranch_execz .LBB83_11
; %bb.10:                               ;   in Loop: Header=BB83_3 Depth=1
	s_sub_co_i32 s1, 0, s8
	s_wait_alu 0xfffe
	v_mul_lo_u32 v0, s1, v17
	s_delay_alu instid0(VALU_DEP_1) | instskip(NEXT) | instid1(VALU_DEP_1)
	v_mul_hi_u32 v0, v17, v0
	v_add_nc_u32_e32 v0, v17, v0
	s_delay_alu instid0(VALU_DEP_1) | instskip(NEXT) | instid1(VALU_DEP_1)
	v_mul_hi_u32 v0, v2, v0
	v_mul_lo_u32 v1, v0, s8
	v_add_nc_u32_e32 v5, 1, v0
	s_delay_alu instid0(VALU_DEP_2) | instskip(NEXT) | instid1(VALU_DEP_1)
	v_sub_nc_u32_e32 v1, v2, v1
	v_subrev_nc_u32_e32 v8, s8, v1
	v_cmp_le_u32_e32 vcc_lo, s8, v1
	s_wait_alu 0xfffd
	s_delay_alu instid0(VALU_DEP_2) | instskip(NEXT) | instid1(VALU_DEP_1)
	v_dual_cndmask_b32 v1, v1, v8 :: v_dual_cndmask_b32 v0, v0, v5
	v_cmp_le_u32_e32 vcc_lo, s8, v1
	s_delay_alu instid0(VALU_DEP_2) | instskip(SKIP_2) | instid1(VALU_DEP_2)
	v_add_nc_u32_e32 v5, 1, v0
	v_mov_b32_e32 v1, v4
	s_wait_alu 0xfffd
	v_cndmask_b32_e32 v0, v0, v5, vcc_lo
.LBB83_11:                              ;   in Loop: Header=BB83_3 Depth=1
	s_wait_alu 0xfffe
	s_or_b32 exec_lo, exec_lo, s0
	v_mul_lo_u32 v5, v3, s22
	v_mul_lo_u32 v12, v2, s23
	v_mad_co_u64_u32 v[8:9], null, v2, s22, 0
	v_mul_lo_u32 v13, v1, s8
	v_mul_lo_u32 v14, v0, s9
	v_mad_co_u64_u32 v[10:11], null, v0, s8, 0
	s_delay_alu instid0(VALU_DEP_4) | instskip(SKIP_1) | instid1(VALU_DEP_3)
	v_add3_u32 v5, v9, v12, v5
	v_sub_co_u32 v8, vcc_lo, v6, v8
	v_add3_u32 v13, v11, v14, v13
	s_wait_alu 0xfffd
	s_delay_alu instid0(VALU_DEP_3) | instskip(NEXT) | instid1(VALU_DEP_3)
	v_sub_co_ci_u32_e64 v9, null, v7, v5, vcc_lo
	v_mul_lo_u32 v5, s15, v8
	v_mad_co_u64_u32 v[11:12], null, s14, v8, 0
	v_mul_lo_u32 v20, s19, v8
	s_delay_alu instid0(VALU_DEP_4)
	v_mul_lo_u32 v21, s14, v9
	v_mul_lo_u32 v22, s18, v9
	v_mad_co_u64_u32 v[14:15], null, s18, v8, 0
	v_sub_co_u32 v18, vcc_lo, v2, v10
	s_wait_alu 0xfffd
	v_sub_co_ci_u32_e64 v19, null, v3, v13, vcc_lo
	v_add3_u32 v12, v12, v21, v5
	s_delay_alu instid0(VALU_DEP_3) | instskip(SKIP_1) | instid1(VALU_DEP_4)
	v_mul_lo_u32 v2, s13, v18
	v_add3_u32 v15, v15, v22, v20
	v_mul_lo_u32 v3, s12, v19
	v_mul_lo_u32 v5, s16, v19
	v_mad_co_u64_u32 v[12:13], null, s12, v18, v[11:12]
	v_mul_lo_u32 v20, s17, v18
	v_mad_co_u64_u32 v[10:11], null, s16, v18, v[14:15]
	s_and_not1_b32 vcc_lo, exec_lo, s62
	v_add3_u32 v13, v2, v13, v3
	v_add3_u32 v11, v20, v11, v5
	s_wait_alu 0xfffe
	s_cbranch_vccnz .LBB83_29
; %bb.12:                               ;   in Loop: Header=BB83_3 Depth=1
	s_and_not1_b32 vcc_lo, exec_lo, s60
	s_wait_alu 0xfffe
	s_cbranch_vccnz .LBB83_18
; %bb.13:                               ;   in Loop: Header=BB83_3 Depth=1
	s_load_b64 s[42:43], s[34:35], 0x8
                                        ; implicit-def: $vgpr2_vgpr3
	s_mov_b32 s0, exec_lo
	s_wait_kmcnt 0x0
	v_or_b32_e32 v5, s43, v1
	s_delay_alu instid0(VALU_DEP_1)
	v_cmpx_ne_u64_e32 0, v[4:5]
	s_wait_alu 0xfffe
	s_xor_b32 s1, exec_lo, s0
	s_cbranch_execz .LBB83_15
; %bb.14:                               ;   in Loop: Header=BB83_3 Depth=1
	s_ashr_i32 s44, s43, 31
	v_ashrrev_i32_e32 v5, 31, v1
	s_wait_alu 0xfffe
	s_mov_b32 s45, s44
	s_wait_alu 0xfffe
	s_add_nc_u64 s[46:47], s[42:43], s[44:45]
	v_add_co_u32 v2, vcc_lo, v0, v5
	s_wait_alu 0xfffe
	s_xor_b64 s[46:47], s[46:47], s[44:45]
	s_wait_alu 0xfffd
	v_add_co_ci_u32_e64 v3, null, v1, v5, vcc_lo
	s_wait_alu 0xfffe
	s_cvt_f32_u32 s0, s46
	s_cvt_f32_u32 s26, s47
	s_sub_nc_u64 s[50:51], 0, s[46:47]
	v_xor_b32_e32 v22, v2, v5
	v_xor_b32_e32 v23, v3, v5
	s_wait_alu 0xfffe
	s_fmamk_f32 s0, s26, 0x4f800000, s0
	v_xor_b32_e32 v5, s44, v5
	s_wait_alu 0xfffe
	s_delay_alu instid0(SALU_CYCLE_1) | instskip(NEXT) | instid1(TRANS32_DEP_1)
	v_s_rcp_f32 s0, s0
	s_mul_f32 s0, s0, 0x5f7ffffc
	s_wait_alu 0xfffe
	s_delay_alu instid0(SALU_CYCLE_2) | instskip(SKIP_1) | instid1(SALU_CYCLE_2)
	s_mul_f32 s26, s0, 0x2f800000
	s_wait_alu 0xfffe
	s_trunc_f32 s26, s26
	s_wait_alu 0xfffe
	s_delay_alu instid0(SALU_CYCLE_2) | instskip(SKIP_2) | instid1(SALU_CYCLE_1)
	s_fmamk_f32 s0, s26, 0xcf800000, s0
	s_cvt_u32_f32 s49, s26
	s_wait_alu 0xfffe
	s_cvt_u32_f32 s48, s0
	s_wait_alu 0xfffe
	s_delay_alu instid0(SALU_CYCLE_2)
	s_mul_u64 s[52:53], s[50:51], s[48:49]
	s_wait_alu 0xfffe
	s_mul_hi_u32 s55, s48, s53
	s_mul_i32 s54, s48, s53
	s_mul_hi_u32 s26, s48, s52
	s_mul_i32 s41, s49, s52
	s_wait_alu 0xfffe
	s_add_nc_u64 s[54:55], s[26:27], s[54:55]
	s_mul_hi_u32 s0, s49, s52
	s_mul_hi_u32 s45, s49, s53
	s_wait_alu 0xfffe
	s_add_co_u32 s26, s54, s41
	s_add_co_ci_u32 s26, s55, s0
	s_mul_i32 s52, s49, s53
	s_add_co_ci_u32 s53, s45, 0
	s_wait_alu 0xfffe
	s_add_nc_u64 s[52:53], s[26:27], s[52:53]
	s_wait_alu 0xfffe
	s_add_co_u32 s48, s48, s52
	s_cselect_b32 s0, -1, 0
	s_wait_alu 0xfffe
	s_cmp_lg_u32 s0, 0
	s_add_co_ci_u32 s49, s49, s53
	s_wait_alu 0xfffe
	s_mul_u64 s[50:51], s[50:51], s[48:49]
	s_wait_alu 0xfffe
	s_mul_hi_u32 s53, s48, s51
	s_mul_i32 s52, s48, s51
	s_mul_hi_u32 s26, s48, s50
	s_mul_i32 s41, s49, s50
	s_wait_alu 0xfffe
	s_add_nc_u64 s[52:53], s[26:27], s[52:53]
	s_mul_hi_u32 s0, s49, s50
	s_mul_hi_u32 s45, s49, s51
	s_wait_alu 0xfffe
	s_add_co_u32 s26, s52, s41
	s_add_co_ci_u32 s26, s53, s0
	s_mul_i32 s50, s49, s51
	s_add_co_ci_u32 s51, s45, 0
	s_wait_alu 0xfffe
	s_add_nc_u64 s[50:51], s[26:27], s[50:51]
	s_wait_alu 0xfffe
	s_add_co_u32 s0, s48, s50
	s_cselect_b32 s26, -1, 0
	s_wait_alu 0xfffe
	v_mul_hi_u32 v24, v22, s0
	s_cmp_lg_u32 s26, 0
	v_mad_co_u64_u32 v[14:15], null, v23, s0, 0
	s_add_co_ci_u32 s26, s49, s51
	s_wait_alu 0xfffe
	v_mad_co_u64_u32 v[2:3], null, v22, s26, 0
	v_mad_co_u64_u32 v[20:21], null, v23, s26, 0
	s_delay_alu instid0(VALU_DEP_2) | instskip(SKIP_1) | instid1(VALU_DEP_3)
	v_add_co_u32 v2, vcc_lo, v24, v2
	s_wait_alu 0xfffd
	v_add_co_ci_u32_e64 v3, null, 0, v3, vcc_lo
	s_delay_alu instid0(VALU_DEP_2) | instskip(SKIP_1) | instid1(VALU_DEP_2)
	v_add_co_u32 v2, vcc_lo, v2, v14
	s_wait_alu 0xfffd
	v_add_co_ci_u32_e32 v2, vcc_lo, v3, v15, vcc_lo
	s_wait_alu 0xfffd
	v_add_co_ci_u32_e32 v3, vcc_lo, 0, v21, vcc_lo
	s_delay_alu instid0(VALU_DEP_2) | instskip(SKIP_1) | instid1(VALU_DEP_2)
	v_add_co_u32 v14, vcc_lo, v2, v20
	s_wait_alu 0xfffd
	v_add_co_ci_u32_e64 v15, null, 0, v3, vcc_lo
	s_delay_alu instid0(VALU_DEP_2) | instskip(SKIP_1) | instid1(VALU_DEP_3)
	v_mul_lo_u32 v20, s47, v14
	v_mad_co_u64_u32 v[2:3], null, s46, v14, 0
	v_mul_lo_u32 v21, s46, v15
	s_delay_alu instid0(VALU_DEP_2) | instskip(NEXT) | instid1(VALU_DEP_2)
	v_sub_co_u32 v2, vcc_lo, v22, v2
	v_add3_u32 v3, v3, v21, v20
	v_add_co_u32 v21, s0, v14, 2
	s_wait_alu 0xf1ff
	v_add_co_ci_u32_e64 v22, null, 0, v15, s0
	s_delay_alu instid0(VALU_DEP_3) | instskip(SKIP_3) | instid1(VALU_DEP_3)
	v_sub_nc_u32_e32 v20, v23, v3
	v_sub_co_u32 v24, s0, v2, s46
	s_wait_alu 0xfffd
	v_sub_co_ci_u32_e64 v3, null, v23, v3, vcc_lo
	v_subrev_co_ci_u32_e64 v20, null, s47, v20, vcc_lo
	s_delay_alu instid0(VALU_DEP_3) | instskip(SKIP_1) | instid1(VALU_DEP_2)
	v_cmp_le_u32_e32 vcc_lo, s46, v24
	s_wait_alu 0xf1ff
	v_subrev_co_ci_u32_e64 v20, null, 0, v20, s0
	s_wait_alu 0xfffd
	v_cndmask_b32_e64 v23, 0, -1, vcc_lo
	s_delay_alu instid0(VALU_DEP_2)
	v_cmp_le_u32_e32 vcc_lo, s47, v20
	s_wait_alu 0xfffd
	v_cndmask_b32_e64 v24, 0, -1, vcc_lo
	v_cmp_le_u32_e32 vcc_lo, s46, v2
	s_wait_alu 0xfffd
	v_cndmask_b32_e64 v2, 0, -1, vcc_lo
	;; [unrolled: 3-line block ×3, first 2 shown]
	v_cmp_eq_u32_e32 vcc_lo, s47, v20
	s_wait_alu 0xfffd
	v_cndmask_b32_e32 v20, v24, v23, vcc_lo
	v_add_co_u32 v23, vcc_lo, v14, 1
	s_wait_alu 0xfffd
	v_add_co_ci_u32_e64 v24, null, 0, v15, vcc_lo
	v_cmp_eq_u32_e32 vcc_lo, s47, v3
	s_wait_alu 0xfffd
	v_cndmask_b32_e32 v2, v25, v2, vcc_lo
	v_cmp_ne_u32_e32 vcc_lo, 0, v20
	s_delay_alu instid0(VALU_DEP_2) | instskip(SKIP_3) | instid1(VALU_DEP_1)
	v_cmp_ne_u32_e64 s0, 0, v2
	s_wait_alu 0xfffd
	v_dual_cndmask_b32 v3, v24, v22 :: v_dual_cndmask_b32 v2, v23, v21
	s_wait_alu 0xf1ff
	v_cndmask_b32_e64 v3, v15, v3, s0
	s_delay_alu instid0(VALU_DEP_2) | instskip(NEXT) | instid1(VALU_DEP_2)
	v_cndmask_b32_e64 v2, v14, v2, s0
	v_xor_b32_e32 v3, v3, v5
	s_delay_alu instid0(VALU_DEP_2) | instskip(NEXT) | instid1(VALU_DEP_1)
	v_xor_b32_e32 v2, v2, v5
	v_sub_co_u32 v2, vcc_lo, v2, v5
	s_wait_alu 0xfffd
	s_delay_alu instid0(VALU_DEP_3)
	v_sub_co_ci_u32_e64 v3, null, v3, v5, vcc_lo
.LBB83_15:                              ;   in Loop: Header=BB83_3 Depth=1
	s_wait_alu 0xfffe
	s_and_not1_saveexec_b32 s0, s1
	s_cbranch_execz .LBB83_17
; %bb.16:                               ;   in Loop: Header=BB83_3 Depth=1
	v_cvt_f32_u32_e32 v2, s42
	s_sub_co_i32 s1, 0, s42
	s_delay_alu instid0(VALU_DEP_1) | instskip(NEXT) | instid1(TRANS32_DEP_1)
	v_rcp_iflag_f32_e32 v2, v2
	v_mul_f32_e32 v2, 0x4f7ffffe, v2
	s_delay_alu instid0(VALU_DEP_1) | instskip(SKIP_1) | instid1(VALU_DEP_1)
	v_cvt_u32_f32_e32 v2, v2
	s_wait_alu 0xfffe
	v_mul_lo_u32 v3, s1, v2
	s_delay_alu instid0(VALU_DEP_1) | instskip(NEXT) | instid1(VALU_DEP_1)
	v_mul_hi_u32 v3, v2, v3
	v_add_nc_u32_e32 v2, v2, v3
	s_delay_alu instid0(VALU_DEP_1) | instskip(NEXT) | instid1(VALU_DEP_1)
	v_mul_hi_u32 v2, v0, v2
	v_mul_lo_u32 v3, v2, s42
	v_add_nc_u32_e32 v5, 1, v2
	s_delay_alu instid0(VALU_DEP_2) | instskip(NEXT) | instid1(VALU_DEP_1)
	v_sub_nc_u32_e32 v3, v0, v3
	v_subrev_nc_u32_e32 v14, s42, v3
	v_cmp_le_u32_e32 vcc_lo, s42, v3
	s_wait_alu 0xfffd
	s_delay_alu instid0(VALU_DEP_2) | instskip(NEXT) | instid1(VALU_DEP_1)
	v_dual_cndmask_b32 v3, v3, v14 :: v_dual_cndmask_b32 v2, v2, v5
	v_cmp_le_u32_e32 vcc_lo, s42, v3
	s_delay_alu instid0(VALU_DEP_2) | instskip(SKIP_1) | instid1(VALU_DEP_1)
	v_add_nc_u32_e32 v5, 1, v2
	s_wait_alu 0xfffd
	v_dual_mov_b32 v3, v4 :: v_dual_cndmask_b32 v2, v2, v5
.LBB83_17:                              ;   in Loop: Header=BB83_3 Depth=1
	s_wait_alu 0xfffe
	s_or_b32 exec_lo, exec_lo, s0
	s_delay_alu instid0(VALU_DEP_1) | instskip(NEXT) | instid1(VALU_DEP_2)
	v_mul_lo_u32 v5, v3, s42
	v_mul_lo_u32 v20, v2, s43
	s_load_b64 s[0:1], s[34:35], 0xd0
	v_mad_co_u64_u32 v[14:15], null, v2, s42, 0
	s_load_b64 s[42:43], s[36:37], 0xd0
	v_add3_u32 v5, v15, v20, v5
	v_sub_co_u32 v0, vcc_lo, v0, v14
	s_wait_alu 0xfffd
	s_delay_alu instid0(VALU_DEP_2) | instskip(SKIP_1) | instid1(VALU_DEP_1)
	v_sub_co_ci_u32_e64 v1, null, v1, v5, vcc_lo
	s_wait_kmcnt 0x0
	v_mul_lo_u32 v5, s0, v1
	v_mul_lo_u32 v14, s1, v0
	v_mad_co_u64_u32 v[12:13], null, s0, v0, v[12:13]
	v_mul_lo_u32 v1, s42, v1
	v_mul_lo_u32 v15, s43, v0
	v_mad_co_u64_u32 v[10:11], null, s42, v0, v[10:11]
	s_mov_b64 s[0:1], s[30:31]
	v_add3_u32 v13, v14, v13, v5
	v_add3_u32 v11, v15, v11, v1
	v_dual_mov_b32 v0, v2 :: v_dual_mov_b32 v1, v3
	s_and_not1_b32 vcc_lo, exec_lo, s61
	s_wait_alu 0xfffe
	s_cbranch_vccz .LBB83_19
	s_branch .LBB83_29
.LBB83_18:                              ;   in Loop: Header=BB83_3 Depth=1
	s_mov_b64 s[0:1], s[28:29]
	s_and_not1_b32 vcc_lo, exec_lo, s61
	s_wait_alu 0xfffe
	s_cbranch_vccnz .LBB83_29
.LBB83_19:                              ;   in Loop: Header=BB83_3 Depth=1
	s_lshl_b64 s[44:45], s[0:1], 3
	s_add_nc_u64 s[46:47], s[0:1], 1
	s_wait_alu 0xfffe
	s_add_nc_u64 s[42:43], s[38:39], s[44:45]
	s_add_nc_u64 s[44:45], s[20:21], s[44:45]
	s_branch .LBB83_21
.LBB83_20:                              ;   in Loop: Header=BB83_21 Depth=2
	s_wait_alu 0xfffe
	s_or_b32 exec_lo, exec_lo, s0
	v_mul_lo_u32 v5, v3, s48
	v_mul_lo_u32 v24, v2, s49
	v_mad_co_u64_u32 v[20:21], null, v2, s48, 0
	s_load_b64 s[0:1], s[44:45], 0xc8
	s_load_b64 s[48:49], s[42:43], 0x0
	v_mul_lo_u32 v25, v15, s54
	v_mul_lo_u32 v26, v14, s55
	v_mad_co_u64_u32 v[22:23], null, v14, s54, 0
	v_add3_u32 v5, v21, v24, v5
	v_sub_co_u32 v20, vcc_lo, v0, v20
	s_add_nc_u64 s[46:47], s[46:47], -2
	s_add_nc_u64 s[42:43], s[42:43], -16
	s_wait_alu 0xfffd
	v_sub_co_ci_u32_e64 v5, null, v1, v5, vcc_lo
	v_mul_lo_u32 v21, s53, v20
	v_mad_co_u64_u32 v[0:1], null, s52, v20, v[12:13]
	s_delay_alu instid0(VALU_DEP_3)
	v_mul_lo_u32 v12, s52, v5
	v_mul_lo_u32 v13, s51, v20
	v_mad_co_u64_u32 v[10:11], null, s50, v20, v[10:11]
	v_mul_lo_u32 v5, s50, v5
	v_add3_u32 v20, v23, v26, v25
	v_sub_co_u32 v2, vcc_lo, v2, v22
	v_add3_u32 v1, v21, v1, v12
	s_wait_alu 0xfffe
	s_cmp_eq_u64 s[46:47], 0
	s_wait_alu 0xfffd
	v_sub_co_ci_u32_e64 v3, null, v3, v20, vcc_lo
	v_add3_u32 v11, v13, v11, v5
	s_wait_kmcnt 0x0
	v_mad_co_u64_u32 v[12:13], null, s0, v2, v[0:1]
	s_delay_alu instid0(VALU_DEP_3)
	v_mul_lo_u32 v0, s0, v3
	v_mul_lo_u32 v1, s1, v2
	;; [unrolled: 1-line block ×4, first 2 shown]
	v_mad_co_u64_u32 v[10:11], null, s48, v2, v[10:11]
	s_add_nc_u64 s[44:45], s[44:45], -16
	v_add3_u32 v13, v1, v13, v0
	v_dual_mov_b32 v0, v14 :: v_dual_mov_b32 v1, v15
	v_add3_u32 v11, v5, v11, v3
	s_cbranch_scc1 .LBB83_29
.LBB83_21:                              ;   Parent Loop BB83_3 Depth=1
                                        ; =>  This Inner Loop Header: Depth=2
	s_load_b64 s[48:49], s[44:45], 0x8
                                        ; implicit-def: $vgpr2_vgpr3
	s_mov_b32 s0, exec_lo
	s_wait_kmcnt 0x0
	v_or_b32_e32 v5, s49, v1
	s_delay_alu instid0(VALU_DEP_1)
	v_cmpx_ne_u64_e32 0, v[4:5]
	s_wait_alu 0xfffe
	s_xor_b32 s1, exec_lo, s0
	s_cbranch_execz .LBB83_23
; %bb.22:                               ;   in Loop: Header=BB83_21 Depth=2
	s_ashr_i32 s50, s49, 31
	v_ashrrev_i32_e32 v5, 31, v1
	s_wait_alu 0xfffe
	s_mov_b32 s51, s50
	s_wait_alu 0xfffe
	s_add_nc_u64 s[52:53], s[48:49], s[50:51]
	v_add_co_u32 v2, vcc_lo, v0, v5
	s_wait_alu 0xfffe
	s_xor_b64 s[52:53], s[52:53], s[50:51]
	s_wait_alu 0xfffd
	v_add_co_ci_u32_e64 v3, null, v1, v5, vcc_lo
	s_wait_alu 0xfffe
	s_cvt_f32_u32 s0, s52
	s_cvt_f32_u32 s26, s53
	s_sub_nc_u64 s[56:57], 0, s[52:53]
	v_xor_b32_e32 v22, v2, v5
	v_xor_b32_e32 v23, v3, v5
	s_wait_alu 0xfffe
	s_fmamk_f32 s0, s26, 0x4f800000, s0
	v_xor_b32_e32 v5, s50, v5
	s_wait_alu 0xfffe
	s_delay_alu instid0(SALU_CYCLE_1) | instskip(NEXT) | instid1(TRANS32_DEP_1)
	v_s_rcp_f32 s0, s0
	s_mul_f32 s0, s0, 0x5f7ffffc
	s_wait_alu 0xfffe
	s_delay_alu instid0(SALU_CYCLE_2) | instskip(SKIP_1) | instid1(SALU_CYCLE_2)
	s_mul_f32 s26, s0, 0x2f800000
	s_wait_alu 0xfffe
	s_trunc_f32 s26, s26
	s_wait_alu 0xfffe
	s_delay_alu instid0(SALU_CYCLE_2) | instskip(SKIP_2) | instid1(SALU_CYCLE_1)
	s_fmamk_f32 s0, s26, 0xcf800000, s0
	s_cvt_u32_f32 s55, s26
	s_wait_alu 0xfffe
	s_cvt_u32_f32 s54, s0
	s_wait_alu 0xfffe
	s_delay_alu instid0(SALU_CYCLE_2)
	s_mul_u64 s[58:59], s[56:57], s[54:55]
	s_wait_alu 0xfffe
	s_mul_hi_u32 s65, s54, s59
	s_mul_i32 s64, s54, s59
	s_mul_hi_u32 s26, s54, s58
	s_mul_i32 s41, s55, s58
	s_wait_alu 0xfffe
	s_add_nc_u64 s[64:65], s[26:27], s[64:65]
	s_mul_hi_u32 s0, s55, s58
	s_mul_hi_u32 s51, s55, s59
	s_add_co_u32 s26, s64, s41
	s_wait_alu 0xfffe
	s_add_co_ci_u32 s26, s65, s0
	s_mul_i32 s58, s55, s59
	s_add_co_ci_u32 s59, s51, 0
	s_wait_alu 0xfffe
	s_add_nc_u64 s[58:59], s[26:27], s[58:59]
	s_wait_alu 0xfffe
	s_add_co_u32 s54, s54, s58
	s_cselect_b32 s0, -1, 0
	s_wait_alu 0xfffe
	s_cmp_lg_u32 s0, 0
	s_add_co_ci_u32 s55, s55, s59
	s_wait_alu 0xfffe
	s_mul_u64 s[56:57], s[56:57], s[54:55]
	s_wait_alu 0xfffe
	s_mul_hi_u32 s59, s54, s57
	s_mul_i32 s58, s54, s57
	s_mul_hi_u32 s26, s54, s56
	s_mul_i32 s41, s55, s56
	s_wait_alu 0xfffe
	s_add_nc_u64 s[58:59], s[26:27], s[58:59]
	s_mul_hi_u32 s0, s55, s56
	s_mul_hi_u32 s51, s55, s57
	s_wait_alu 0xfffe
	s_add_co_u32 s26, s58, s41
	s_add_co_ci_u32 s26, s59, s0
	s_mul_i32 s56, s55, s57
	s_add_co_ci_u32 s57, s51, 0
	s_wait_alu 0xfffe
	s_add_nc_u64 s[56:57], s[26:27], s[56:57]
	s_wait_alu 0xfffe
	s_add_co_u32 s0, s54, s56
	s_cselect_b32 s26, -1, 0
	s_wait_alu 0xfffe
	v_mul_hi_u32 v24, v22, s0
	s_cmp_lg_u32 s26, 0
	v_mad_co_u64_u32 v[14:15], null, v23, s0, 0
	s_add_co_ci_u32 s26, s55, s57
	s_wait_alu 0xfffe
	v_mad_co_u64_u32 v[2:3], null, v22, s26, 0
	v_mad_co_u64_u32 v[20:21], null, v23, s26, 0
	s_delay_alu instid0(VALU_DEP_2) | instskip(SKIP_1) | instid1(VALU_DEP_3)
	v_add_co_u32 v2, vcc_lo, v24, v2
	s_wait_alu 0xfffd
	v_add_co_ci_u32_e64 v3, null, 0, v3, vcc_lo
	s_delay_alu instid0(VALU_DEP_2) | instskip(SKIP_1) | instid1(VALU_DEP_2)
	v_add_co_u32 v2, vcc_lo, v2, v14
	s_wait_alu 0xfffd
	v_add_co_ci_u32_e32 v2, vcc_lo, v3, v15, vcc_lo
	s_wait_alu 0xfffd
	v_add_co_ci_u32_e32 v3, vcc_lo, 0, v21, vcc_lo
	s_delay_alu instid0(VALU_DEP_2) | instskip(SKIP_1) | instid1(VALU_DEP_2)
	v_add_co_u32 v14, vcc_lo, v2, v20
	s_wait_alu 0xfffd
	v_add_co_ci_u32_e64 v15, null, 0, v3, vcc_lo
	s_delay_alu instid0(VALU_DEP_2) | instskip(SKIP_1) | instid1(VALU_DEP_3)
	v_mul_lo_u32 v20, s53, v14
	v_mad_co_u64_u32 v[2:3], null, s52, v14, 0
	v_mul_lo_u32 v21, s52, v15
	s_delay_alu instid0(VALU_DEP_2) | instskip(NEXT) | instid1(VALU_DEP_2)
	v_sub_co_u32 v2, vcc_lo, v22, v2
	v_add3_u32 v3, v3, v21, v20
	v_add_co_u32 v21, s0, v14, 2
	s_wait_alu 0xf1ff
	v_add_co_ci_u32_e64 v22, null, 0, v15, s0
	s_delay_alu instid0(VALU_DEP_3) | instskip(SKIP_3) | instid1(VALU_DEP_3)
	v_sub_nc_u32_e32 v20, v23, v3
	v_sub_co_u32 v24, s0, v2, s52
	s_wait_alu 0xfffd
	v_sub_co_ci_u32_e64 v3, null, v23, v3, vcc_lo
	v_subrev_co_ci_u32_e64 v20, null, s53, v20, vcc_lo
	s_delay_alu instid0(VALU_DEP_3) | instskip(SKIP_1) | instid1(VALU_DEP_2)
	v_cmp_le_u32_e32 vcc_lo, s52, v24
	s_wait_alu 0xf1ff
	v_subrev_co_ci_u32_e64 v20, null, 0, v20, s0
	s_wait_alu 0xfffd
	v_cndmask_b32_e64 v23, 0, -1, vcc_lo
	s_delay_alu instid0(VALU_DEP_2)
	v_cmp_le_u32_e32 vcc_lo, s53, v20
	s_wait_alu 0xfffd
	v_cndmask_b32_e64 v24, 0, -1, vcc_lo
	v_cmp_le_u32_e32 vcc_lo, s52, v2
	s_wait_alu 0xfffd
	v_cndmask_b32_e64 v2, 0, -1, vcc_lo
	;; [unrolled: 3-line block ×3, first 2 shown]
	v_cmp_eq_u32_e32 vcc_lo, s53, v20
	s_wait_alu 0xfffd
	v_cndmask_b32_e32 v20, v24, v23, vcc_lo
	v_add_co_u32 v23, vcc_lo, v14, 1
	s_wait_alu 0xfffd
	v_add_co_ci_u32_e64 v24, null, 0, v15, vcc_lo
	v_cmp_eq_u32_e32 vcc_lo, s53, v3
	s_wait_alu 0xfffd
	v_cndmask_b32_e32 v2, v25, v2, vcc_lo
	v_cmp_ne_u32_e32 vcc_lo, 0, v20
	s_delay_alu instid0(VALU_DEP_2) | instskip(SKIP_3) | instid1(VALU_DEP_1)
	v_cmp_ne_u32_e64 s0, 0, v2
	s_wait_alu 0xfffd
	v_dual_cndmask_b32 v3, v24, v22 :: v_dual_cndmask_b32 v2, v23, v21
	s_wait_alu 0xf1ff
	v_cndmask_b32_e64 v3, v15, v3, s0
	s_delay_alu instid0(VALU_DEP_2) | instskip(NEXT) | instid1(VALU_DEP_2)
	v_cndmask_b32_e64 v2, v14, v2, s0
	v_xor_b32_e32 v3, v3, v5
	s_delay_alu instid0(VALU_DEP_2) | instskip(NEXT) | instid1(VALU_DEP_1)
	v_xor_b32_e32 v2, v2, v5
	v_sub_co_u32 v2, vcc_lo, v2, v5
	s_wait_alu 0xfffd
	s_delay_alu instid0(VALU_DEP_3)
	v_sub_co_ci_u32_e64 v3, null, v3, v5, vcc_lo
.LBB83_23:                              ;   in Loop: Header=BB83_21 Depth=2
	s_wait_alu 0xfffe
	s_and_not1_saveexec_b32 s0, s1
	s_cbranch_execz .LBB83_25
; %bb.24:                               ;   in Loop: Header=BB83_21 Depth=2
	v_cvt_f32_u32_e32 v2, s48
	s_sub_co_i32 s1, 0, s48
	s_delay_alu instid0(VALU_DEP_1) | instskip(NEXT) | instid1(TRANS32_DEP_1)
	v_rcp_iflag_f32_e32 v2, v2
	v_mul_f32_e32 v2, 0x4f7ffffe, v2
	s_delay_alu instid0(VALU_DEP_1) | instskip(SKIP_1) | instid1(VALU_DEP_1)
	v_cvt_u32_f32_e32 v2, v2
	s_wait_alu 0xfffe
	v_mul_lo_u32 v3, s1, v2
	s_delay_alu instid0(VALU_DEP_1) | instskip(NEXT) | instid1(VALU_DEP_1)
	v_mul_hi_u32 v3, v2, v3
	v_add_nc_u32_e32 v2, v2, v3
	s_delay_alu instid0(VALU_DEP_1) | instskip(NEXT) | instid1(VALU_DEP_1)
	v_mul_hi_u32 v2, v0, v2
	v_mul_lo_u32 v3, v2, s48
	v_add_nc_u32_e32 v5, 1, v2
	s_delay_alu instid0(VALU_DEP_2) | instskip(NEXT) | instid1(VALU_DEP_1)
	v_sub_nc_u32_e32 v3, v0, v3
	v_subrev_nc_u32_e32 v14, s48, v3
	v_cmp_le_u32_e32 vcc_lo, s48, v3
	s_wait_alu 0xfffd
	s_delay_alu instid0(VALU_DEP_2) | instskip(NEXT) | instid1(VALU_DEP_1)
	v_dual_cndmask_b32 v3, v3, v14 :: v_dual_cndmask_b32 v2, v2, v5
	v_cmp_le_u32_e32 vcc_lo, s48, v3
	s_delay_alu instid0(VALU_DEP_2) | instskip(SKIP_1) | instid1(VALU_DEP_1)
	v_add_nc_u32_e32 v5, 1, v2
	s_wait_alu 0xfffd
	v_dual_mov_b32 v3, v4 :: v_dual_cndmask_b32 v2, v2, v5
.LBB83_25:                              ;   in Loop: Header=BB83_21 Depth=2
	s_wait_alu 0xfffe
	s_or_b32 exec_lo, exec_lo, s0
	s_clause 0x1
	s_load_b64 s[54:55], s[44:45], 0x0
	s_load_b64 s[52:53], s[44:45], 0xd0
	;; [unrolled: 1-line block ×3, first 2 shown]
                                        ; implicit-def: $vgpr14_vgpr15
	s_mov_b32 s0, exec_lo
	s_wait_kmcnt 0x0
	v_or_b32_e32 v5, s55, v3
	s_delay_alu instid0(VALU_DEP_1)
	v_cmpx_ne_u64_e32 0, v[4:5]
	s_wait_alu 0xfffe
	s_xor_b32 s1, exec_lo, s0
	s_cbranch_execz .LBB83_27
; %bb.26:                               ;   in Loop: Header=BB83_21 Depth=2
	s_ashr_i32 s56, s55, 31
	v_ashrrev_i32_e32 v5, 31, v3
	s_wait_alu 0xfffe
	s_mov_b32 s57, s56
	s_wait_alu 0xfffe
	s_add_nc_u64 s[58:59], s[54:55], s[56:57]
	v_add_co_u32 v14, vcc_lo, v2, v5
	s_wait_alu 0xfffe
	s_xor_b64 s[58:59], s[58:59], s[56:57]
	s_wait_alu 0xfffd
	v_add_co_ci_u32_e64 v15, null, v3, v5, vcc_lo
	s_wait_alu 0xfffe
	s_cvt_f32_u32 s0, s58
	s_cvt_f32_u32 s26, s59
	s_sub_nc_u64 s[66:67], 0, s[58:59]
	v_xor_b32_e32 v24, v14, v5
	v_xor_b32_e32 v25, v15, v5
	s_wait_alu 0xfffe
	s_fmamk_f32 s0, s26, 0x4f800000, s0
	v_xor_b32_e32 v5, s56, v5
	s_wait_alu 0xfffe
	s_delay_alu instid0(SALU_CYCLE_1) | instskip(NEXT) | instid1(TRANS32_DEP_1)
	v_s_rcp_f32 s0, s0
	s_mul_f32 s0, s0, 0x5f7ffffc
	s_wait_alu 0xfffe
	s_delay_alu instid0(SALU_CYCLE_2) | instskip(SKIP_1) | instid1(SALU_CYCLE_2)
	s_mul_f32 s26, s0, 0x2f800000
	s_wait_alu 0xfffe
	s_trunc_f32 s26, s26
	s_wait_alu 0xfffe
	s_delay_alu instid0(SALU_CYCLE_2) | instskip(SKIP_2) | instid1(SALU_CYCLE_1)
	s_fmamk_f32 s0, s26, 0xcf800000, s0
	s_cvt_u32_f32 s65, s26
	s_wait_alu 0xfffe
	s_cvt_u32_f32 s64, s0
	s_delay_alu instid0(SALU_CYCLE_3) | instskip(NEXT) | instid1(SALU_CYCLE_1)
	s_mul_u64 s[68:69], s[66:67], s[64:65]
	s_mul_hi_u32 s71, s64, s69
	s_mul_i32 s70, s64, s69
	s_mul_hi_u32 s26, s64, s68
	s_mul_i32 s41, s65, s68
	s_wait_alu 0xfffe
	s_add_nc_u64 s[70:71], s[26:27], s[70:71]
	s_mul_hi_u32 s0, s65, s68
	s_mul_hi_u32 s57, s65, s69
	s_add_co_u32 s26, s70, s41
	s_wait_alu 0xfffe
	s_add_co_ci_u32 s26, s71, s0
	s_mul_i32 s68, s65, s69
	s_add_co_ci_u32 s69, s57, 0
	s_wait_alu 0xfffe
	s_add_nc_u64 s[68:69], s[26:27], s[68:69]
	s_delay_alu instid0(SALU_CYCLE_1) | instskip(SKIP_4) | instid1(SALU_CYCLE_1)
	s_add_co_u32 s64, s64, s68
	s_cselect_b32 s0, -1, 0
	s_wait_alu 0xfffe
	s_cmp_lg_u32 s0, 0
	s_add_co_ci_u32 s65, s65, s69
	s_mul_u64 s[66:67], s[66:67], s[64:65]
	s_delay_alu instid0(SALU_CYCLE_1)
	s_mul_hi_u32 s69, s64, s67
	s_mul_i32 s68, s64, s67
	s_mul_hi_u32 s26, s64, s66
	s_mul_i32 s41, s65, s66
	s_wait_alu 0xfffe
	s_add_nc_u64 s[68:69], s[26:27], s[68:69]
	s_mul_hi_u32 s0, s65, s66
	s_mul_hi_u32 s57, s65, s67
	s_add_co_u32 s26, s68, s41
	s_wait_alu 0xfffe
	s_add_co_ci_u32 s26, s69, s0
	s_mul_i32 s66, s65, s67
	s_add_co_ci_u32 s67, s57, 0
	s_wait_alu 0xfffe
	s_add_nc_u64 s[66:67], s[26:27], s[66:67]
	s_delay_alu instid0(SALU_CYCLE_1)
	s_add_co_u32 s0, s64, s66
	s_cselect_b32 s26, -1, 0
	s_wait_alu 0xfffe
	v_mul_hi_u32 v26, v24, s0
	s_cmp_lg_u32 s26, 0
	v_mad_co_u64_u32 v[20:21], null, v25, s0, 0
	s_add_co_ci_u32 s26, s65, s67
	s_wait_alu 0xfffe
	v_mad_co_u64_u32 v[14:15], null, v24, s26, 0
	v_mad_co_u64_u32 v[22:23], null, v25, s26, 0
	s_delay_alu instid0(VALU_DEP_2) | instskip(SKIP_1) | instid1(VALU_DEP_3)
	v_add_co_u32 v14, vcc_lo, v26, v14
	s_wait_alu 0xfffd
	v_add_co_ci_u32_e64 v15, null, 0, v15, vcc_lo
	s_delay_alu instid0(VALU_DEP_2) | instskip(SKIP_1) | instid1(VALU_DEP_2)
	v_add_co_u32 v14, vcc_lo, v14, v20
	s_wait_alu 0xfffd
	v_add_co_ci_u32_e32 v14, vcc_lo, v15, v21, vcc_lo
	s_wait_alu 0xfffd
	v_add_co_ci_u32_e32 v15, vcc_lo, 0, v23, vcc_lo
	s_delay_alu instid0(VALU_DEP_2) | instskip(SKIP_1) | instid1(VALU_DEP_2)
	v_add_co_u32 v20, vcc_lo, v14, v22
	s_wait_alu 0xfffd
	v_add_co_ci_u32_e64 v21, null, 0, v15, vcc_lo
	s_delay_alu instid0(VALU_DEP_2) | instskip(SKIP_1) | instid1(VALU_DEP_3)
	v_mul_lo_u32 v22, s59, v20
	v_mad_co_u64_u32 v[14:15], null, s58, v20, 0
	v_mul_lo_u32 v23, s58, v21
	s_delay_alu instid0(VALU_DEP_2) | instskip(NEXT) | instid1(VALU_DEP_2)
	v_sub_co_u32 v14, vcc_lo, v24, v14
	v_add3_u32 v15, v15, v23, v22
	v_add_co_u32 v23, s0, v20, 2
	s_wait_alu 0xf1ff
	v_add_co_ci_u32_e64 v24, null, 0, v21, s0
	s_delay_alu instid0(VALU_DEP_3) | instskip(SKIP_3) | instid1(VALU_DEP_3)
	v_sub_nc_u32_e32 v22, v25, v15
	v_sub_co_u32 v26, s0, v14, s58
	s_wait_alu 0xfffd
	v_sub_co_ci_u32_e64 v15, null, v25, v15, vcc_lo
	v_subrev_co_ci_u32_e64 v22, null, s59, v22, vcc_lo
	s_delay_alu instid0(VALU_DEP_3) | instskip(SKIP_1) | instid1(VALU_DEP_2)
	v_cmp_le_u32_e32 vcc_lo, s58, v26
	s_wait_alu 0xf1ff
	v_subrev_co_ci_u32_e64 v22, null, 0, v22, s0
	s_wait_alu 0xfffd
	v_cndmask_b32_e64 v25, 0, -1, vcc_lo
	s_delay_alu instid0(VALU_DEP_2)
	v_cmp_le_u32_e32 vcc_lo, s59, v22
	s_wait_alu 0xfffd
	v_cndmask_b32_e64 v26, 0, -1, vcc_lo
	v_cmp_le_u32_e32 vcc_lo, s58, v14
	s_wait_alu 0xfffd
	v_cndmask_b32_e64 v14, 0, -1, vcc_lo
	;; [unrolled: 3-line block ×3, first 2 shown]
	v_cmp_eq_u32_e32 vcc_lo, s59, v22
	s_wait_alu 0xfffd
	v_cndmask_b32_e32 v22, v26, v25, vcc_lo
	v_add_co_u32 v25, vcc_lo, v20, 1
	s_wait_alu 0xfffd
	v_add_co_ci_u32_e64 v26, null, 0, v21, vcc_lo
	v_cmp_eq_u32_e32 vcc_lo, s59, v15
	s_wait_alu 0xfffd
	v_cndmask_b32_e32 v14, v27, v14, vcc_lo
	v_cmp_ne_u32_e32 vcc_lo, 0, v22
	s_wait_alu 0xfffd
	v_cndmask_b32_e32 v15, v26, v24, vcc_lo
	s_delay_alu instid0(VALU_DEP_3) | instskip(SKIP_2) | instid1(VALU_DEP_2)
	v_cmp_ne_u32_e64 s0, 0, v14
	v_cndmask_b32_e32 v14, v25, v23, vcc_lo
	s_wait_alu 0xf1ff
	v_cndmask_b32_e64 v15, v21, v15, s0
	s_delay_alu instid0(VALU_DEP_2) | instskip(NEXT) | instid1(VALU_DEP_2)
	v_cndmask_b32_e64 v14, v20, v14, s0
	v_xor_b32_e32 v15, v15, v5
	s_delay_alu instid0(VALU_DEP_2) | instskip(NEXT) | instid1(VALU_DEP_1)
	v_xor_b32_e32 v14, v14, v5
	v_sub_co_u32 v14, vcc_lo, v14, v5
	s_wait_alu 0xfffd
	s_delay_alu instid0(VALU_DEP_3)
	v_sub_co_ci_u32_e64 v15, null, v15, v5, vcc_lo
.LBB83_27:                              ;   in Loop: Header=BB83_21 Depth=2
	s_wait_alu 0xfffe
	s_and_not1_saveexec_b32 s0, s1
	s_cbranch_execz .LBB83_20
; %bb.28:                               ;   in Loop: Header=BB83_21 Depth=2
	v_cvt_f32_u32_e32 v5, s54
	s_sub_co_i32 s1, 0, s54
	s_delay_alu instid0(VALU_DEP_1) | instskip(NEXT) | instid1(TRANS32_DEP_1)
	v_rcp_iflag_f32_e32 v5, v5
	v_mul_f32_e32 v5, 0x4f7ffffe, v5
	s_delay_alu instid0(VALU_DEP_1) | instskip(SKIP_1) | instid1(VALU_DEP_1)
	v_cvt_u32_f32_e32 v5, v5
	s_wait_alu 0xfffe
	v_mul_lo_u32 v14, s1, v5
	s_delay_alu instid0(VALU_DEP_1) | instskip(NEXT) | instid1(VALU_DEP_1)
	v_mul_hi_u32 v14, v5, v14
	v_add_nc_u32_e32 v5, v5, v14
	s_delay_alu instid0(VALU_DEP_1) | instskip(NEXT) | instid1(VALU_DEP_1)
	v_mul_hi_u32 v5, v2, v5
	v_mul_lo_u32 v14, v5, s54
	v_add_nc_u32_e32 v15, 1, v5
	s_delay_alu instid0(VALU_DEP_2) | instskip(NEXT) | instid1(VALU_DEP_1)
	v_sub_nc_u32_e32 v14, v2, v14
	v_subrev_nc_u32_e32 v20, s54, v14
	v_cmp_le_u32_e32 vcc_lo, s54, v14
	s_wait_alu 0xfffd
	s_delay_alu instid0(VALU_DEP_2) | instskip(NEXT) | instid1(VALU_DEP_1)
	v_dual_cndmask_b32 v14, v14, v20 :: v_dual_cndmask_b32 v5, v5, v15
	v_cmp_le_u32_e32 vcc_lo, s54, v14
	s_delay_alu instid0(VALU_DEP_2) | instskip(SKIP_1) | instid1(VALU_DEP_1)
	v_add_nc_u32_e32 v15, 1, v5
	s_wait_alu 0xfffd
	v_dual_cndmask_b32 v14, v5, v15 :: v_dual_mov_b32 v15, v4
	s_branch .LBB83_20
.LBB83_29:                              ;   in Loop: Header=BB83_3 Depth=1
	v_sub_co_u32 v14, vcc_lo, v8, v18
	s_wait_alu 0xfffd
	v_sub_co_ci_u32_e64 v15, null, v9, v19, vcc_lo
	v_mov_b32_e32 v2, 0
	s_delay_alu instid0(VALU_DEP_3) | instskip(SKIP_1) | instid1(VALU_DEP_3)
	v_add_co_u32 v0, vcc_lo, v14, 1
	s_wait_alu 0xfffd
	v_add_co_ci_u32_e64 v1, null, 0, v15, vcc_lo
	v_mov_b32_e32 v3, 0
	s_delay_alu instid0(VALU_DEP_2)
	v_cmp_le_i64_e32 vcc_lo, s[4:5], v[0:1]
	v_mov_b32_e32 v0, 0
	v_mov_b32_e32 v1, 0
	s_and_saveexec_b32 s0, vcc_lo
	s_cbranch_execz .LBB83_33
; %bb.30:                               ;   in Loop: Header=BB83_3 Depth=1
	v_mov_b32_e32 v0, 0
	v_dual_mov_b32 v1, 0 :: v_dual_mov_b32 v2, 0
	v_mov_b32_e32 v3, 0
	s_mov_b32 s1, exec_lo
	v_cmpx_gt_i64_e64 s[10:11], v[8:9]
	s_cbranch_execz .LBB83_32
; %bb.31:                               ;   in Loop: Header=BB83_3 Depth=1
	v_lshlrev_b64_e32 v[0:1], 4, v[12:13]
	s_delay_alu instid0(VALU_DEP_1) | instskip(SKIP_1) | instid1(VALU_DEP_2)
	v_add_co_u32 v0, vcc_lo, s2, v0
	s_wait_alu 0xfffd
	v_add_co_ci_u32_e64 v1, null, s3, v1, vcc_lo
	global_load_b128 v[0:3], v[0:1], off
.LBB83_32:                              ;   in Loop: Header=BB83_3 Depth=1
	s_wait_alu 0xfffe
	s_or_b32 exec_lo, exec_lo, s1
	v_cmp_gt_i64_e32 vcc_lo, s[4:5], v[14:15]
	s_wait_loadcnt 0x0
	s_wait_alu 0xfffd
	v_cndmask_b32_e64 v1, v1, 0, vcc_lo
	v_cndmask_b32_e64 v0, v0, 0, vcc_lo
	;; [unrolled: 1-line block ×4, first 2 shown]
.LBB83_33:                              ;   in Loop: Header=BB83_3 Depth=1
	s_wait_alu 0xfffe
	s_or_b32 exec_lo, exec_lo, s0
	s_delay_alu instid0(SALU_CYCLE_1)
	s_mov_b32 s0, exec_lo
	v_cmpx_gt_i64_e64 s[10:11], v[8:9]
	s_cbranch_execz .LBB83_2
; %bb.34:                               ;   in Loop: Header=BB83_3 Depth=1
	v_lshlrev_b64_e32 v[8:9], 4, v[10:11]
	s_delay_alu instid0(VALU_DEP_1) | instskip(SKIP_1) | instid1(VALU_DEP_2)
	v_add_co_u32 v8, vcc_lo, s24, v8
	s_wait_alu 0xfffd
	v_add_co_ci_u32_e64 v9, null, s25, v9, vcc_lo
	global_store_b128 v[8:9], v[0:3], off
	s_branch .LBB83_2
.LBB83_35:
	s_endpgm
	.section	.rodata,"a",@progbits
	.p2align	6, 0x0
	.amdhsa_kernel _ZN2at6native16triu_tril_kernelIN3c107complexIdEElLb1ELi1ELb0EEEvNS_4cuda6detail10TensorInfoIT_T0_EENS7_IKS8_S9_EEllS9_
		.amdhsa_group_segment_fixed_size 0
		.amdhsa_private_segment_fixed_size 0
		.amdhsa_kernarg_size 1112
		.amdhsa_user_sgpr_count 2
		.amdhsa_user_sgpr_dispatch_ptr 0
		.amdhsa_user_sgpr_queue_ptr 0
		.amdhsa_user_sgpr_kernarg_segment_ptr 1
		.amdhsa_user_sgpr_dispatch_id 0
		.amdhsa_user_sgpr_private_segment_size 0
		.amdhsa_wavefront_size32 1
		.amdhsa_uses_dynamic_stack 0
		.amdhsa_enable_private_segment 0
		.amdhsa_system_sgpr_workgroup_id_x 1
		.amdhsa_system_sgpr_workgroup_id_y 0
		.amdhsa_system_sgpr_workgroup_id_z 0
		.amdhsa_system_sgpr_workgroup_info 0
		.amdhsa_system_vgpr_workitem_id 0
		.amdhsa_next_free_vgpr 28
		.amdhsa_next_free_sgpr 72
		.amdhsa_reserve_vcc 1
		.amdhsa_float_round_mode_32 0
		.amdhsa_float_round_mode_16_64 0
		.amdhsa_float_denorm_mode_32 3
		.amdhsa_float_denorm_mode_16_64 3
		.amdhsa_fp16_overflow 0
		.amdhsa_workgroup_processor_mode 1
		.amdhsa_memory_ordered 1
		.amdhsa_forward_progress 1
		.amdhsa_inst_pref_size 50
		.amdhsa_round_robin_scheduling 0
		.amdhsa_exception_fp_ieee_invalid_op 0
		.amdhsa_exception_fp_denorm_src 0
		.amdhsa_exception_fp_ieee_div_zero 0
		.amdhsa_exception_fp_ieee_overflow 0
		.amdhsa_exception_fp_ieee_underflow 0
		.amdhsa_exception_fp_ieee_inexact 0
		.amdhsa_exception_int_div_zero 0
	.end_amdhsa_kernel
	.section	.text._ZN2at6native16triu_tril_kernelIN3c107complexIdEElLb1ELi1ELb0EEEvNS_4cuda6detail10TensorInfoIT_T0_EENS7_IKS8_S9_EEllS9_,"axG",@progbits,_ZN2at6native16triu_tril_kernelIN3c107complexIdEElLb1ELi1ELb0EEEvNS_4cuda6detail10TensorInfoIT_T0_EENS7_IKS8_S9_EEllS9_,comdat
.Lfunc_end83:
	.size	_ZN2at6native16triu_tril_kernelIN3c107complexIdEElLb1ELi1ELb0EEEvNS_4cuda6detail10TensorInfoIT_T0_EENS7_IKS8_S9_EEllS9_, .Lfunc_end83-_ZN2at6native16triu_tril_kernelIN3c107complexIdEElLb1ELi1ELb0EEEvNS_4cuda6detail10TensorInfoIT_T0_EENS7_IKS8_S9_EEllS9_
                                        ; -- End function
	.set _ZN2at6native16triu_tril_kernelIN3c107complexIdEElLb1ELi1ELb0EEEvNS_4cuda6detail10TensorInfoIT_T0_EENS7_IKS8_S9_EEllS9_.num_vgpr, 28
	.set _ZN2at6native16triu_tril_kernelIN3c107complexIdEElLb1ELi1ELb0EEEvNS_4cuda6detail10TensorInfoIT_T0_EENS7_IKS8_S9_EEllS9_.num_agpr, 0
	.set _ZN2at6native16triu_tril_kernelIN3c107complexIdEElLb1ELi1ELb0EEEvNS_4cuda6detail10TensorInfoIT_T0_EENS7_IKS8_S9_EEllS9_.numbered_sgpr, 72
	.set _ZN2at6native16triu_tril_kernelIN3c107complexIdEElLb1ELi1ELb0EEEvNS_4cuda6detail10TensorInfoIT_T0_EENS7_IKS8_S9_EEllS9_.num_named_barrier, 0
	.set _ZN2at6native16triu_tril_kernelIN3c107complexIdEElLb1ELi1ELb0EEEvNS_4cuda6detail10TensorInfoIT_T0_EENS7_IKS8_S9_EEllS9_.private_seg_size, 0
	.set _ZN2at6native16triu_tril_kernelIN3c107complexIdEElLb1ELi1ELb0EEEvNS_4cuda6detail10TensorInfoIT_T0_EENS7_IKS8_S9_EEllS9_.uses_vcc, 1
	.set _ZN2at6native16triu_tril_kernelIN3c107complexIdEElLb1ELi1ELb0EEEvNS_4cuda6detail10TensorInfoIT_T0_EENS7_IKS8_S9_EEllS9_.uses_flat_scratch, 0
	.set _ZN2at6native16triu_tril_kernelIN3c107complexIdEElLb1ELi1ELb0EEEvNS_4cuda6detail10TensorInfoIT_T0_EENS7_IKS8_S9_EEllS9_.has_dyn_sized_stack, 0
	.set _ZN2at6native16triu_tril_kernelIN3c107complexIdEElLb1ELi1ELb0EEEvNS_4cuda6detail10TensorInfoIT_T0_EENS7_IKS8_S9_EEllS9_.has_recursion, 0
	.set _ZN2at6native16triu_tril_kernelIN3c107complexIdEElLb1ELi1ELb0EEEvNS_4cuda6detail10TensorInfoIT_T0_EENS7_IKS8_S9_EEllS9_.has_indirect_call, 0
	.section	.AMDGPU.csdata,"",@progbits
; Kernel info:
; codeLenInByte = 6312
; TotalNumSgprs: 74
; NumVgprs: 28
; ScratchSize: 0
; MemoryBound: 1
; FloatMode: 240
; IeeeMode: 1
; LDSByteSize: 0 bytes/workgroup (compile time only)
; SGPRBlocks: 0
; VGPRBlocks: 3
; NumSGPRsForWavesPerEU: 74
; NumVGPRsForWavesPerEU: 28
; Occupancy: 16
; WaveLimiterHint : 0
; COMPUTE_PGM_RSRC2:SCRATCH_EN: 0
; COMPUTE_PGM_RSRC2:USER_SGPR: 2
; COMPUTE_PGM_RSRC2:TRAP_HANDLER: 0
; COMPUTE_PGM_RSRC2:TGID_X_EN: 1
; COMPUTE_PGM_RSRC2:TGID_Y_EN: 0
; COMPUTE_PGM_RSRC2:TGID_Z_EN: 0
; COMPUTE_PGM_RSRC2:TIDIG_COMP_CNT: 0
	.section	.text._ZN2at6native16triu_tril_kernelIN3c107complexIfEEiLb1ELi2ELb1EEEvNS_4cuda6detail10TensorInfoIT_T0_EENS7_IKS8_S9_EEllS9_,"axG",@progbits,_ZN2at6native16triu_tril_kernelIN3c107complexIfEEiLb1ELi2ELb1EEEvNS_4cuda6detail10TensorInfoIT_T0_EENS7_IKS8_S9_EEllS9_,comdat
	.protected	_ZN2at6native16triu_tril_kernelIN3c107complexIfEEiLb1ELi2ELb1EEEvNS_4cuda6detail10TensorInfoIT_T0_EENS7_IKS8_S9_EEllS9_ ; -- Begin function _ZN2at6native16triu_tril_kernelIN3c107complexIfEEiLb1ELi2ELb1EEEvNS_4cuda6detail10TensorInfoIT_T0_EENS7_IKS8_S9_EEllS9_
	.globl	_ZN2at6native16triu_tril_kernelIN3c107complexIfEEiLb1ELi2ELb1EEEvNS_4cuda6detail10TensorInfoIT_T0_EENS7_IKS8_S9_EEllS9_
	.p2align	8
	.type	_ZN2at6native16triu_tril_kernelIN3c107complexIfEEiLb1ELi2ELb1EEEvNS_4cuda6detail10TensorInfoIT_T0_EENS7_IKS8_S9_EEllS9_,@function
_ZN2at6native16triu_tril_kernelIN3c107complexIfEEiLb1ELi2ELb1EEEvNS_4cuda6detail10TensorInfoIT_T0_EENS7_IKS8_S9_EEllS9_: ; @_ZN2at6native16triu_tril_kernelIN3c107complexIfEEiLb1ELi2ELb1EEEvNS_4cuda6detail10TensorInfoIT_T0_EENS7_IKS8_S9_EEllS9_
; %bb.0:
	s_clause 0x1
	s_load_b32 s2, s[0:1], 0x1d4
	s_load_b128 s[4:7], s[0:1], 0x1b0
	v_mov_b32_e32 v2, 0
	s_mov_b32 s3, exec_lo
	s_delay_alu instid0(VALU_DEP_1)
	v_mov_b32_e32 v1, v2
	s_wait_kmcnt 0x0
	s_and_b32 s2, s2, 0xffff
	s_delay_alu instid0(VALU_DEP_1) | instid1(SALU_CYCLE_1)
	v_mad_co_u64_u32 v[0:1], null, s2, ttmp9, v[0:1]
	s_delay_alu instid0(VALU_DEP_1) | instskip(NEXT) | instid1(VALU_DEP_1)
	v_lshlrev_b64_e32 v[0:1], 1, v[0:1]
	v_cmpx_gt_i64_e64 s[6:7], v[0:1]
	s_cbranch_execz .LBB84_60
; %bb.1:
	s_clause 0x1
	s_load_b32 s20, s[0:1], 0x1a8
	s_load_b32 s8, s[0:1], 0x1c0
	s_add_nc_u64 s[12:13], s[0:1], 0x1c8
	s_add_nc_u64 s[10:11], s[0:1], 0xd8
	s_load_b32 s3, s[12:13], 0x0
	s_mov_b32 s19, 0
	s_mov_b32 s57, 0
	s_wait_kmcnt 0x0
	s_ashr_i32 s21, s20, 31
	v_cvt_f32_u32_e32 v3, s8
	s_lshl_b64 s[22:23], s[20:21], 2
	s_add_co_i32 s9, s20, 6
	s_add_nc_u64 s[12:13], s[10:11], s[22:23]
	s_mul_i32 s3, s3, s2
	s_clause 0x1
	s_load_b32 s14, s[12:13], 0x0
	s_load_b64 s[16:17], s[0:1], 0x0
	v_rcp_iflag_f32_e32 v3, v3
	s_and_b32 s18, s20, 7
	s_add_co_i32 s33, s20, -3
	s_and_b32 s52, s9, 7
	s_lshl_b32 s53, s3, 1
	s_ashr_i32 s9, s8, 31
	v_cmp_gt_i64_e64 s56, s[20:21], 2
	s_add_nc_u64 s[20:21], s[0:1], s[22:23]
	s_wait_kmcnt 0x0
	v_cvt_f32_u32_e32 v4, s14
	s_ashr_i32 s15, s14, 31
	s_cmp_lg_u32 s18, 2
	s_cselect_b32 s54, -1, 0
	s_delay_alu instid0(VALU_DEP_1)
	v_rcp_iflag_f32_e32 v4, v4
	v_mul_f32_e32 v3, 0x4f7ffffe, v3
	s_cmp_gt_u32 s33, 6
	s_cselect_b32 s55, -1, 0
	s_sub_co_i32 s2, 0, s8
	s_wait_alu 0xfffe
	s_ashr_i32 s22, s9, 31
	s_ashr_i32 s24, s15, 31
	s_delay_alu instid0(TRANS32_DEP_1) | instskip(SKIP_1) | instid1(VALU_DEP_2)
	v_mul_f32_e32 v4, 0x4f7ffffe, v4
	v_cvt_u32_f32_e32 v3, v3
	v_cvt_u32_f32_e32 v24, v4
	s_delay_alu instid0(VALU_DEP_2) | instskip(NEXT) | instid1(VALU_DEP_1)
	v_mul_lo_u32 v5, s2, v3
	v_mul_hi_u32 v5, v3, v5
	s_delay_alu instid0(VALU_DEP_1)
	v_add_nc_u32_e32 v25, v3, v5
	s_branch .LBB84_3
.LBB84_2:                               ;   in Loop: Header=BB84_3 Depth=1
	s_wait_alu 0xfffe
	s_or_b32 exec_lo, exec_lo, s23
	v_add_co_u32 v0, vcc_lo, v0, s53
	s_wait_alu 0xfffd
	v_add_co_ci_u32_e64 v1, null, 0, v1, vcc_lo
	s_delay_alu instid0(VALU_DEP_1) | instskip(SKIP_1) | instid1(SALU_CYCLE_1)
	v_cmp_le_i64_e32 vcc_lo, s[6:7], v[0:1]
	s_or_b32 s57, vcc_lo, s57
	s_and_not1_b32 exec_lo, exec_lo, s57
	s_cbranch_execz .LBB84_60
.LBB84_3:                               ; =>This Loop Header: Depth=1
                                        ;     Child Loop BB84_16 Depth 2
                                        ;     Child Loop BB84_22 Depth 2
	v_or_b32_e32 v3, s9, v1
                                        ; implicit-def: $vgpr4_vgpr5
	s_mov_b32 s2, exec_lo
	s_delay_alu instid0(VALU_DEP_1)
	v_cmpx_ne_u64_e32 0, v[2:3]
	s_wait_alu 0xfffe
	s_xor_b32 s3, exec_lo, s2
	s_cbranch_execz .LBB84_5
; %bb.4:                                ;   in Loop: Header=BB84_3 Depth=1
	s_mov_b32 s23, s22
	v_ashrrev_i32_e32 v9, 31, v1
	s_wait_alu 0xfffe
	s_add_nc_u64 s[26:27], s[8:9], s[22:23]
	s_wait_alu 0xfffe
	s_xor_b64 s[26:27], s[26:27], s[22:23]
	v_add_co_u32 v3, vcc_lo, v0, v9
	s_wait_alu 0xfffe
	s_cvt_f32_u32 s2, s26
	s_cvt_f32_u32 s18, s27
	s_sub_nc_u64 s[30:31], 0, s[26:27]
	s_wait_alu 0xfffd
	v_add_co_ci_u32_e64 v4, null, v1, v9, vcc_lo
	s_wait_alu 0xfffe
	s_fmamk_f32 s2, s18, 0x4f800000, s2
	v_xor_b32_e32 v10, v3, v9
	s_delay_alu instid0(VALU_DEP_2) | instskip(SKIP_2) | instid1(TRANS32_DEP_1)
	v_xor_b32_e32 v11, v4, v9
	s_wait_alu 0xfffe
	v_s_rcp_f32 s2, s2
	s_mul_f32 s2, s2, 0x5f7ffffc
	s_wait_alu 0xfffe
	s_delay_alu instid0(SALU_CYCLE_2) | instskip(SKIP_1) | instid1(SALU_CYCLE_2)
	s_mul_f32 s18, s2, 0x2f800000
	s_wait_alu 0xfffe
	s_trunc_f32 s18, s18
	s_wait_alu 0xfffe
	s_delay_alu instid0(SALU_CYCLE_2) | instskip(SKIP_2) | instid1(SALU_CYCLE_1)
	s_fmamk_f32 s2, s18, 0xcf800000, s2
	s_cvt_u32_f32 s29, s18
	s_wait_alu 0xfffe
	s_cvt_u32_f32 s28, s2
	s_wait_alu 0xfffe
	s_delay_alu instid0(SALU_CYCLE_2)
	s_mul_u64 s[34:35], s[30:31], s[28:29]
	s_wait_alu 0xfffe
	s_mul_hi_u32 s37, s28, s35
	s_mul_i32 s36, s28, s35
	s_mul_hi_u32 s18, s28, s34
	s_mul_i32 s23, s29, s34
	s_wait_alu 0xfffe
	s_add_nc_u64 s[36:37], s[18:19], s[36:37]
	s_mul_hi_u32 s2, s29, s34
	s_mul_hi_u32 s25, s29, s35
	s_wait_alu 0xfffe
	s_add_co_u32 s18, s36, s23
	s_add_co_ci_u32 s18, s37, s2
	s_mul_i32 s34, s29, s35
	s_add_co_ci_u32 s35, s25, 0
	s_wait_alu 0xfffe
	s_add_nc_u64 s[34:35], s[18:19], s[34:35]
	s_wait_alu 0xfffe
	s_add_co_u32 s28, s28, s34
	s_cselect_b32 s2, -1, 0
	s_wait_alu 0xfffe
	s_cmp_lg_u32 s2, 0
	s_add_co_ci_u32 s29, s29, s35
	s_wait_alu 0xfffe
	s_mul_u64 s[30:31], s[30:31], s[28:29]
	s_wait_alu 0xfffe
	s_mul_hi_u32 s35, s28, s31
	s_mul_i32 s34, s28, s31
	s_mul_hi_u32 s18, s28, s30
	s_mul_i32 s23, s29, s30
	s_wait_alu 0xfffe
	s_add_nc_u64 s[34:35], s[18:19], s[34:35]
	s_mul_hi_u32 s2, s29, s30
	s_mul_hi_u32 s25, s29, s31
	s_wait_alu 0xfffe
	s_add_co_u32 s18, s34, s23
	s_add_co_ci_u32 s18, s35, s2
	s_mul_i32 s30, s29, s31
	s_add_co_ci_u32 s31, s25, 0
	s_wait_alu 0xfffe
	s_add_nc_u64 s[30:31], s[18:19], s[30:31]
	s_wait_alu 0xfffe
	s_add_co_u32 s2, s28, s30
	s_cselect_b32 s18, -1, 0
	s_wait_alu 0xfffe
	v_mul_hi_u32 v12, v10, s2
	s_cmp_lg_u32 s18, 0
	v_mad_co_u64_u32 v[5:6], null, v11, s2, 0
	s_add_co_ci_u32 s18, s29, s31
	s_wait_alu 0xfffe
	v_mad_co_u64_u32 v[3:4], null, v10, s18, 0
	v_mad_co_u64_u32 v[7:8], null, v11, s18, 0
	s_delay_alu instid0(VALU_DEP_2) | instskip(SKIP_1) | instid1(VALU_DEP_3)
	v_add_co_u32 v3, vcc_lo, v12, v3
	s_wait_alu 0xfffd
	v_add_co_ci_u32_e64 v4, null, 0, v4, vcc_lo
	s_delay_alu instid0(VALU_DEP_2) | instskip(SKIP_1) | instid1(VALU_DEP_2)
	v_add_co_u32 v3, vcc_lo, v3, v5
	s_wait_alu 0xfffd
	v_add_co_ci_u32_e32 v3, vcc_lo, v4, v6, vcc_lo
	s_wait_alu 0xfffd
	v_add_co_ci_u32_e32 v4, vcc_lo, 0, v8, vcc_lo
	s_delay_alu instid0(VALU_DEP_2) | instskip(SKIP_1) | instid1(VALU_DEP_2)
	v_add_co_u32 v5, vcc_lo, v3, v7
	s_wait_alu 0xfffd
	v_add_co_ci_u32_e64 v6, null, 0, v4, vcc_lo
	s_delay_alu instid0(VALU_DEP_2) | instskip(SKIP_1) | instid1(VALU_DEP_3)
	v_mul_lo_u32 v7, s27, v5
	v_mad_co_u64_u32 v[3:4], null, s26, v5, 0
	v_mul_lo_u32 v8, s26, v6
	s_delay_alu instid0(VALU_DEP_2) | instskip(NEXT) | instid1(VALU_DEP_2)
	v_sub_co_u32 v3, vcc_lo, v10, v3
	v_add3_u32 v4, v4, v8, v7
	v_add_co_u32 v8, s2, v5, 2
	s_wait_alu 0xf1ff
	v_add_co_ci_u32_e64 v10, null, 0, v6, s2
	s_delay_alu instid0(VALU_DEP_3) | instskip(SKIP_3) | instid1(VALU_DEP_3)
	v_sub_nc_u32_e32 v7, v11, v4
	v_sub_co_u32 v12, s2, v3, s26
	s_wait_alu 0xfffd
	v_sub_co_ci_u32_e64 v4, null, v11, v4, vcc_lo
	v_subrev_co_ci_u32_e64 v7, null, s27, v7, vcc_lo
	s_delay_alu instid0(VALU_DEP_3) | instskip(SKIP_1) | instid1(VALU_DEP_2)
	v_cmp_le_u32_e32 vcc_lo, s26, v12
	s_wait_alu 0xf1ff
	v_subrev_co_ci_u32_e64 v7, null, 0, v7, s2
	s_wait_alu 0xfffd
	v_cndmask_b32_e64 v11, 0, -1, vcc_lo
	s_delay_alu instid0(VALU_DEP_2)
	v_cmp_le_u32_e32 vcc_lo, s27, v7
	s_wait_alu 0xfffd
	v_cndmask_b32_e64 v12, 0, -1, vcc_lo
	v_cmp_le_u32_e32 vcc_lo, s26, v3
	s_wait_alu 0xfffd
	v_cndmask_b32_e64 v3, 0, -1, vcc_lo
	;; [unrolled: 3-line block ×3, first 2 shown]
	v_cmp_eq_u32_e32 vcc_lo, s27, v7
	s_wait_alu 0xfffd
	v_cndmask_b32_e32 v7, v12, v11, vcc_lo
	v_add_co_u32 v11, vcc_lo, v5, 1
	s_wait_alu 0xfffd
	v_add_co_ci_u32_e64 v12, null, 0, v6, vcc_lo
	v_cmp_eq_u32_e32 vcc_lo, s27, v4
	s_wait_alu 0xfffd
	v_cndmask_b32_e32 v3, v13, v3, vcc_lo
	v_cmp_ne_u32_e32 vcc_lo, 0, v7
	v_xor_b32_e32 v7, s22, v9
	s_wait_alu 0xfffd
	v_cndmask_b32_e32 v4, v12, v10, vcc_lo
	v_cmp_ne_u32_e64 s2, 0, v3
	v_cndmask_b32_e32 v3, v11, v8, vcc_lo
	s_wait_alu 0xf1ff
	s_delay_alu instid0(VALU_DEP_2) | instskip(NEXT) | instid1(VALU_DEP_2)
	v_cndmask_b32_e64 v4, v6, v4, s2
	v_cndmask_b32_e64 v3, v5, v3, s2
	s_delay_alu instid0(VALU_DEP_2) | instskip(NEXT) | instid1(VALU_DEP_2)
	v_xor_b32_e32 v5, v4, v7
	v_xor_b32_e32 v3, v3, v7
	s_delay_alu instid0(VALU_DEP_1) | instskip(SKIP_1) | instid1(VALU_DEP_3)
	v_sub_co_u32 v4, vcc_lo, v3, v7
	s_wait_alu 0xfffd
	v_sub_co_ci_u32_e64 v5, null, v5, v7, vcc_lo
.LBB84_5:                               ;   in Loop: Header=BB84_3 Depth=1
	s_wait_alu 0xfffe
	s_and_not1_saveexec_b32 s2, s3
	s_cbranch_execz .LBB84_7
; %bb.6:                                ;   in Loop: Header=BB84_3 Depth=1
	v_mul_hi_u32 v3, v0, v25
	s_delay_alu instid0(VALU_DEP_1) | instskip(NEXT) | instid1(VALU_DEP_1)
	v_mul_lo_u32 v4, v3, s8
	v_sub_nc_u32_e32 v4, v0, v4
	s_delay_alu instid0(VALU_DEP_1) | instskip(SKIP_2) | instid1(VALU_DEP_2)
	v_subrev_nc_u32_e32 v6, s8, v4
	v_cmp_le_u32_e32 vcc_lo, s8, v4
	s_wait_alu 0xfffd
	v_dual_cndmask_b32 v4, v4, v6 :: v_dual_add_nc_u32 v5, 1, v3
	s_delay_alu instid0(VALU_DEP_1) | instskip(NEXT) | instid1(VALU_DEP_2)
	v_cndmask_b32_e32 v3, v3, v5, vcc_lo
	v_cmp_le_u32_e32 vcc_lo, s8, v4
	s_delay_alu instid0(VALU_DEP_2) | instskip(SKIP_1) | instid1(VALU_DEP_1)
	v_add_nc_u32_e32 v5, 1, v3
	s_wait_alu 0xfffd
	v_dual_cndmask_b32 v4, v3, v5 :: v_dual_mov_b32 v5, v2
.LBB84_7:                               ;   in Loop: Header=BB84_3 Depth=1
	s_wait_alu 0xfffe
	s_or_b32 exec_lo, exec_lo, s2
	s_delay_alu instid0(VALU_DEP_1) | instskip(SKIP_1) | instid1(VALU_DEP_1)
	v_or_b32_e32 v3, s15, v5
                                        ; implicit-def: $vgpr6_vgpr7
	s_mov_b32 s2, exec_lo
	v_cmpx_ne_u64_e32 0, v[2:3]
	s_wait_alu 0xfffe
	s_xor_b32 s3, exec_lo, s2
	s_cbranch_execz .LBB84_9
; %bb.8:                                ;   in Loop: Header=BB84_3 Depth=1
	s_mov_b32 s25, s24
	v_ashrrev_i32_e32 v3, 31, v5
	s_wait_alu 0xfffe
	s_add_nc_u64 s[26:27], s[14:15], s[24:25]
	s_wait_alu 0xfffe
	s_xor_b64 s[26:27], s[26:27], s[24:25]
	v_add_co_u32 v6, vcc_lo, v4, v3
	s_wait_alu 0xfffe
	s_cvt_f32_u32 s2, s26
	s_cvt_f32_u32 s18, s27
	s_sub_nc_u64 s[30:31], 0, s[26:27]
	s_wait_alu 0xfffd
	v_add_co_ci_u32_e64 v5, null, v5, v3, vcc_lo
	s_wait_alu 0xfffe
	s_fmamk_f32 s2, s18, 0x4f800000, s2
	v_xor_b32_e32 v11, v6, v3
	s_delay_alu instid0(VALU_DEP_2) | instskip(SKIP_3) | instid1(TRANS32_DEP_1)
	v_xor_b32_e32 v12, v5, v3
	s_wait_alu 0xfffe
	v_s_rcp_f32 s2, s2
	v_xor_b32_e32 v3, s24, v3
	s_mul_f32 s2, s2, 0x5f7ffffc
	s_wait_alu 0xfffe
	s_delay_alu instid0(SALU_CYCLE_2) | instskip(SKIP_1) | instid1(SALU_CYCLE_2)
	s_mul_f32 s18, s2, 0x2f800000
	s_wait_alu 0xfffe
	s_trunc_f32 s18, s18
	s_wait_alu 0xfffe
	s_delay_alu instid0(SALU_CYCLE_2) | instskip(SKIP_2) | instid1(SALU_CYCLE_1)
	s_fmamk_f32 s2, s18, 0xcf800000, s2
	s_cvt_u32_f32 s29, s18
	s_wait_alu 0xfffe
	s_cvt_u32_f32 s28, s2
	s_wait_alu 0xfffe
	s_delay_alu instid0(SALU_CYCLE_2)
	s_mul_u64 s[34:35], s[30:31], s[28:29]
	s_wait_alu 0xfffe
	s_mul_hi_u32 s37, s28, s35
	s_mul_i32 s36, s28, s35
	s_mul_hi_u32 s18, s28, s34
	s_mul_i32 s23, s29, s34
	s_wait_alu 0xfffe
	s_add_nc_u64 s[36:37], s[18:19], s[36:37]
	s_mul_hi_u32 s2, s29, s34
	s_mul_hi_u32 s25, s29, s35
	s_wait_alu 0xfffe
	s_add_co_u32 s18, s36, s23
	s_add_co_ci_u32 s18, s37, s2
	s_mul_i32 s34, s29, s35
	s_add_co_ci_u32 s35, s25, 0
	s_wait_alu 0xfffe
	s_add_nc_u64 s[34:35], s[18:19], s[34:35]
	s_wait_alu 0xfffe
	s_add_co_u32 s28, s28, s34
	s_cselect_b32 s2, -1, 0
	s_wait_alu 0xfffe
	s_cmp_lg_u32 s2, 0
	s_add_co_ci_u32 s29, s29, s35
	s_wait_alu 0xfffe
	s_mul_u64 s[30:31], s[30:31], s[28:29]
	s_wait_alu 0xfffe
	s_mul_hi_u32 s35, s28, s31
	s_mul_i32 s34, s28, s31
	s_mul_hi_u32 s18, s28, s30
	s_mul_i32 s23, s29, s30
	s_wait_alu 0xfffe
	s_add_nc_u64 s[34:35], s[18:19], s[34:35]
	s_mul_hi_u32 s2, s29, s30
	s_mul_hi_u32 s25, s29, s31
	s_wait_alu 0xfffe
	s_add_co_u32 s18, s34, s23
	s_add_co_ci_u32 s18, s35, s2
	s_mul_i32 s30, s29, s31
	s_add_co_ci_u32 s31, s25, 0
	s_wait_alu 0xfffe
	s_add_nc_u64 s[30:31], s[18:19], s[30:31]
	s_wait_alu 0xfffe
	s_add_co_u32 s2, s28, s30
	s_cselect_b32 s18, -1, 0
	s_wait_alu 0xfffe
	v_mul_hi_u32 v13, v11, s2
	s_cmp_lg_u32 s18, 0
	v_mad_co_u64_u32 v[7:8], null, v12, s2, 0
	s_add_co_ci_u32 s18, s29, s31
	s_wait_alu 0xfffe
	v_mad_co_u64_u32 v[5:6], null, v11, s18, 0
	v_mad_co_u64_u32 v[9:10], null, v12, s18, 0
	s_delay_alu instid0(VALU_DEP_2) | instskip(SKIP_1) | instid1(VALU_DEP_3)
	v_add_co_u32 v5, vcc_lo, v13, v5
	s_wait_alu 0xfffd
	v_add_co_ci_u32_e64 v6, null, 0, v6, vcc_lo
	s_delay_alu instid0(VALU_DEP_2) | instskip(SKIP_1) | instid1(VALU_DEP_2)
	v_add_co_u32 v5, vcc_lo, v5, v7
	s_wait_alu 0xfffd
	v_add_co_ci_u32_e32 v5, vcc_lo, v6, v8, vcc_lo
	s_wait_alu 0xfffd
	v_add_co_ci_u32_e32 v6, vcc_lo, 0, v10, vcc_lo
	s_delay_alu instid0(VALU_DEP_2) | instskip(SKIP_1) | instid1(VALU_DEP_2)
	v_add_co_u32 v7, vcc_lo, v5, v9
	s_wait_alu 0xfffd
	v_add_co_ci_u32_e64 v8, null, 0, v6, vcc_lo
	s_delay_alu instid0(VALU_DEP_2) | instskip(SKIP_1) | instid1(VALU_DEP_3)
	v_mul_lo_u32 v9, s27, v7
	v_mad_co_u64_u32 v[5:6], null, s26, v7, 0
	v_mul_lo_u32 v10, s26, v8
	s_delay_alu instid0(VALU_DEP_2) | instskip(NEXT) | instid1(VALU_DEP_2)
	v_sub_co_u32 v5, vcc_lo, v11, v5
	v_add3_u32 v6, v6, v10, v9
	v_add_co_u32 v10, s2, v7, 2
	s_wait_alu 0xf1ff
	v_add_co_ci_u32_e64 v11, null, 0, v8, s2
	s_delay_alu instid0(VALU_DEP_3) | instskip(SKIP_3) | instid1(VALU_DEP_3)
	v_sub_nc_u32_e32 v9, v12, v6
	v_sub_co_u32 v13, s2, v5, s26
	s_wait_alu 0xfffd
	v_sub_co_ci_u32_e64 v6, null, v12, v6, vcc_lo
	v_subrev_co_ci_u32_e64 v9, null, s27, v9, vcc_lo
	s_delay_alu instid0(VALU_DEP_3) | instskip(SKIP_1) | instid1(VALU_DEP_2)
	v_cmp_le_u32_e32 vcc_lo, s26, v13
	s_wait_alu 0xf1ff
	v_subrev_co_ci_u32_e64 v9, null, 0, v9, s2
	s_wait_alu 0xfffd
	v_cndmask_b32_e64 v12, 0, -1, vcc_lo
	s_delay_alu instid0(VALU_DEP_2)
	v_cmp_le_u32_e32 vcc_lo, s27, v9
	s_wait_alu 0xfffd
	v_cndmask_b32_e64 v13, 0, -1, vcc_lo
	v_cmp_le_u32_e32 vcc_lo, s26, v5
	s_wait_alu 0xfffd
	v_cndmask_b32_e64 v5, 0, -1, vcc_lo
	;; [unrolled: 3-line block ×3, first 2 shown]
	v_cmp_eq_u32_e32 vcc_lo, s27, v9
	s_wait_alu 0xfffd
	v_cndmask_b32_e32 v9, v13, v12, vcc_lo
	v_add_co_u32 v12, vcc_lo, v7, 1
	s_wait_alu 0xfffd
	v_add_co_ci_u32_e64 v13, null, 0, v8, vcc_lo
	v_cmp_eq_u32_e32 vcc_lo, s27, v6
	s_wait_alu 0xfffd
	v_cndmask_b32_e32 v5, v14, v5, vcc_lo
	v_cmp_ne_u32_e32 vcc_lo, 0, v9
	s_wait_alu 0xfffd
	v_cndmask_b32_e32 v6, v13, v11, vcc_lo
	s_delay_alu instid0(VALU_DEP_3) | instskip(SKIP_2) | instid1(VALU_DEP_2)
	v_cmp_ne_u32_e64 s2, 0, v5
	v_cndmask_b32_e32 v5, v12, v10, vcc_lo
	s_wait_alu 0xf1ff
	v_cndmask_b32_e64 v6, v8, v6, s2
	s_delay_alu instid0(VALU_DEP_2) | instskip(NEXT) | instid1(VALU_DEP_2)
	v_cndmask_b32_e64 v5, v7, v5, s2
	v_xor_b32_e32 v7, v6, v3
	s_delay_alu instid0(VALU_DEP_2) | instskip(NEXT) | instid1(VALU_DEP_1)
	v_xor_b32_e32 v5, v5, v3
	v_sub_co_u32 v6, vcc_lo, v5, v3
	s_wait_alu 0xfffd
	s_delay_alu instid0(VALU_DEP_3)
	v_sub_co_ci_u32_e64 v7, null, v7, v3, vcc_lo
.LBB84_9:                               ;   in Loop: Header=BB84_3 Depth=1
	s_wait_alu 0xfffe
	s_and_not1_saveexec_b32 s2, s3
	s_cbranch_execz .LBB84_11
; %bb.10:                               ;   in Loop: Header=BB84_3 Depth=1
	s_sub_co_i32 s3, 0, s14
	s_wait_alu 0xfffe
	v_mul_lo_u32 v3, s3, v24
	s_delay_alu instid0(VALU_DEP_1) | instskip(NEXT) | instid1(VALU_DEP_1)
	v_mul_hi_u32 v3, v24, v3
	v_add_nc_u32_e32 v3, v24, v3
	s_delay_alu instid0(VALU_DEP_1) | instskip(NEXT) | instid1(VALU_DEP_1)
	v_mul_hi_u32 v3, v4, v3
	v_mul_lo_u32 v5, v3, s14
	v_add_nc_u32_e32 v6, 1, v3
	s_delay_alu instid0(VALU_DEP_2) | instskip(NEXT) | instid1(VALU_DEP_1)
	v_sub_nc_u32_e32 v5, v4, v5
	v_subrev_nc_u32_e32 v7, s14, v5
	v_cmp_le_u32_e32 vcc_lo, s14, v5
	s_wait_alu 0xfffd
	s_delay_alu instid0(VALU_DEP_2) | instskip(SKIP_2) | instid1(VALU_DEP_3)
	v_cndmask_b32_e32 v5, v5, v7, vcc_lo
	v_mov_b32_e32 v7, v2
	v_cndmask_b32_e32 v3, v3, v6, vcc_lo
	v_cmp_le_u32_e32 vcc_lo, s14, v5
	s_delay_alu instid0(VALU_DEP_2) | instskip(SKIP_1) | instid1(VALU_DEP_1)
	v_add_nc_u32_e32 v6, 1, v3
	s_wait_alu 0xfffd
	v_cndmask_b32_e32 v6, v3, v6, vcc_lo
.LBB84_11:                              ;   in Loop: Header=BB84_3 Depth=1
	s_wait_alu 0xfffe
	s_or_b32 exec_lo, exec_lo, s2
	v_mad_co_u64_u32 v[8:9], null, v4, s8, 0
	s_delay_alu instid0(VALU_DEP_2) | instskip(SKIP_3) | instid1(VALU_DEP_1)
	v_mad_co_u64_u32 v[9:10], null, v6, s14, 0
	s_mov_b32 s23, exec_lo
	v_sub_co_u32 v27, null, v0, v8
	v_sub_co_u32 v26, null, v4, v9
	v_sub_nc_u32_e32 v3, v27, v26
	s_delay_alu instid0(VALU_DEP_1) | instskip(NEXT) | instid1(VALU_DEP_1)
	v_ashrrev_i32_e32 v4, 31, v3
	v_cmpx_gt_i64_e64 s[4:5], v[3:4]
	s_cbranch_execz .LBB84_2
; %bb.12:                               ;   in Loop: Header=BB84_3 Depth=1
	s_load_b64 s[2:3], s[20:21], 0x64
	s_and_not1_b32 vcc_lo, exec_lo, s56
	s_wait_kmcnt 0x0
	v_mul_lo_u32 v3, s3, v27
	s_delay_alu instid0(VALU_DEP_1)
	v_mad_co_u64_u32 v[4:5], null, s2, v26, v[3:4]
	s_wait_alu 0xfffe
	s_cbranch_vccnz .LBB84_56
; %bb.13:                               ;   in Loop: Header=BB84_3 Depth=1
	s_mov_b32 s25, s52
	s_and_not1_b32 vcc_lo, exec_lo, s54
	s_mov_b32 s18, s33
	s_mov_b32 s2, s33
	s_wait_alu 0xfffe
	s_cbranch_vccz .LBB84_16
; %bb.14:                               ;   in Loop: Header=BB84_3 Depth=1
	s_and_not1_b32 vcc_lo, exec_lo, s55
	s_wait_alu 0xfffe
	s_cbranch_vccz .LBB84_21
	s_branch .LBB84_56
.LBB84_15:                              ;   in Loop: Header=BB84_16 Depth=2
	s_wait_alu 0xfffe
	s_or_b32 exec_lo, exec_lo, s2
	s_add_nc_u64 s[26:27], s[0:1], s[26:27]
	v_mul_lo_u32 v3, v8, s28
	s_load_b32 s2, s[26:27], 0x6c
	s_add_co_i32 s25, s25, -1
	s_add_co_i32 s18, s18, -1
	s_wait_alu 0xfffe
	s_cmp_lg_u32 s25, 0
	s_delay_alu instid0(VALU_DEP_1) | instskip(SKIP_2) | instid1(VALU_DEP_2)
	v_sub_nc_u32_e32 v3, v6, v3
	v_dual_mov_b32 v6, v8 :: v_dual_mov_b32 v7, v9
	s_wait_kmcnt 0x0
	v_mad_co_u64_u32 v[4:5], null, s2, v3, v[4:5]
	s_cbranch_scc0 .LBB84_20
.LBB84_16:                              ;   Parent Loop BB84_3 Depth=1
                                        ; =>  This Inner Loop Header: Depth=2
	s_lshl_b64 s[26:27], s[18:19], 2
                                        ; implicit-def: $vgpr8_vgpr9
	s_mov_b32 s2, exec_lo
	s_wait_alu 0xfffe
	s_add_nc_u64 s[28:29], s[10:11], s[26:27]
	s_load_b32 s28, s[28:29], 0x8
	s_wait_kmcnt 0x0
	s_ashr_i32 s29, s28, 31
	s_wait_alu 0xfffe
	v_or_b32_e32 v3, s29, v7
	s_delay_alu instid0(VALU_DEP_1)
	v_cmpx_ne_u64_e32 0, v[2:3]
	s_xor_b32 s36, exec_lo, s2
	s_cbranch_execz .LBB84_18
; %bb.17:                               ;   in Loop: Header=BB84_16 Depth=2
	s_ashr_i32 s30, s29, 31
	s_mov_b32 s43, s19
	s_wait_alu 0xfffe
	s_mov_b32 s31, s30
	s_mov_b32 s47, s19
	s_wait_alu 0xfffe
	s_add_nc_u64 s[34:35], s[28:29], s[30:31]
	v_ashrrev_i32_e32 v3, 31, v7
	s_wait_alu 0xfffe
	s_xor_b64 s[34:35], s[34:35], s[30:31]
	s_wait_alu 0xfffe
	s_cvt_f32_u32 s2, s34
	s_cvt_f32_u32 s29, s35
	s_sub_nc_u64 s[40:41], 0, s[34:35]
	v_add_co_u32 v5, vcc_lo, v6, v3
	s_wait_alu 0xfffe
	s_fmamk_f32 s2, s29, 0x4f800000, s2
	s_wait_alu 0xfffd
	v_add_co_ci_u32_e64 v7, null, v7, v3, vcc_lo
	v_xor_b32_e32 v5, v5, v3
	s_wait_alu 0xfffe
	v_s_rcp_f32 s2, s2
	s_delay_alu instid0(VALU_DEP_2) | instskip(SKIP_1) | instid1(TRANS32_DEP_1)
	v_xor_b32_e32 v13, v7, v3
	v_xor_b32_e32 v3, s30, v3
	s_mul_f32 s2, s2, 0x5f7ffffc
	s_wait_alu 0xfffe
	s_delay_alu instid0(SALU_CYCLE_2) | instskip(SKIP_1) | instid1(SALU_CYCLE_2)
	s_mul_f32 s29, s2, 0x2f800000
	s_wait_alu 0xfffe
	s_trunc_f32 s29, s29
	s_wait_alu 0xfffe
	s_delay_alu instid0(SALU_CYCLE_2) | instskip(SKIP_2) | instid1(SALU_CYCLE_1)
	s_fmamk_f32 s2, s29, 0xcf800000, s2
	s_cvt_u32_f32 s39, s29
	s_wait_alu 0xfffe
	s_cvt_u32_f32 s38, s2
	s_wait_alu 0xfffe
	s_delay_alu instid0(SALU_CYCLE_2)
	s_mul_u64 s[44:45], s[40:41], s[38:39]
	s_wait_alu 0xfffe
	s_mul_hi_u32 s49, s38, s45
	s_mul_i32 s48, s38, s45
	s_mul_hi_u32 s42, s38, s44
	s_mul_i32 s29, s39, s44
	s_wait_alu 0xfffe
	s_add_nc_u64 s[42:43], s[42:43], s[48:49]
	s_mul_hi_u32 s2, s39, s44
	s_mul_hi_u32 s31, s39, s45
	s_wait_alu 0xfffe
	s_add_co_u32 s29, s42, s29
	s_add_co_ci_u32 s46, s43, s2
	s_mul_i32 s44, s39, s45
	s_add_co_ci_u32 s45, s31, 0
	s_wait_alu 0xfffe
	s_add_nc_u64 s[42:43], s[46:47], s[44:45]
	s_mov_b32 s45, s19
	s_wait_alu 0xfffe
	s_add_co_u32 s38, s38, s42
	s_cselect_b32 s2, -1, 0
	s_wait_alu 0xfffe
	s_cmp_lg_u32 s2, 0
	s_add_co_ci_u32 s39, s39, s43
	s_mov_b32 s43, s19
	s_wait_alu 0xfffe
	s_mul_u64 s[40:41], s[40:41], s[38:39]
	s_wait_alu 0xfffe
	s_mul_hi_u32 s47, s38, s41
	s_mul_i32 s46, s38, s41
	s_mul_hi_u32 s44, s38, s40
	s_mul_i32 s29, s39, s40
	s_wait_alu 0xfffe
	s_add_nc_u64 s[44:45], s[44:45], s[46:47]
	s_mul_hi_u32 s2, s39, s40
	s_mul_hi_u32 s31, s39, s41
	s_wait_alu 0xfffe
	s_add_co_u32 s29, s44, s29
	s_add_co_ci_u32 s42, s45, s2
	s_mul_i32 s40, s39, s41
	s_add_co_ci_u32 s41, s31, 0
	s_wait_alu 0xfffe
	s_add_nc_u64 s[40:41], s[42:43], s[40:41]
	s_wait_alu 0xfffe
	s_add_co_u32 s2, s38, s40
	s_cselect_b32 s29, -1, 0
	s_wait_alu 0xfffe
	v_mul_hi_u32 v14, v5, s2
	s_cmp_lg_u32 s29, 0
	v_mad_co_u64_u32 v[9:10], null, v13, s2, 0
	s_add_co_ci_u32 s29, s39, s41
	s_wait_alu 0xfffe
	v_mad_co_u64_u32 v[7:8], null, v5, s29, 0
	v_mad_co_u64_u32 v[11:12], null, v13, s29, 0
	s_delay_alu instid0(VALU_DEP_2) | instskip(SKIP_1) | instid1(VALU_DEP_3)
	v_add_co_u32 v7, vcc_lo, v14, v7
	s_wait_alu 0xfffd
	v_add_co_ci_u32_e64 v8, null, 0, v8, vcc_lo
	s_delay_alu instid0(VALU_DEP_2) | instskip(SKIP_1) | instid1(VALU_DEP_2)
	v_add_co_u32 v7, vcc_lo, v7, v9
	s_wait_alu 0xfffd
	v_add_co_ci_u32_e32 v7, vcc_lo, v8, v10, vcc_lo
	s_wait_alu 0xfffd
	v_add_co_ci_u32_e32 v8, vcc_lo, 0, v12, vcc_lo
	s_delay_alu instid0(VALU_DEP_2) | instskip(SKIP_1) | instid1(VALU_DEP_2)
	v_add_co_u32 v9, vcc_lo, v7, v11
	s_wait_alu 0xfffd
	v_add_co_ci_u32_e64 v10, null, 0, v8, vcc_lo
	s_delay_alu instid0(VALU_DEP_2) | instskip(SKIP_1) | instid1(VALU_DEP_3)
	v_mul_lo_u32 v11, s35, v9
	v_mad_co_u64_u32 v[7:8], null, s34, v9, 0
	v_mul_lo_u32 v12, s34, v10
	s_delay_alu instid0(VALU_DEP_2) | instskip(NEXT) | instid1(VALU_DEP_2)
	v_sub_co_u32 v5, vcc_lo, v5, v7
	v_add3_u32 v8, v8, v12, v11
	s_delay_alu instid0(VALU_DEP_1) | instskip(SKIP_2) | instid1(VALU_DEP_2)
	v_sub_nc_u32_e32 v11, v13, v8
	s_wait_alu 0xfffd
	v_sub_co_ci_u32_e64 v8, null, v13, v8, vcc_lo
	v_subrev_co_ci_u32_e64 v7, null, s35, v11, vcc_lo
	v_add_co_u32 v11, s2, v9, 2
	s_wait_alu 0xf1ff
	v_add_co_ci_u32_e64 v12, null, 0, v10, s2
	v_sub_co_u32 v14, s2, v5, s34
	s_wait_alu 0xf1ff
	v_subrev_co_ci_u32_e64 v7, null, 0, v7, s2
	s_delay_alu instid0(VALU_DEP_2) | instskip(SKIP_2) | instid1(VALU_DEP_3)
	v_cmp_le_u32_e32 vcc_lo, s34, v14
	s_wait_alu 0xfffd
	v_cndmask_b32_e64 v13, 0, -1, vcc_lo
	v_cmp_le_u32_e32 vcc_lo, s35, v7
	s_wait_alu 0xfffd
	v_cndmask_b32_e64 v14, 0, -1, vcc_lo
	;; [unrolled: 3-line block ×4, first 2 shown]
	v_cmp_eq_u32_e32 vcc_lo, s35, v7
	s_wait_alu 0xfffd
	v_cndmask_b32_e32 v7, v14, v13, vcc_lo
	v_add_co_u32 v13, vcc_lo, v9, 1
	s_wait_alu 0xfffd
	v_add_co_ci_u32_e64 v14, null, 0, v10, vcc_lo
	v_cmp_eq_u32_e32 vcc_lo, s35, v8
	s_wait_alu 0xfffd
	v_cndmask_b32_e32 v5, v15, v5, vcc_lo
	v_cmp_ne_u32_e32 vcc_lo, 0, v7
	s_delay_alu instid0(VALU_DEP_2) | instskip(SKIP_4) | instid1(VALU_DEP_2)
	v_cmp_ne_u32_e64 s2, 0, v5
	s_wait_alu 0xfffd
	v_cndmask_b32_e32 v5, v13, v11, vcc_lo
	v_cndmask_b32_e32 v7, v14, v12, vcc_lo
	s_wait_alu 0xf1ff
	v_cndmask_b32_e64 v5, v9, v5, s2
	s_delay_alu instid0(VALU_DEP_2) | instskip(NEXT) | instid1(VALU_DEP_2)
	v_cndmask_b32_e64 v7, v10, v7, s2
	v_xor_b32_e32 v5, v5, v3
	s_delay_alu instid0(VALU_DEP_2) | instskip(NEXT) | instid1(VALU_DEP_2)
	v_xor_b32_e32 v7, v7, v3
	v_sub_co_u32 v8, vcc_lo, v5, v3
	s_wait_alu 0xfffd
	s_delay_alu instid0(VALU_DEP_2)
	v_sub_co_ci_u32_e64 v9, null, v7, v3, vcc_lo
.LBB84_18:                              ;   in Loop: Header=BB84_16 Depth=2
	s_wait_alu 0xfffe
	s_and_not1_saveexec_b32 s2, s36
	s_cbranch_execz .LBB84_15
; %bb.19:                               ;   in Loop: Header=BB84_16 Depth=2
	v_cvt_f32_u32_e32 v3, s28
	s_sub_co_i32 s29, 0, s28
	v_mov_b32_e32 v9, v2
	s_delay_alu instid0(VALU_DEP_2) | instskip(NEXT) | instid1(TRANS32_DEP_1)
	v_rcp_iflag_f32_e32 v3, v3
	v_mul_f32_e32 v3, 0x4f7ffffe, v3
	s_delay_alu instid0(VALU_DEP_1) | instskip(SKIP_1) | instid1(VALU_DEP_1)
	v_cvt_u32_f32_e32 v3, v3
	s_wait_alu 0xfffe
	v_mul_lo_u32 v5, s29, v3
	s_delay_alu instid0(VALU_DEP_1) | instskip(NEXT) | instid1(VALU_DEP_1)
	v_mul_hi_u32 v5, v3, v5
	v_add_nc_u32_e32 v3, v3, v5
	s_delay_alu instid0(VALU_DEP_1) | instskip(NEXT) | instid1(VALU_DEP_1)
	v_mul_hi_u32 v3, v6, v3
	v_mul_lo_u32 v5, v3, s28
	v_add_nc_u32_e32 v7, 1, v3
	s_delay_alu instid0(VALU_DEP_2) | instskip(NEXT) | instid1(VALU_DEP_1)
	v_sub_nc_u32_e32 v5, v6, v5
	v_cmp_le_u32_e32 vcc_lo, s28, v5
	v_subrev_nc_u32_e32 v8, s28, v5
	s_wait_alu 0xfffd
	v_cndmask_b32_e32 v3, v3, v7, vcc_lo
	s_delay_alu instid0(VALU_DEP_1) | instskip(NEXT) | instid1(VALU_DEP_3)
	v_add_nc_u32_e32 v7, 1, v3
	v_cndmask_b32_e32 v5, v5, v8, vcc_lo
	s_delay_alu instid0(VALU_DEP_1) | instskip(SKIP_1) | instid1(VALU_DEP_3)
	v_cmp_le_u32_e32 vcc_lo, s28, v5
	s_wait_alu 0xfffd
	v_cndmask_b32_e32 v8, v3, v7, vcc_lo
	s_branch .LBB84_15
.LBB84_20:                              ;   in Loop: Header=BB84_3 Depth=1
	s_mov_b32 s2, s18
	s_and_not1_b32 vcc_lo, exec_lo, s55
	s_wait_alu 0xfffe
	s_cbranch_vccnz .LBB84_56
.LBB84_21:                              ;   in Loop: Header=BB84_3 Depth=1
	s_add_co_i32 s26, s2, -7
.LBB84_22:                              ;   Parent Loop BB84_3 Depth=1
                                        ; =>  This Inner Loop Header: Depth=2
	s_wait_alu 0xfffe
	s_add_co_i32 s18, s26, 7
                                        ; implicit-def: $vgpr8_vgpr9
	s_mov_b32 s2, exec_lo
	s_wait_alu 0xfffe
	s_lshl_b64 s[34:35], s[18:19], 2
	s_wait_alu 0xfffe
	s_add_nc_u64 s[28:29], s[10:11], s[34:35]
	s_load_b32 s28, s[28:29], 0x8
	s_wait_kmcnt 0x0
	s_ashr_i32 s29, s28, 31
	s_wait_alu 0xfffe
	v_or_b32_e32 v3, s29, v7
	s_delay_alu instid0(VALU_DEP_1)
	v_cmpx_ne_u64_e32 0, v[2:3]
	s_xor_b32 s25, exec_lo, s2
	s_cbranch_execz .LBB84_24
; %bb.23:                               ;   in Loop: Header=BB84_22 Depth=2
	s_ashr_i32 s30, s29, 31
	v_ashrrev_i32_e32 v3, 31, v7
	s_wait_alu 0xfffe
	s_mov_b32 s31, s30
	s_wait_alu 0xfffe
	s_add_nc_u64 s[36:37], s[28:29], s[30:31]
	v_add_co_u32 v5, vcc_lo, v6, v3
	s_wait_alu 0xfffe
	s_xor_b64 s[36:37], s[36:37], s[30:31]
	s_wait_alu 0xfffd
	v_add_co_ci_u32_e64 v7, null, v7, v3, vcc_lo
	s_wait_alu 0xfffe
	s_cvt_f32_u32 s2, s36
	s_cvt_f32_u32 s18, s37
	s_sub_nc_u64 s[40:41], 0, s[36:37]
	v_xor_b32_e32 v5, v5, v3
	v_xor_b32_e32 v13, v7, v3
	s_wait_alu 0xfffe
	s_fmamk_f32 s2, s18, 0x4f800000, s2
	v_xor_b32_e32 v3, s30, v3
	s_wait_alu 0xfffe
	s_delay_alu instid0(SALU_CYCLE_1) | instskip(NEXT) | instid1(TRANS32_DEP_1)
	v_s_rcp_f32 s2, s2
	s_mul_f32 s2, s2, 0x5f7ffffc
	s_wait_alu 0xfffe
	s_delay_alu instid0(SALU_CYCLE_2) | instskip(SKIP_1) | instid1(SALU_CYCLE_2)
	s_mul_f32 s18, s2, 0x2f800000
	s_wait_alu 0xfffe
	s_trunc_f32 s18, s18
	s_wait_alu 0xfffe
	s_delay_alu instid0(SALU_CYCLE_2) | instskip(SKIP_2) | instid1(SALU_CYCLE_1)
	s_fmamk_f32 s2, s18, 0xcf800000, s2
	s_cvt_u32_f32 s39, s18
	s_wait_alu 0xfffe
	s_cvt_u32_f32 s38, s2
	s_wait_alu 0xfffe
	s_delay_alu instid0(SALU_CYCLE_2)
	s_mul_u64 s[42:43], s[40:41], s[38:39]
	s_wait_alu 0xfffe
	s_mul_hi_u32 s45, s38, s43
	s_mul_i32 s44, s38, s43
	s_mul_hi_u32 s18, s38, s42
	s_mul_i32 s27, s39, s42
	s_wait_alu 0xfffe
	s_add_nc_u64 s[44:45], s[18:19], s[44:45]
	s_mul_hi_u32 s2, s39, s42
	s_mul_hi_u32 s29, s39, s43
	s_wait_alu 0xfffe
	s_add_co_u32 s18, s44, s27
	s_add_co_ci_u32 s18, s45, s2
	s_mul_i32 s42, s39, s43
	s_add_co_ci_u32 s43, s29, 0
	s_wait_alu 0xfffe
	s_add_nc_u64 s[42:43], s[18:19], s[42:43]
	s_wait_alu 0xfffe
	s_add_co_u32 s38, s38, s42
	s_cselect_b32 s2, -1, 0
	s_wait_alu 0xfffe
	s_cmp_lg_u32 s2, 0
	s_add_co_ci_u32 s39, s39, s43
	s_wait_alu 0xfffe
	s_mul_u64 s[40:41], s[40:41], s[38:39]
	s_wait_alu 0xfffe
	s_mul_hi_u32 s43, s38, s41
	s_mul_i32 s42, s38, s41
	s_mul_hi_u32 s18, s38, s40
	s_mul_i32 s27, s39, s40
	s_wait_alu 0xfffe
	s_add_nc_u64 s[42:43], s[18:19], s[42:43]
	s_mul_hi_u32 s2, s39, s40
	s_mul_hi_u32 s29, s39, s41
	s_wait_alu 0xfffe
	s_add_co_u32 s18, s42, s27
	s_add_co_ci_u32 s18, s43, s2
	s_mul_i32 s40, s39, s41
	s_add_co_ci_u32 s41, s29, 0
	s_wait_alu 0xfffe
	s_add_nc_u64 s[40:41], s[18:19], s[40:41]
	s_wait_alu 0xfffe
	s_add_co_u32 s2, s38, s40
	s_cselect_b32 s18, -1, 0
	s_wait_alu 0xfffe
	v_mul_hi_u32 v14, v5, s2
	s_cmp_lg_u32 s18, 0
	v_mad_co_u64_u32 v[9:10], null, v13, s2, 0
	s_add_co_ci_u32 s18, s39, s41
	s_wait_alu 0xfffe
	v_mad_co_u64_u32 v[7:8], null, v5, s18, 0
	v_mad_co_u64_u32 v[11:12], null, v13, s18, 0
	s_delay_alu instid0(VALU_DEP_2) | instskip(SKIP_1) | instid1(VALU_DEP_3)
	v_add_co_u32 v7, vcc_lo, v14, v7
	s_wait_alu 0xfffd
	v_add_co_ci_u32_e64 v8, null, 0, v8, vcc_lo
	s_delay_alu instid0(VALU_DEP_2) | instskip(SKIP_1) | instid1(VALU_DEP_2)
	v_add_co_u32 v7, vcc_lo, v7, v9
	s_wait_alu 0xfffd
	v_add_co_ci_u32_e32 v7, vcc_lo, v8, v10, vcc_lo
	s_wait_alu 0xfffd
	v_add_co_ci_u32_e32 v8, vcc_lo, 0, v12, vcc_lo
	s_delay_alu instid0(VALU_DEP_2) | instskip(SKIP_1) | instid1(VALU_DEP_2)
	v_add_co_u32 v9, vcc_lo, v7, v11
	s_wait_alu 0xfffd
	v_add_co_ci_u32_e64 v10, null, 0, v8, vcc_lo
	s_delay_alu instid0(VALU_DEP_2) | instskip(SKIP_1) | instid1(VALU_DEP_3)
	v_mul_lo_u32 v11, s37, v9
	v_mad_co_u64_u32 v[7:8], null, s36, v9, 0
	v_mul_lo_u32 v12, s36, v10
	s_delay_alu instid0(VALU_DEP_2) | instskip(NEXT) | instid1(VALU_DEP_2)
	v_sub_co_u32 v5, vcc_lo, v5, v7
	v_add3_u32 v8, v8, v12, v11
	s_delay_alu instid0(VALU_DEP_1) | instskip(SKIP_2) | instid1(VALU_DEP_2)
	v_sub_nc_u32_e32 v11, v13, v8
	s_wait_alu 0xfffd
	v_sub_co_ci_u32_e64 v8, null, v13, v8, vcc_lo
	v_subrev_co_ci_u32_e64 v7, null, s37, v11, vcc_lo
	v_add_co_u32 v11, s2, v9, 2
	s_wait_alu 0xf1ff
	v_add_co_ci_u32_e64 v12, null, 0, v10, s2
	v_sub_co_u32 v14, s2, v5, s36
	s_wait_alu 0xf1ff
	v_subrev_co_ci_u32_e64 v7, null, 0, v7, s2
	s_delay_alu instid0(VALU_DEP_2) | instskip(SKIP_2) | instid1(VALU_DEP_3)
	v_cmp_le_u32_e32 vcc_lo, s36, v14
	s_wait_alu 0xfffd
	v_cndmask_b32_e64 v13, 0, -1, vcc_lo
	v_cmp_le_u32_e32 vcc_lo, s37, v7
	s_wait_alu 0xfffd
	v_cndmask_b32_e64 v14, 0, -1, vcc_lo
	;; [unrolled: 3-line block ×4, first 2 shown]
	v_cmp_eq_u32_e32 vcc_lo, s37, v7
	s_wait_alu 0xfffd
	v_cndmask_b32_e32 v7, v14, v13, vcc_lo
	v_add_co_u32 v13, vcc_lo, v9, 1
	s_wait_alu 0xfffd
	v_add_co_ci_u32_e64 v14, null, 0, v10, vcc_lo
	v_cmp_eq_u32_e32 vcc_lo, s37, v8
	s_wait_alu 0xfffd
	v_cndmask_b32_e32 v5, v15, v5, vcc_lo
	v_cmp_ne_u32_e32 vcc_lo, 0, v7
	s_delay_alu instid0(VALU_DEP_2) | instskip(SKIP_4) | instid1(VALU_DEP_2)
	v_cmp_ne_u32_e64 s2, 0, v5
	s_wait_alu 0xfffd
	v_cndmask_b32_e32 v5, v13, v11, vcc_lo
	v_cndmask_b32_e32 v7, v14, v12, vcc_lo
	s_wait_alu 0xf1ff
	v_cndmask_b32_e64 v5, v9, v5, s2
	s_delay_alu instid0(VALU_DEP_2) | instskip(NEXT) | instid1(VALU_DEP_2)
	v_cndmask_b32_e64 v7, v10, v7, s2
	v_xor_b32_e32 v5, v5, v3
	s_delay_alu instid0(VALU_DEP_2) | instskip(NEXT) | instid1(VALU_DEP_2)
	v_xor_b32_e32 v7, v7, v3
	v_sub_co_u32 v8, vcc_lo, v5, v3
	s_wait_alu 0xfffd
	s_delay_alu instid0(VALU_DEP_2)
	v_sub_co_ci_u32_e64 v9, null, v7, v3, vcc_lo
.LBB84_24:                              ;   in Loop: Header=BB84_22 Depth=2
	s_wait_alu 0xfffe
	s_and_not1_saveexec_b32 s2, s25
	s_cbranch_execz .LBB84_26
; %bb.25:                               ;   in Loop: Header=BB84_22 Depth=2
	v_cvt_f32_u32_e32 v3, s28
	s_sub_co_i32 s18, 0, s28
	v_mov_b32_e32 v9, v2
	s_delay_alu instid0(VALU_DEP_2) | instskip(NEXT) | instid1(TRANS32_DEP_1)
	v_rcp_iflag_f32_e32 v3, v3
	v_mul_f32_e32 v3, 0x4f7ffffe, v3
	s_delay_alu instid0(VALU_DEP_1) | instskip(SKIP_1) | instid1(VALU_DEP_1)
	v_cvt_u32_f32_e32 v3, v3
	s_wait_alu 0xfffe
	v_mul_lo_u32 v5, s18, v3
	s_delay_alu instid0(VALU_DEP_1) | instskip(NEXT) | instid1(VALU_DEP_1)
	v_mul_hi_u32 v5, v3, v5
	v_add_nc_u32_e32 v3, v3, v5
	s_delay_alu instid0(VALU_DEP_1) | instskip(NEXT) | instid1(VALU_DEP_1)
	v_mul_hi_u32 v3, v6, v3
	v_mul_lo_u32 v5, v3, s28
	v_add_nc_u32_e32 v7, 1, v3
	s_delay_alu instid0(VALU_DEP_2) | instskip(NEXT) | instid1(VALU_DEP_1)
	v_sub_nc_u32_e32 v5, v6, v5
	v_cmp_le_u32_e32 vcc_lo, s28, v5
	v_subrev_nc_u32_e32 v8, s28, v5
	s_wait_alu 0xfffd
	v_cndmask_b32_e32 v3, v3, v7, vcc_lo
	s_delay_alu instid0(VALU_DEP_1) | instskip(NEXT) | instid1(VALU_DEP_3)
	v_add_nc_u32_e32 v7, 1, v3
	v_cndmask_b32_e32 v5, v5, v8, vcc_lo
	s_delay_alu instid0(VALU_DEP_1) | instskip(SKIP_1) | instid1(VALU_DEP_3)
	v_cmp_le_u32_e32 vcc_lo, s28, v5
	s_wait_alu 0xfffd
	v_cndmask_b32_e32 v8, v3, v7, vcc_lo
.LBB84_26:                              ;   in Loop: Header=BB84_22 Depth=2
	s_wait_alu 0xfffe
	s_or_b32 exec_lo, exec_lo, s2
	s_add_co_i32 s18, s26, 6
	s_add_nc_u64 s[34:35], s[0:1], s[34:35]
	s_wait_alu 0xfffe
	s_lshl_b64 s[36:37], s[18:19], 2
                                        ; implicit-def: $vgpr10_vgpr11
	s_mov_b32 s2, exec_lo
	s_wait_alu 0xfffe
	s_add_nc_u64 s[30:31], s[10:11], s[36:37]
	s_clause 0x1
	s_load_b32 s25, s[34:35], 0x6c
	s_load_b32 s30, s[30:31], 0x8
	s_wait_kmcnt 0x0
	s_ashr_i32 s31, s30, 31
	s_wait_alu 0xfffe
	v_or_b32_e32 v3, s31, v9
	s_delay_alu instid0(VALU_DEP_1)
	v_cmpx_ne_u64_e32 0, v[2:3]
	s_xor_b32 s27, exec_lo, s2
	s_cbranch_execz .LBB84_28
; %bb.27:                               ;   in Loop: Header=BB84_22 Depth=2
	s_ashr_i32 s34, s31, 31
	v_ashrrev_i32_e32 v3, 31, v9
	s_wait_alu 0xfffe
	s_mov_b32 s35, s34
	s_wait_alu 0xfffe
	s_add_nc_u64 s[38:39], s[30:31], s[34:35]
	v_add_co_u32 v5, vcc_lo, v8, v3
	s_wait_alu 0xfffe
	s_xor_b64 s[38:39], s[38:39], s[34:35]
	s_wait_alu 0xfffd
	v_add_co_ci_u32_e64 v7, null, v9, v3, vcc_lo
	s_wait_alu 0xfffe
	s_cvt_f32_u32 s2, s38
	s_cvt_f32_u32 s18, s39
	s_sub_nc_u64 s[42:43], 0, s[38:39]
	v_xor_b32_e32 v5, v5, v3
	v_xor_b32_e32 v7, v7, v3
	s_wait_alu 0xfffe
	s_fmamk_f32 s2, s18, 0x4f800000, s2
	v_xor_b32_e32 v3, s34, v3
	s_wait_alu 0xfffe
	s_delay_alu instid0(SALU_CYCLE_1) | instskip(NEXT) | instid1(TRANS32_DEP_1)
	v_s_rcp_f32 s2, s2
	s_mul_f32 s2, s2, 0x5f7ffffc
	s_wait_alu 0xfffe
	s_delay_alu instid0(SALU_CYCLE_2) | instskip(SKIP_1) | instid1(SALU_CYCLE_2)
	s_mul_f32 s18, s2, 0x2f800000
	s_wait_alu 0xfffe
	s_trunc_f32 s18, s18
	s_wait_alu 0xfffe
	s_delay_alu instid0(SALU_CYCLE_2) | instskip(SKIP_2) | instid1(SALU_CYCLE_1)
	s_fmamk_f32 s2, s18, 0xcf800000, s2
	s_cvt_u32_f32 s41, s18
	s_wait_alu 0xfffe
	s_cvt_u32_f32 s40, s2
	s_wait_alu 0xfffe
	s_delay_alu instid0(SALU_CYCLE_2)
	s_mul_u64 s[44:45], s[42:43], s[40:41]
	s_wait_alu 0xfffe
	s_mul_hi_u32 s47, s40, s45
	s_mul_i32 s46, s40, s45
	s_mul_hi_u32 s18, s40, s44
	s_mul_i32 s29, s41, s44
	s_wait_alu 0xfffe
	s_add_nc_u64 s[46:47], s[18:19], s[46:47]
	s_mul_hi_u32 s2, s41, s44
	s_mul_hi_u32 s31, s41, s45
	s_wait_alu 0xfffe
	s_add_co_u32 s18, s46, s29
	s_add_co_ci_u32 s18, s47, s2
	s_mul_i32 s44, s41, s45
	s_add_co_ci_u32 s45, s31, 0
	s_wait_alu 0xfffe
	s_add_nc_u64 s[44:45], s[18:19], s[44:45]
	s_wait_alu 0xfffe
	s_add_co_u32 s40, s40, s44
	s_cselect_b32 s2, -1, 0
	s_wait_alu 0xfffe
	s_cmp_lg_u32 s2, 0
	s_add_co_ci_u32 s41, s41, s45
	s_wait_alu 0xfffe
	s_mul_u64 s[42:43], s[42:43], s[40:41]
	s_wait_alu 0xfffe
	s_mul_hi_u32 s45, s40, s43
	s_mul_i32 s44, s40, s43
	s_mul_hi_u32 s18, s40, s42
	s_mul_i32 s29, s41, s42
	s_wait_alu 0xfffe
	s_add_nc_u64 s[44:45], s[18:19], s[44:45]
	s_mul_hi_u32 s2, s41, s42
	s_mul_hi_u32 s31, s41, s43
	s_wait_alu 0xfffe
	s_add_co_u32 s18, s44, s29
	s_add_co_ci_u32 s18, s45, s2
	s_mul_i32 s42, s41, s43
	s_add_co_ci_u32 s43, s31, 0
	s_wait_alu 0xfffe
	s_add_nc_u64 s[42:43], s[18:19], s[42:43]
	s_wait_alu 0xfffe
	s_add_co_u32 s2, s40, s42
	s_cselect_b32 s18, -1, 0
	s_wait_alu 0xfffe
	v_mul_hi_u32 v15, v5, s2
	s_cmp_lg_u32 s18, 0
	v_mad_co_u64_u32 v[11:12], null, v7, s2, 0
	s_add_co_ci_u32 s18, s41, s43
	s_wait_alu 0xfffe
	v_mad_co_u64_u32 v[9:10], null, v5, s18, 0
	v_mad_co_u64_u32 v[13:14], null, v7, s18, 0
	s_delay_alu instid0(VALU_DEP_2) | instskip(SKIP_1) | instid1(VALU_DEP_3)
	v_add_co_u32 v9, vcc_lo, v15, v9
	s_wait_alu 0xfffd
	v_add_co_ci_u32_e64 v10, null, 0, v10, vcc_lo
	s_delay_alu instid0(VALU_DEP_2) | instskip(SKIP_1) | instid1(VALU_DEP_2)
	v_add_co_u32 v9, vcc_lo, v9, v11
	s_wait_alu 0xfffd
	v_add_co_ci_u32_e32 v9, vcc_lo, v10, v12, vcc_lo
	s_wait_alu 0xfffd
	v_add_co_ci_u32_e32 v10, vcc_lo, 0, v14, vcc_lo
	s_delay_alu instid0(VALU_DEP_2) | instskip(SKIP_1) | instid1(VALU_DEP_2)
	v_add_co_u32 v11, vcc_lo, v9, v13
	s_wait_alu 0xfffd
	v_add_co_ci_u32_e64 v12, null, 0, v10, vcc_lo
	s_delay_alu instid0(VALU_DEP_2) | instskip(SKIP_1) | instid1(VALU_DEP_3)
	v_mul_lo_u32 v13, s39, v11
	v_mad_co_u64_u32 v[9:10], null, s38, v11, 0
	v_mul_lo_u32 v14, s38, v12
	s_delay_alu instid0(VALU_DEP_2) | instskip(NEXT) | instid1(VALU_DEP_2)
	v_sub_co_u32 v5, vcc_lo, v5, v9
	v_add3_u32 v10, v10, v14, v13
	s_delay_alu instid0(VALU_DEP_1) | instskip(SKIP_2) | instid1(VALU_DEP_2)
	v_sub_nc_u32_e32 v13, v7, v10
	s_wait_alu 0xfffd
	v_sub_co_ci_u32_e64 v7, null, v7, v10, vcc_lo
	v_subrev_co_ci_u32_e64 v9, null, s39, v13, vcc_lo
	v_add_co_u32 v13, s2, v11, 2
	s_wait_alu 0xf1ff
	v_add_co_ci_u32_e64 v14, null, 0, v12, s2
	v_sub_co_u32 v15, s2, v5, s38
	s_wait_alu 0xf1ff
	v_subrev_co_ci_u32_e64 v9, null, 0, v9, s2
	s_delay_alu instid0(VALU_DEP_2) | instskip(SKIP_2) | instid1(VALU_DEP_3)
	v_cmp_le_u32_e32 vcc_lo, s38, v15
	s_wait_alu 0xfffd
	v_cndmask_b32_e64 v10, 0, -1, vcc_lo
	v_cmp_le_u32_e32 vcc_lo, s39, v9
	s_wait_alu 0xfffd
	v_cndmask_b32_e64 v15, 0, -1, vcc_lo
	;; [unrolled: 3-line block ×4, first 2 shown]
	v_cmp_eq_u32_e32 vcc_lo, s39, v9
	s_wait_alu 0xfffd
	v_cndmask_b32_e32 v9, v15, v10, vcc_lo
	v_add_co_u32 v10, vcc_lo, v11, 1
	s_wait_alu 0xfffd
	v_add_co_ci_u32_e64 v15, null, 0, v12, vcc_lo
	v_cmp_eq_u32_e32 vcc_lo, s39, v7
	s_wait_alu 0xfffd
	v_cndmask_b32_e32 v5, v16, v5, vcc_lo
	v_cmp_ne_u32_e32 vcc_lo, 0, v9
	s_delay_alu instid0(VALU_DEP_2) | instskip(SKIP_4) | instid1(VALU_DEP_2)
	v_cmp_ne_u32_e64 s2, 0, v5
	s_wait_alu 0xfffd
	v_cndmask_b32_e32 v5, v10, v13, vcc_lo
	v_cndmask_b32_e32 v7, v15, v14, vcc_lo
	s_wait_alu 0xf1ff
	v_cndmask_b32_e64 v5, v11, v5, s2
	s_delay_alu instid0(VALU_DEP_2) | instskip(NEXT) | instid1(VALU_DEP_2)
	v_cndmask_b32_e64 v7, v12, v7, s2
	v_xor_b32_e32 v5, v5, v3
	s_delay_alu instid0(VALU_DEP_2) | instskip(NEXT) | instid1(VALU_DEP_2)
	v_xor_b32_e32 v7, v7, v3
	v_sub_co_u32 v10, vcc_lo, v5, v3
	s_wait_alu 0xfffd
	s_delay_alu instid0(VALU_DEP_2)
	v_sub_co_ci_u32_e64 v11, null, v7, v3, vcc_lo
.LBB84_28:                              ;   in Loop: Header=BB84_22 Depth=2
	s_wait_alu 0xfffe
	s_and_not1_saveexec_b32 s2, s27
	s_cbranch_execz .LBB84_30
; %bb.29:                               ;   in Loop: Header=BB84_22 Depth=2
	v_cvt_f32_u32_e32 v3, s30
	s_sub_co_i32 s18, 0, s30
	v_mov_b32_e32 v11, v2
	s_delay_alu instid0(VALU_DEP_2) | instskip(NEXT) | instid1(TRANS32_DEP_1)
	v_rcp_iflag_f32_e32 v3, v3
	v_mul_f32_e32 v3, 0x4f7ffffe, v3
	s_delay_alu instid0(VALU_DEP_1) | instskip(SKIP_1) | instid1(VALU_DEP_1)
	v_cvt_u32_f32_e32 v3, v3
	s_wait_alu 0xfffe
	v_mul_lo_u32 v5, s18, v3
	s_delay_alu instid0(VALU_DEP_1) | instskip(NEXT) | instid1(VALU_DEP_1)
	v_mul_hi_u32 v5, v3, v5
	v_add_nc_u32_e32 v3, v3, v5
	s_delay_alu instid0(VALU_DEP_1) | instskip(NEXT) | instid1(VALU_DEP_1)
	v_mul_hi_u32 v3, v8, v3
	v_mul_lo_u32 v5, v3, s30
	v_add_nc_u32_e32 v7, 1, v3
	s_delay_alu instid0(VALU_DEP_2) | instskip(NEXT) | instid1(VALU_DEP_1)
	v_sub_nc_u32_e32 v5, v8, v5
	v_cmp_le_u32_e32 vcc_lo, s30, v5
	v_subrev_nc_u32_e32 v9, s30, v5
	s_wait_alu 0xfffd
	v_cndmask_b32_e32 v3, v3, v7, vcc_lo
	s_delay_alu instid0(VALU_DEP_1) | instskip(NEXT) | instid1(VALU_DEP_3)
	v_add_nc_u32_e32 v7, 1, v3
	v_cndmask_b32_e32 v5, v5, v9, vcc_lo
	s_delay_alu instid0(VALU_DEP_1) | instskip(SKIP_1) | instid1(VALU_DEP_3)
	v_cmp_le_u32_e32 vcc_lo, s30, v5
	s_wait_alu 0xfffd
	v_cndmask_b32_e32 v10, v3, v7, vcc_lo
.LBB84_30:                              ;   in Loop: Header=BB84_22 Depth=2
	s_wait_alu 0xfffe
	s_or_b32 exec_lo, exec_lo, s2
	s_add_co_i32 s18, s26, 5
	s_add_nc_u64 s[36:37], s[0:1], s[36:37]
	s_wait_alu 0xfffe
	s_lshl_b64 s[38:39], s[18:19], 2
                                        ; implicit-def: $vgpr12_vgpr13
	s_mov_b32 s2, exec_lo
	s_wait_alu 0xfffe
	s_add_nc_u64 s[34:35], s[10:11], s[38:39]
	s_clause 0x1
	s_load_b32 s29, s[36:37], 0x6c
	s_load_b32 s34, s[34:35], 0x8
	s_wait_kmcnt 0x0
	s_ashr_i32 s35, s34, 31
	s_wait_alu 0xfffe
	v_or_b32_e32 v3, s35, v11
	s_delay_alu instid0(VALU_DEP_1)
	v_cmpx_ne_u64_e32 0, v[2:3]
	s_xor_b32 s27, exec_lo, s2
	s_cbranch_execz .LBB84_32
; %bb.31:                               ;   in Loop: Header=BB84_22 Depth=2
	s_ashr_i32 s36, s35, 31
	v_ashrrev_i32_e32 v3, 31, v11
	s_wait_alu 0xfffe
	s_mov_b32 s37, s36
	s_wait_alu 0xfffe
	s_add_nc_u64 s[40:41], s[34:35], s[36:37]
	v_add_co_u32 v5, vcc_lo, v10, v3
	s_wait_alu 0xfffe
	s_xor_b64 s[40:41], s[40:41], s[36:37]
	s_wait_alu 0xfffd
	v_add_co_ci_u32_e64 v7, null, v11, v3, vcc_lo
	s_wait_alu 0xfffe
	s_cvt_f32_u32 s2, s40
	s_cvt_f32_u32 s18, s41
	s_sub_nc_u64 s[44:45], 0, s[40:41]
	v_xor_b32_e32 v5, v5, v3
	v_xor_b32_e32 v7, v7, v3
	s_wait_alu 0xfffe
	s_fmamk_f32 s2, s18, 0x4f800000, s2
	v_xor_b32_e32 v3, s36, v3
	s_wait_alu 0xfffe
	s_delay_alu instid0(SALU_CYCLE_1) | instskip(NEXT) | instid1(TRANS32_DEP_1)
	v_s_rcp_f32 s2, s2
	s_mul_f32 s2, s2, 0x5f7ffffc
	s_wait_alu 0xfffe
	s_delay_alu instid0(SALU_CYCLE_2) | instskip(SKIP_1) | instid1(SALU_CYCLE_2)
	s_mul_f32 s18, s2, 0x2f800000
	s_wait_alu 0xfffe
	s_trunc_f32 s18, s18
	s_wait_alu 0xfffe
	s_delay_alu instid0(SALU_CYCLE_2) | instskip(SKIP_2) | instid1(SALU_CYCLE_1)
	s_fmamk_f32 s2, s18, 0xcf800000, s2
	s_cvt_u32_f32 s43, s18
	s_wait_alu 0xfffe
	s_cvt_u32_f32 s42, s2
	s_wait_alu 0xfffe
	s_delay_alu instid0(SALU_CYCLE_2)
	s_mul_u64 s[46:47], s[44:45], s[42:43]
	s_wait_alu 0xfffe
	s_mul_hi_u32 s49, s42, s47
	s_mul_i32 s48, s42, s47
	s_mul_hi_u32 s18, s42, s46
	s_mul_i32 s31, s43, s46
	s_wait_alu 0xfffe
	s_add_nc_u64 s[48:49], s[18:19], s[48:49]
	s_mul_hi_u32 s2, s43, s46
	s_mul_hi_u32 s35, s43, s47
	s_wait_alu 0xfffe
	s_add_co_u32 s18, s48, s31
	s_add_co_ci_u32 s18, s49, s2
	s_mul_i32 s46, s43, s47
	s_add_co_ci_u32 s47, s35, 0
	s_wait_alu 0xfffe
	s_add_nc_u64 s[46:47], s[18:19], s[46:47]
	s_wait_alu 0xfffe
	s_add_co_u32 s42, s42, s46
	s_cselect_b32 s2, -1, 0
	s_wait_alu 0xfffe
	s_cmp_lg_u32 s2, 0
	s_add_co_ci_u32 s43, s43, s47
	s_wait_alu 0xfffe
	s_mul_u64 s[44:45], s[44:45], s[42:43]
	s_wait_alu 0xfffe
	s_mul_hi_u32 s47, s42, s45
	s_mul_i32 s46, s42, s45
	s_mul_hi_u32 s18, s42, s44
	s_mul_i32 s31, s43, s44
	s_wait_alu 0xfffe
	s_add_nc_u64 s[46:47], s[18:19], s[46:47]
	s_mul_hi_u32 s2, s43, s44
	s_mul_hi_u32 s35, s43, s45
	s_wait_alu 0xfffe
	s_add_co_u32 s18, s46, s31
	s_add_co_ci_u32 s18, s47, s2
	s_mul_i32 s44, s43, s45
	s_add_co_ci_u32 s45, s35, 0
	s_wait_alu 0xfffe
	s_add_nc_u64 s[44:45], s[18:19], s[44:45]
	s_wait_alu 0xfffe
	s_add_co_u32 s2, s42, s44
	s_cselect_b32 s18, -1, 0
	s_wait_alu 0xfffe
	v_mul_hi_u32 v9, v5, s2
	s_cmp_lg_u32 s18, 0
	v_mad_co_u64_u32 v[13:14], null, v7, s2, 0
	s_add_co_ci_u32 s18, s43, s45
	s_wait_alu 0xfffe
	v_mad_co_u64_u32 v[11:12], null, v5, s18, 0
	v_mad_co_u64_u32 v[15:16], null, v7, s18, 0
	s_delay_alu instid0(VALU_DEP_2) | instskip(SKIP_1) | instid1(VALU_DEP_3)
	v_add_co_u32 v9, vcc_lo, v9, v11
	s_wait_alu 0xfffd
	v_add_co_ci_u32_e64 v11, null, 0, v12, vcc_lo
	s_delay_alu instid0(VALU_DEP_2) | instskip(SKIP_1) | instid1(VALU_DEP_2)
	v_add_co_u32 v9, vcc_lo, v9, v13
	s_wait_alu 0xfffd
	v_add_co_ci_u32_e32 v9, vcc_lo, v11, v14, vcc_lo
	s_wait_alu 0xfffd
	v_add_co_ci_u32_e32 v11, vcc_lo, 0, v16, vcc_lo
	s_delay_alu instid0(VALU_DEP_2) | instskip(SKIP_1) | instid1(VALU_DEP_2)
	v_add_co_u32 v9, vcc_lo, v9, v15
	s_wait_alu 0xfffd
	v_add_co_ci_u32_e64 v13, null, 0, v11, vcc_lo
	s_delay_alu instid0(VALU_DEP_2) | instskip(SKIP_1) | instid1(VALU_DEP_3)
	v_mul_lo_u32 v14, s41, v9
	v_mad_co_u64_u32 v[11:12], null, s40, v9, 0
	v_mul_lo_u32 v15, s40, v13
	s_delay_alu instid0(VALU_DEP_2) | instskip(NEXT) | instid1(VALU_DEP_2)
	v_sub_co_u32 v5, vcc_lo, v5, v11
	v_add3_u32 v12, v12, v15, v14
	s_delay_alu instid0(VALU_DEP_1) | instskip(SKIP_2) | instid1(VALU_DEP_2)
	v_sub_nc_u32_e32 v14, v7, v12
	s_wait_alu 0xfffd
	v_sub_co_ci_u32_e64 v7, null, v7, v12, vcc_lo
	v_subrev_co_ci_u32_e64 v11, null, s41, v14, vcc_lo
	v_add_co_u32 v14, s2, v9, 2
	s_wait_alu 0xf1ff
	v_add_co_ci_u32_e64 v15, null, 0, v13, s2
	v_sub_co_u32 v16, s2, v5, s40
	s_wait_alu 0xf1ff
	v_subrev_co_ci_u32_e64 v11, null, 0, v11, s2
	s_delay_alu instid0(VALU_DEP_2) | instskip(SKIP_2) | instid1(VALU_DEP_3)
	v_cmp_le_u32_e32 vcc_lo, s40, v16
	s_wait_alu 0xfffd
	v_cndmask_b32_e64 v12, 0, -1, vcc_lo
	v_cmp_le_u32_e32 vcc_lo, s41, v11
	s_wait_alu 0xfffd
	v_cndmask_b32_e64 v16, 0, -1, vcc_lo
	;; [unrolled: 3-line block ×4, first 2 shown]
	v_cmp_eq_u32_e32 vcc_lo, s41, v11
	s_wait_alu 0xfffd
	v_cndmask_b32_e32 v11, v16, v12, vcc_lo
	v_add_co_u32 v12, vcc_lo, v9, 1
	s_wait_alu 0xfffd
	v_add_co_ci_u32_e64 v16, null, 0, v13, vcc_lo
	v_cmp_eq_u32_e32 vcc_lo, s41, v7
	s_wait_alu 0xfffd
	v_cndmask_b32_e32 v5, v17, v5, vcc_lo
	v_cmp_ne_u32_e32 vcc_lo, 0, v11
	s_delay_alu instid0(VALU_DEP_2) | instskip(SKIP_4) | instid1(VALU_DEP_2)
	v_cmp_ne_u32_e64 s2, 0, v5
	s_wait_alu 0xfffd
	v_cndmask_b32_e32 v5, v12, v14, vcc_lo
	v_cndmask_b32_e32 v7, v16, v15, vcc_lo
	s_wait_alu 0xf1ff
	v_cndmask_b32_e64 v5, v9, v5, s2
	s_delay_alu instid0(VALU_DEP_2) | instskip(NEXT) | instid1(VALU_DEP_2)
	v_cndmask_b32_e64 v7, v13, v7, s2
	v_xor_b32_e32 v5, v5, v3
	s_delay_alu instid0(VALU_DEP_2) | instskip(NEXT) | instid1(VALU_DEP_2)
	v_xor_b32_e32 v7, v7, v3
	v_sub_co_u32 v12, vcc_lo, v5, v3
	s_wait_alu 0xfffd
	s_delay_alu instid0(VALU_DEP_2)
	v_sub_co_ci_u32_e64 v13, null, v7, v3, vcc_lo
.LBB84_32:                              ;   in Loop: Header=BB84_22 Depth=2
	s_wait_alu 0xfffe
	s_and_not1_saveexec_b32 s2, s27
	s_cbranch_execz .LBB84_34
; %bb.33:                               ;   in Loop: Header=BB84_22 Depth=2
	v_cvt_f32_u32_e32 v3, s34
	s_sub_co_i32 s18, 0, s34
	v_mov_b32_e32 v13, v2
	s_delay_alu instid0(VALU_DEP_2) | instskip(NEXT) | instid1(TRANS32_DEP_1)
	v_rcp_iflag_f32_e32 v3, v3
	v_mul_f32_e32 v3, 0x4f7ffffe, v3
	s_delay_alu instid0(VALU_DEP_1) | instskip(SKIP_1) | instid1(VALU_DEP_1)
	v_cvt_u32_f32_e32 v3, v3
	s_wait_alu 0xfffe
	v_mul_lo_u32 v5, s18, v3
	s_delay_alu instid0(VALU_DEP_1) | instskip(NEXT) | instid1(VALU_DEP_1)
	v_mul_hi_u32 v5, v3, v5
	v_add_nc_u32_e32 v3, v3, v5
	s_delay_alu instid0(VALU_DEP_1) | instskip(NEXT) | instid1(VALU_DEP_1)
	v_mul_hi_u32 v3, v10, v3
	v_mul_lo_u32 v5, v3, s34
	v_add_nc_u32_e32 v7, 1, v3
	s_delay_alu instid0(VALU_DEP_2) | instskip(NEXT) | instid1(VALU_DEP_1)
	v_sub_nc_u32_e32 v5, v10, v5
	v_cmp_le_u32_e32 vcc_lo, s34, v5
	v_subrev_nc_u32_e32 v9, s34, v5
	s_wait_alu 0xfffd
	v_cndmask_b32_e32 v3, v3, v7, vcc_lo
	s_delay_alu instid0(VALU_DEP_1) | instskip(NEXT) | instid1(VALU_DEP_3)
	v_add_nc_u32_e32 v7, 1, v3
	v_cndmask_b32_e32 v5, v5, v9, vcc_lo
	s_delay_alu instid0(VALU_DEP_1) | instskip(SKIP_1) | instid1(VALU_DEP_3)
	v_cmp_le_u32_e32 vcc_lo, s34, v5
	s_wait_alu 0xfffd
	v_cndmask_b32_e32 v12, v3, v7, vcc_lo
.LBB84_34:                              ;   in Loop: Header=BB84_22 Depth=2
	s_wait_alu 0xfffe
	s_or_b32 exec_lo, exec_lo, s2
	s_add_co_i32 s18, s26, 4
	s_add_nc_u64 s[38:39], s[0:1], s[38:39]
	s_wait_alu 0xfffe
	s_lshl_b64 s[40:41], s[18:19], 2
                                        ; implicit-def: $vgpr14_vgpr15
	s_mov_b32 s2, exec_lo
	s_wait_alu 0xfffe
	s_add_nc_u64 s[36:37], s[10:11], s[40:41]
	s_clause 0x1
	s_load_b32 s31, s[38:39], 0x6c
	s_load_b32 s36, s[36:37], 0x8
	s_wait_kmcnt 0x0
	s_ashr_i32 s37, s36, 31
	s_wait_alu 0xfffe
	v_or_b32_e32 v3, s37, v13
	s_delay_alu instid0(VALU_DEP_1)
	v_cmpx_ne_u64_e32 0, v[2:3]
	s_xor_b32 s27, exec_lo, s2
	s_cbranch_execz .LBB84_36
; %bb.35:                               ;   in Loop: Header=BB84_22 Depth=2
	s_ashr_i32 s38, s37, 31
	v_ashrrev_i32_e32 v3, 31, v13
	s_wait_alu 0xfffe
	s_mov_b32 s39, s38
	s_wait_alu 0xfffe
	s_add_nc_u64 s[42:43], s[36:37], s[38:39]
	v_add_co_u32 v5, vcc_lo, v12, v3
	s_wait_alu 0xfffe
	s_xor_b64 s[42:43], s[42:43], s[38:39]
	s_wait_alu 0xfffd
	v_add_co_ci_u32_e64 v7, null, v13, v3, vcc_lo
	s_wait_alu 0xfffe
	s_cvt_f32_u32 s2, s42
	s_cvt_f32_u32 s18, s43
	s_sub_nc_u64 s[46:47], 0, s[42:43]
	v_xor_b32_e32 v5, v5, v3
	v_xor_b32_e32 v7, v7, v3
	s_wait_alu 0xfffe
	s_fmamk_f32 s2, s18, 0x4f800000, s2
	v_xor_b32_e32 v3, s38, v3
	s_wait_alu 0xfffe
	s_delay_alu instid0(SALU_CYCLE_1) | instskip(NEXT) | instid1(TRANS32_DEP_1)
	v_s_rcp_f32 s2, s2
	s_mul_f32 s2, s2, 0x5f7ffffc
	s_wait_alu 0xfffe
	s_delay_alu instid0(SALU_CYCLE_2) | instskip(SKIP_1) | instid1(SALU_CYCLE_2)
	s_mul_f32 s18, s2, 0x2f800000
	s_wait_alu 0xfffe
	s_trunc_f32 s18, s18
	s_wait_alu 0xfffe
	s_delay_alu instid0(SALU_CYCLE_2) | instskip(SKIP_2) | instid1(SALU_CYCLE_1)
	s_fmamk_f32 s2, s18, 0xcf800000, s2
	s_cvt_u32_f32 s45, s18
	s_wait_alu 0xfffe
	s_cvt_u32_f32 s44, s2
	s_wait_alu 0xfffe
	s_delay_alu instid0(SALU_CYCLE_2)
	s_mul_u64 s[48:49], s[46:47], s[44:45]
	s_wait_alu 0xfffe
	s_mul_hi_u32 s51, s44, s49
	s_mul_i32 s50, s44, s49
	s_mul_hi_u32 s18, s44, s48
	s_mul_i32 s35, s45, s48
	s_wait_alu 0xfffe
	s_add_nc_u64 s[50:51], s[18:19], s[50:51]
	s_mul_hi_u32 s2, s45, s48
	s_mul_hi_u32 s37, s45, s49
	s_wait_alu 0xfffe
	s_add_co_u32 s18, s50, s35
	s_add_co_ci_u32 s18, s51, s2
	s_mul_i32 s48, s45, s49
	s_add_co_ci_u32 s49, s37, 0
	s_wait_alu 0xfffe
	s_add_nc_u64 s[48:49], s[18:19], s[48:49]
	s_wait_alu 0xfffe
	s_add_co_u32 s44, s44, s48
	s_cselect_b32 s2, -1, 0
	s_wait_alu 0xfffe
	s_cmp_lg_u32 s2, 0
	s_add_co_ci_u32 s45, s45, s49
	s_wait_alu 0xfffe
	s_mul_u64 s[46:47], s[46:47], s[44:45]
	s_wait_alu 0xfffe
	s_mul_hi_u32 s49, s44, s47
	s_mul_i32 s48, s44, s47
	s_mul_hi_u32 s18, s44, s46
	s_mul_i32 s35, s45, s46
	s_wait_alu 0xfffe
	s_add_nc_u64 s[48:49], s[18:19], s[48:49]
	s_mul_hi_u32 s2, s45, s46
	s_mul_hi_u32 s37, s45, s47
	s_wait_alu 0xfffe
	s_add_co_u32 s18, s48, s35
	s_add_co_ci_u32 s18, s49, s2
	s_mul_i32 s46, s45, s47
	s_add_co_ci_u32 s47, s37, 0
	s_wait_alu 0xfffe
	s_add_nc_u64 s[46:47], s[18:19], s[46:47]
	s_wait_alu 0xfffe
	s_add_co_u32 s2, s44, s46
	s_cselect_b32 s18, -1, 0
	s_wait_alu 0xfffe
	v_mul_hi_u32 v9, v5, s2
	s_cmp_lg_u32 s18, 0
	v_mad_co_u64_u32 v[15:16], null, v7, s2, 0
	s_add_co_ci_u32 s18, s45, s47
	s_wait_alu 0xfffe
	v_mad_co_u64_u32 v[13:14], null, v5, s18, 0
	v_mad_co_u64_u32 v[17:18], null, v7, s18, 0
	s_delay_alu instid0(VALU_DEP_2) | instskip(SKIP_1) | instid1(VALU_DEP_3)
	v_add_co_u32 v9, vcc_lo, v9, v13
	s_wait_alu 0xfffd
	v_add_co_ci_u32_e64 v11, null, 0, v14, vcc_lo
	s_delay_alu instid0(VALU_DEP_2) | instskip(SKIP_1) | instid1(VALU_DEP_2)
	v_add_co_u32 v9, vcc_lo, v9, v15
	s_wait_alu 0xfffd
	v_add_co_ci_u32_e32 v9, vcc_lo, v11, v16, vcc_lo
	s_wait_alu 0xfffd
	v_add_co_ci_u32_e32 v11, vcc_lo, 0, v18, vcc_lo
	s_delay_alu instid0(VALU_DEP_2) | instskip(SKIP_1) | instid1(VALU_DEP_2)
	v_add_co_u32 v9, vcc_lo, v9, v17
	s_wait_alu 0xfffd
	v_add_co_ci_u32_e64 v11, null, 0, v11, vcc_lo
	s_delay_alu instid0(VALU_DEP_2) | instskip(SKIP_1) | instid1(VALU_DEP_3)
	v_mul_lo_u32 v15, s43, v9
	v_mad_co_u64_u32 v[13:14], null, s42, v9, 0
	v_mul_lo_u32 v16, s42, v11
	s_delay_alu instid0(VALU_DEP_2) | instskip(NEXT) | instid1(VALU_DEP_2)
	v_sub_co_u32 v5, vcc_lo, v5, v13
	v_add3_u32 v14, v14, v16, v15
	s_delay_alu instid0(VALU_DEP_1) | instskip(SKIP_2) | instid1(VALU_DEP_2)
	v_sub_nc_u32_e32 v15, v7, v14
	s_wait_alu 0xfffd
	v_sub_co_ci_u32_e64 v7, null, v7, v14, vcc_lo
	v_subrev_co_ci_u32_e64 v13, null, s43, v15, vcc_lo
	v_add_co_u32 v15, s2, v9, 2
	s_wait_alu 0xf1ff
	v_add_co_ci_u32_e64 v16, null, 0, v11, s2
	v_sub_co_u32 v17, s2, v5, s42
	s_wait_alu 0xf1ff
	v_subrev_co_ci_u32_e64 v13, null, 0, v13, s2
	s_delay_alu instid0(VALU_DEP_2) | instskip(SKIP_2) | instid1(VALU_DEP_3)
	v_cmp_le_u32_e32 vcc_lo, s42, v17
	s_wait_alu 0xfffd
	v_cndmask_b32_e64 v14, 0, -1, vcc_lo
	v_cmp_le_u32_e32 vcc_lo, s43, v13
	s_wait_alu 0xfffd
	v_cndmask_b32_e64 v17, 0, -1, vcc_lo
	v_cmp_le_u32_e32 vcc_lo, s42, v5
	s_wait_alu 0xfffd
	v_cndmask_b32_e64 v5, 0, -1, vcc_lo
	v_cmp_le_u32_e32 vcc_lo, s43, v7
	s_wait_alu 0xfffd
	v_cndmask_b32_e64 v18, 0, -1, vcc_lo
	v_cmp_eq_u32_e32 vcc_lo, s43, v13
	s_wait_alu 0xfffd
	v_cndmask_b32_e32 v13, v17, v14, vcc_lo
	v_add_co_u32 v14, vcc_lo, v9, 1
	s_wait_alu 0xfffd
	v_add_co_ci_u32_e64 v17, null, 0, v11, vcc_lo
	v_cmp_eq_u32_e32 vcc_lo, s43, v7
	s_wait_alu 0xfffd
	v_cndmask_b32_e32 v5, v18, v5, vcc_lo
	v_cmp_ne_u32_e32 vcc_lo, 0, v13
	s_delay_alu instid0(VALU_DEP_2) | instskip(SKIP_4) | instid1(VALU_DEP_2)
	v_cmp_ne_u32_e64 s2, 0, v5
	s_wait_alu 0xfffd
	v_cndmask_b32_e32 v5, v14, v15, vcc_lo
	v_cndmask_b32_e32 v7, v17, v16, vcc_lo
	s_wait_alu 0xf1ff
	v_cndmask_b32_e64 v5, v9, v5, s2
	s_delay_alu instid0(VALU_DEP_2) | instskip(NEXT) | instid1(VALU_DEP_2)
	v_cndmask_b32_e64 v7, v11, v7, s2
	v_xor_b32_e32 v5, v5, v3
	s_delay_alu instid0(VALU_DEP_2) | instskip(NEXT) | instid1(VALU_DEP_2)
	v_xor_b32_e32 v7, v7, v3
	v_sub_co_u32 v14, vcc_lo, v5, v3
	s_wait_alu 0xfffd
	s_delay_alu instid0(VALU_DEP_2)
	v_sub_co_ci_u32_e64 v15, null, v7, v3, vcc_lo
.LBB84_36:                              ;   in Loop: Header=BB84_22 Depth=2
	s_wait_alu 0xfffe
	s_and_not1_saveexec_b32 s2, s27
	s_cbranch_execz .LBB84_38
; %bb.37:                               ;   in Loop: Header=BB84_22 Depth=2
	v_cvt_f32_u32_e32 v3, s36
	s_sub_co_i32 s18, 0, s36
	v_mov_b32_e32 v15, v2
	s_delay_alu instid0(VALU_DEP_2) | instskip(NEXT) | instid1(TRANS32_DEP_1)
	v_rcp_iflag_f32_e32 v3, v3
	v_mul_f32_e32 v3, 0x4f7ffffe, v3
	s_delay_alu instid0(VALU_DEP_1) | instskip(SKIP_1) | instid1(VALU_DEP_1)
	v_cvt_u32_f32_e32 v3, v3
	s_wait_alu 0xfffe
	v_mul_lo_u32 v5, s18, v3
	s_delay_alu instid0(VALU_DEP_1) | instskip(NEXT) | instid1(VALU_DEP_1)
	v_mul_hi_u32 v5, v3, v5
	v_add_nc_u32_e32 v3, v3, v5
	s_delay_alu instid0(VALU_DEP_1) | instskip(NEXT) | instid1(VALU_DEP_1)
	v_mul_hi_u32 v3, v12, v3
	v_mul_lo_u32 v5, v3, s36
	v_add_nc_u32_e32 v7, 1, v3
	s_delay_alu instid0(VALU_DEP_2) | instskip(NEXT) | instid1(VALU_DEP_1)
	v_sub_nc_u32_e32 v5, v12, v5
	v_cmp_le_u32_e32 vcc_lo, s36, v5
	v_subrev_nc_u32_e32 v9, s36, v5
	s_wait_alu 0xfffd
	v_cndmask_b32_e32 v3, v3, v7, vcc_lo
	s_delay_alu instid0(VALU_DEP_1) | instskip(NEXT) | instid1(VALU_DEP_3)
	v_add_nc_u32_e32 v7, 1, v3
	v_cndmask_b32_e32 v5, v5, v9, vcc_lo
	s_delay_alu instid0(VALU_DEP_1) | instskip(SKIP_1) | instid1(VALU_DEP_3)
	v_cmp_le_u32_e32 vcc_lo, s36, v5
	s_wait_alu 0xfffd
	v_cndmask_b32_e32 v14, v3, v7, vcc_lo
.LBB84_38:                              ;   in Loop: Header=BB84_22 Depth=2
	s_wait_alu 0xfffe
	s_or_b32 exec_lo, exec_lo, s2
	s_add_co_i32 s18, s26, 3
	s_add_nc_u64 s[40:41], s[0:1], s[40:41]
	s_wait_alu 0xfffe
	s_lshl_b64 s[42:43], s[18:19], 2
                                        ; implicit-def: $vgpr16_vgpr17
	s_mov_b32 s2, exec_lo
	s_wait_alu 0xfffe
	s_add_nc_u64 s[38:39], s[10:11], s[42:43]
	s_clause 0x1
	s_load_b32 s35, s[40:41], 0x6c
	s_load_b32 s38, s[38:39], 0x8
	s_wait_kmcnt 0x0
	s_ashr_i32 s39, s38, 31
	s_wait_alu 0xfffe
	v_or_b32_e32 v3, s39, v15
	s_delay_alu instid0(VALU_DEP_1)
	v_cmpx_ne_u64_e32 0, v[2:3]
	s_xor_b32 s27, exec_lo, s2
	s_cbranch_execz .LBB84_40
; %bb.39:                               ;   in Loop: Header=BB84_22 Depth=2
	s_ashr_i32 s40, s39, 31
	v_ashrrev_i32_e32 v3, 31, v15
	s_wait_alu 0xfffe
	s_mov_b32 s41, s40
	s_wait_alu 0xfffe
	s_add_nc_u64 s[44:45], s[38:39], s[40:41]
	v_add_co_u32 v5, vcc_lo, v14, v3
	s_wait_alu 0xfffe
	s_xor_b64 s[44:45], s[44:45], s[40:41]
	s_wait_alu 0xfffd
	v_add_co_ci_u32_e64 v7, null, v15, v3, vcc_lo
	s_wait_alu 0xfffe
	s_cvt_f32_u32 s2, s44
	s_cvt_f32_u32 s18, s45
	s_sub_nc_u64 s[48:49], 0, s[44:45]
	v_xor_b32_e32 v5, v5, v3
	v_xor_b32_e32 v7, v7, v3
	s_wait_alu 0xfffe
	s_fmamk_f32 s2, s18, 0x4f800000, s2
	v_xor_b32_e32 v3, s40, v3
	s_wait_alu 0xfffe
	s_delay_alu instid0(SALU_CYCLE_1) | instskip(NEXT) | instid1(TRANS32_DEP_1)
	v_s_rcp_f32 s2, s2
	s_mul_f32 s2, s2, 0x5f7ffffc
	s_wait_alu 0xfffe
	s_delay_alu instid0(SALU_CYCLE_2) | instskip(SKIP_1) | instid1(SALU_CYCLE_2)
	s_mul_f32 s18, s2, 0x2f800000
	s_wait_alu 0xfffe
	s_trunc_f32 s18, s18
	s_wait_alu 0xfffe
	s_delay_alu instid0(SALU_CYCLE_2) | instskip(SKIP_2) | instid1(SALU_CYCLE_1)
	s_fmamk_f32 s2, s18, 0xcf800000, s2
	s_cvt_u32_f32 s47, s18
	s_wait_alu 0xfffe
	s_cvt_u32_f32 s46, s2
	s_wait_alu 0xfffe
	s_delay_alu instid0(SALU_CYCLE_2)
	s_mul_u64 s[50:51], s[48:49], s[46:47]
	s_wait_alu 0xfffe
	s_mul_hi_u32 s59, s46, s51
	s_mul_i32 s58, s46, s51
	s_mul_hi_u32 s18, s46, s50
	s_mul_i32 s37, s47, s50
	s_wait_alu 0xfffe
	s_add_nc_u64 s[58:59], s[18:19], s[58:59]
	s_mul_hi_u32 s2, s47, s50
	s_mul_hi_u32 s39, s47, s51
	s_add_co_u32 s18, s58, s37
	s_wait_alu 0xfffe
	s_add_co_ci_u32 s18, s59, s2
	s_mul_i32 s50, s47, s51
	s_add_co_ci_u32 s51, s39, 0
	s_wait_alu 0xfffe
	s_add_nc_u64 s[50:51], s[18:19], s[50:51]
	s_wait_alu 0xfffe
	s_add_co_u32 s46, s46, s50
	s_cselect_b32 s2, -1, 0
	s_wait_alu 0xfffe
	s_cmp_lg_u32 s2, 0
	s_add_co_ci_u32 s47, s47, s51
	s_wait_alu 0xfffe
	s_mul_u64 s[48:49], s[48:49], s[46:47]
	s_wait_alu 0xfffe
	s_mul_hi_u32 s51, s46, s49
	s_mul_i32 s50, s46, s49
	s_mul_hi_u32 s18, s46, s48
	s_mul_i32 s37, s47, s48
	s_wait_alu 0xfffe
	s_add_nc_u64 s[50:51], s[18:19], s[50:51]
	s_mul_hi_u32 s2, s47, s48
	s_mul_hi_u32 s39, s47, s49
	s_wait_alu 0xfffe
	s_add_co_u32 s18, s50, s37
	s_add_co_ci_u32 s18, s51, s2
	s_mul_i32 s48, s47, s49
	s_add_co_ci_u32 s49, s39, 0
	s_wait_alu 0xfffe
	s_add_nc_u64 s[48:49], s[18:19], s[48:49]
	s_wait_alu 0xfffe
	s_add_co_u32 s2, s46, s48
	s_cselect_b32 s18, -1, 0
	s_wait_alu 0xfffe
	v_mul_hi_u32 v9, v5, s2
	s_cmp_lg_u32 s18, 0
	v_mad_co_u64_u32 v[17:18], null, v7, s2, 0
	s_add_co_ci_u32 s18, s47, s49
	s_wait_alu 0xfffe
	v_mad_co_u64_u32 v[15:16], null, v5, s18, 0
	v_mad_co_u64_u32 v[19:20], null, v7, s18, 0
	s_delay_alu instid0(VALU_DEP_2) | instskip(SKIP_1) | instid1(VALU_DEP_3)
	v_add_co_u32 v9, vcc_lo, v9, v15
	s_wait_alu 0xfffd
	v_add_co_ci_u32_e64 v11, null, 0, v16, vcc_lo
	s_delay_alu instid0(VALU_DEP_2) | instskip(SKIP_1) | instid1(VALU_DEP_2)
	v_add_co_u32 v9, vcc_lo, v9, v17
	s_wait_alu 0xfffd
	v_add_co_ci_u32_e32 v9, vcc_lo, v11, v18, vcc_lo
	s_wait_alu 0xfffd
	v_add_co_ci_u32_e32 v11, vcc_lo, 0, v20, vcc_lo
	s_delay_alu instid0(VALU_DEP_2) | instskip(SKIP_1) | instid1(VALU_DEP_2)
	v_add_co_u32 v9, vcc_lo, v9, v19
	s_wait_alu 0xfffd
	v_add_co_ci_u32_e64 v11, null, 0, v11, vcc_lo
	s_delay_alu instid0(VALU_DEP_2) | instskip(SKIP_1) | instid1(VALU_DEP_3)
	v_mul_lo_u32 v13, s45, v9
	v_mad_co_u64_u32 v[15:16], null, s44, v9, 0
	v_mul_lo_u32 v17, s44, v11
	s_delay_alu instid0(VALU_DEP_2) | instskip(NEXT) | instid1(VALU_DEP_2)
	v_sub_co_u32 v5, vcc_lo, v5, v15
	v_add3_u32 v13, v16, v17, v13
	s_delay_alu instid0(VALU_DEP_1) | instskip(SKIP_2) | instid1(VALU_DEP_2)
	v_sub_nc_u32_e32 v16, v7, v13
	s_wait_alu 0xfffd
	v_sub_co_ci_u32_e64 v7, null, v7, v13, vcc_lo
	v_subrev_co_ci_u32_e64 v15, null, s45, v16, vcc_lo
	v_add_co_u32 v16, s2, v9, 2
	s_wait_alu 0xf1ff
	v_add_co_ci_u32_e64 v17, null, 0, v11, s2
	v_sub_co_u32 v18, s2, v5, s44
	s_wait_alu 0xf1ff
	v_subrev_co_ci_u32_e64 v15, null, 0, v15, s2
	s_delay_alu instid0(VALU_DEP_2) | instskip(SKIP_2) | instid1(VALU_DEP_3)
	v_cmp_le_u32_e32 vcc_lo, s44, v18
	s_wait_alu 0xfffd
	v_cndmask_b32_e64 v13, 0, -1, vcc_lo
	v_cmp_le_u32_e32 vcc_lo, s45, v15
	s_wait_alu 0xfffd
	v_cndmask_b32_e64 v18, 0, -1, vcc_lo
	;; [unrolled: 3-line block ×4, first 2 shown]
	v_cmp_eq_u32_e32 vcc_lo, s45, v15
	s_wait_alu 0xfffd
	v_cndmask_b32_e32 v13, v18, v13, vcc_lo
	v_add_co_u32 v15, vcc_lo, v9, 1
	s_wait_alu 0xfffd
	v_add_co_ci_u32_e64 v18, null, 0, v11, vcc_lo
	v_cmp_eq_u32_e32 vcc_lo, s45, v7
	s_wait_alu 0xfffd
	v_cndmask_b32_e32 v5, v19, v5, vcc_lo
	v_cmp_ne_u32_e32 vcc_lo, 0, v13
	s_delay_alu instid0(VALU_DEP_2) | instskip(SKIP_4) | instid1(VALU_DEP_2)
	v_cmp_ne_u32_e64 s2, 0, v5
	s_wait_alu 0xfffd
	v_cndmask_b32_e32 v5, v15, v16, vcc_lo
	v_cndmask_b32_e32 v7, v18, v17, vcc_lo
	s_wait_alu 0xf1ff
	v_cndmask_b32_e64 v5, v9, v5, s2
	s_delay_alu instid0(VALU_DEP_2) | instskip(NEXT) | instid1(VALU_DEP_2)
	v_cndmask_b32_e64 v7, v11, v7, s2
	v_xor_b32_e32 v5, v5, v3
	s_delay_alu instid0(VALU_DEP_2) | instskip(NEXT) | instid1(VALU_DEP_2)
	v_xor_b32_e32 v7, v7, v3
	v_sub_co_u32 v16, vcc_lo, v5, v3
	s_wait_alu 0xfffd
	s_delay_alu instid0(VALU_DEP_2)
	v_sub_co_ci_u32_e64 v17, null, v7, v3, vcc_lo
.LBB84_40:                              ;   in Loop: Header=BB84_22 Depth=2
	s_wait_alu 0xfffe
	s_and_not1_saveexec_b32 s2, s27
	s_cbranch_execz .LBB84_42
; %bb.41:                               ;   in Loop: Header=BB84_22 Depth=2
	v_cvt_f32_u32_e32 v3, s38
	s_sub_co_i32 s18, 0, s38
	v_mov_b32_e32 v17, v2
	s_delay_alu instid0(VALU_DEP_2) | instskip(NEXT) | instid1(TRANS32_DEP_1)
	v_rcp_iflag_f32_e32 v3, v3
	v_mul_f32_e32 v3, 0x4f7ffffe, v3
	s_delay_alu instid0(VALU_DEP_1) | instskip(SKIP_1) | instid1(VALU_DEP_1)
	v_cvt_u32_f32_e32 v3, v3
	s_wait_alu 0xfffe
	v_mul_lo_u32 v5, s18, v3
	s_delay_alu instid0(VALU_DEP_1) | instskip(NEXT) | instid1(VALU_DEP_1)
	v_mul_hi_u32 v5, v3, v5
	v_add_nc_u32_e32 v3, v3, v5
	s_delay_alu instid0(VALU_DEP_1) | instskip(NEXT) | instid1(VALU_DEP_1)
	v_mul_hi_u32 v3, v14, v3
	v_mul_lo_u32 v5, v3, s38
	v_add_nc_u32_e32 v7, 1, v3
	s_delay_alu instid0(VALU_DEP_2) | instskip(NEXT) | instid1(VALU_DEP_1)
	v_sub_nc_u32_e32 v5, v14, v5
	v_cmp_le_u32_e32 vcc_lo, s38, v5
	v_subrev_nc_u32_e32 v9, s38, v5
	s_wait_alu 0xfffd
	v_cndmask_b32_e32 v3, v3, v7, vcc_lo
	s_delay_alu instid0(VALU_DEP_1) | instskip(NEXT) | instid1(VALU_DEP_3)
	v_add_nc_u32_e32 v7, 1, v3
	v_cndmask_b32_e32 v5, v5, v9, vcc_lo
	s_delay_alu instid0(VALU_DEP_1) | instskip(SKIP_1) | instid1(VALU_DEP_3)
	v_cmp_le_u32_e32 vcc_lo, s38, v5
	s_wait_alu 0xfffd
	v_cndmask_b32_e32 v16, v3, v7, vcc_lo
.LBB84_42:                              ;   in Loop: Header=BB84_22 Depth=2
	s_wait_alu 0xfffe
	s_or_b32 exec_lo, exec_lo, s2
	s_add_co_i32 s18, s26, 2
	s_add_nc_u64 s[42:43], s[0:1], s[42:43]
	s_wait_alu 0xfffe
	s_lshl_b64 s[44:45], s[18:19], 2
                                        ; implicit-def: $vgpr18_vgpr19
	s_mov_b32 s2, exec_lo
	s_wait_alu 0xfffe
	s_add_nc_u64 s[40:41], s[10:11], s[44:45]
	s_clause 0x1
	s_load_b32 s37, s[42:43], 0x6c
	s_load_b32 s40, s[40:41], 0x8
	s_wait_kmcnt 0x0
	s_ashr_i32 s41, s40, 31
	s_wait_alu 0xfffe
	v_or_b32_e32 v3, s41, v17
	s_delay_alu instid0(VALU_DEP_1)
	v_cmpx_ne_u64_e32 0, v[2:3]
	s_xor_b32 s27, exec_lo, s2
	s_cbranch_execz .LBB84_44
; %bb.43:                               ;   in Loop: Header=BB84_22 Depth=2
	s_ashr_i32 s42, s41, 31
	v_ashrrev_i32_e32 v3, 31, v17
	s_wait_alu 0xfffe
	s_mov_b32 s43, s42
	s_wait_alu 0xfffe
	s_add_nc_u64 s[46:47], s[40:41], s[42:43]
	v_add_co_u32 v5, vcc_lo, v16, v3
	s_wait_alu 0xfffe
	s_xor_b64 s[46:47], s[46:47], s[42:43]
	s_wait_alu 0xfffd
	v_add_co_ci_u32_e64 v7, null, v17, v3, vcc_lo
	s_wait_alu 0xfffe
	s_cvt_f32_u32 s2, s46
	s_cvt_f32_u32 s18, s47
	s_sub_nc_u64 s[50:51], 0, s[46:47]
	v_xor_b32_e32 v5, v5, v3
	v_xor_b32_e32 v7, v7, v3
	s_wait_alu 0xfffe
	s_fmamk_f32 s2, s18, 0x4f800000, s2
	v_xor_b32_e32 v3, s42, v3
	s_wait_alu 0xfffe
	s_delay_alu instid0(SALU_CYCLE_1) | instskip(NEXT) | instid1(TRANS32_DEP_1)
	v_s_rcp_f32 s2, s2
	s_mul_f32 s2, s2, 0x5f7ffffc
	s_wait_alu 0xfffe
	s_delay_alu instid0(SALU_CYCLE_2) | instskip(SKIP_1) | instid1(SALU_CYCLE_2)
	s_mul_f32 s18, s2, 0x2f800000
	s_wait_alu 0xfffe
	s_trunc_f32 s18, s18
	s_wait_alu 0xfffe
	s_delay_alu instid0(SALU_CYCLE_2) | instskip(SKIP_2) | instid1(SALU_CYCLE_1)
	s_fmamk_f32 s2, s18, 0xcf800000, s2
	s_cvt_u32_f32 s49, s18
	s_wait_alu 0xfffe
	s_cvt_u32_f32 s48, s2
	s_wait_alu 0xfffe
	s_delay_alu instid0(SALU_CYCLE_2) | instskip(NEXT) | instid1(SALU_CYCLE_1)
	s_mul_u64 s[58:59], s[50:51], s[48:49]
	s_mul_hi_u32 s61, s48, s59
	s_mul_i32 s60, s48, s59
	s_mul_hi_u32 s18, s48, s58
	s_mul_i32 s39, s49, s58
	s_wait_alu 0xfffe
	s_add_nc_u64 s[60:61], s[18:19], s[60:61]
	s_mul_hi_u32 s2, s49, s58
	s_mul_hi_u32 s41, s49, s59
	s_add_co_u32 s18, s60, s39
	s_wait_alu 0xfffe
	s_add_co_ci_u32 s18, s61, s2
	s_mul_i32 s58, s49, s59
	s_add_co_ci_u32 s59, s41, 0
	s_wait_alu 0xfffe
	s_add_nc_u64 s[58:59], s[18:19], s[58:59]
	s_delay_alu instid0(SALU_CYCLE_1)
	s_add_co_u32 s48, s48, s58
	s_cselect_b32 s2, -1, 0
	s_wait_alu 0xfffe
	s_cmp_lg_u32 s2, 0
	s_add_co_ci_u32 s49, s49, s59
	s_wait_alu 0xfffe
	s_mul_u64 s[50:51], s[50:51], s[48:49]
	s_wait_alu 0xfffe
	s_mul_hi_u32 s59, s48, s51
	s_mul_i32 s58, s48, s51
	s_mul_hi_u32 s18, s48, s50
	s_mul_i32 s39, s49, s50
	s_wait_alu 0xfffe
	s_add_nc_u64 s[58:59], s[18:19], s[58:59]
	s_mul_hi_u32 s2, s49, s50
	s_mul_hi_u32 s41, s49, s51
	s_add_co_u32 s18, s58, s39
	s_wait_alu 0xfffe
	s_add_co_ci_u32 s18, s59, s2
	s_mul_i32 s50, s49, s51
	s_add_co_ci_u32 s51, s41, 0
	s_wait_alu 0xfffe
	s_add_nc_u64 s[50:51], s[18:19], s[50:51]
	s_wait_alu 0xfffe
	s_add_co_u32 s2, s48, s50
	s_cselect_b32 s18, -1, 0
	s_wait_alu 0xfffe
	v_mul_hi_u32 v9, v5, s2
	s_cmp_lg_u32 s18, 0
	v_mad_co_u64_u32 v[19:20], null, v7, s2, 0
	s_add_co_ci_u32 s18, s49, s51
	s_wait_alu 0xfffe
	v_mad_co_u64_u32 v[17:18], null, v5, s18, 0
	v_mad_co_u64_u32 v[21:22], null, v7, s18, 0
	s_delay_alu instid0(VALU_DEP_2) | instskip(SKIP_1) | instid1(VALU_DEP_3)
	v_add_co_u32 v9, vcc_lo, v9, v17
	s_wait_alu 0xfffd
	v_add_co_ci_u32_e64 v11, null, 0, v18, vcc_lo
	s_delay_alu instid0(VALU_DEP_2) | instskip(SKIP_1) | instid1(VALU_DEP_2)
	v_add_co_u32 v9, vcc_lo, v9, v19
	s_wait_alu 0xfffd
	v_add_co_ci_u32_e32 v9, vcc_lo, v11, v20, vcc_lo
	s_wait_alu 0xfffd
	v_add_co_ci_u32_e32 v11, vcc_lo, 0, v22, vcc_lo
	s_delay_alu instid0(VALU_DEP_2) | instskip(SKIP_1) | instid1(VALU_DEP_2)
	v_add_co_u32 v9, vcc_lo, v9, v21
	s_wait_alu 0xfffd
	v_add_co_ci_u32_e64 v11, null, 0, v11, vcc_lo
	s_delay_alu instid0(VALU_DEP_2) | instskip(SKIP_1) | instid1(VALU_DEP_3)
	v_mul_lo_u32 v13, s47, v9
	v_mad_co_u64_u32 v[17:18], null, s46, v9, 0
	v_mul_lo_u32 v15, s46, v11
	s_delay_alu instid0(VALU_DEP_2) | instskip(NEXT) | instid1(VALU_DEP_2)
	v_sub_co_u32 v5, vcc_lo, v5, v17
	v_add3_u32 v13, v18, v15, v13
	v_add_co_u32 v17, s2, v9, 2
	s_wait_alu 0xf1ff
	v_add_co_ci_u32_e64 v18, null, 0, v11, s2
	s_delay_alu instid0(VALU_DEP_3) | instskip(SKIP_3) | instid1(VALU_DEP_3)
	v_sub_nc_u32_e32 v15, v7, v13
	v_sub_co_u32 v19, s2, v5, s46
	s_wait_alu 0xfffd
	v_sub_co_ci_u32_e64 v7, null, v7, v13, vcc_lo
	v_subrev_co_ci_u32_e64 v15, null, s47, v15, vcc_lo
	s_delay_alu instid0(VALU_DEP_3) | instskip(SKIP_1) | instid1(VALU_DEP_2)
	v_cmp_le_u32_e32 vcc_lo, s46, v19
	s_wait_alu 0xf1ff
	v_subrev_co_ci_u32_e64 v15, null, 0, v15, s2
	s_wait_alu 0xfffd
	v_cndmask_b32_e64 v13, 0, -1, vcc_lo
	s_delay_alu instid0(VALU_DEP_2)
	v_cmp_le_u32_e32 vcc_lo, s47, v15
	s_wait_alu 0xfffd
	v_cndmask_b32_e64 v19, 0, -1, vcc_lo
	v_cmp_le_u32_e32 vcc_lo, s46, v5
	s_wait_alu 0xfffd
	v_cndmask_b32_e64 v5, 0, -1, vcc_lo
	;; [unrolled: 3-line block ×3, first 2 shown]
	v_cmp_eq_u32_e32 vcc_lo, s47, v15
	s_wait_alu 0xfffd
	v_cndmask_b32_e32 v13, v19, v13, vcc_lo
	v_add_co_u32 v15, vcc_lo, v9, 1
	s_wait_alu 0xfffd
	v_add_co_ci_u32_e64 v19, null, 0, v11, vcc_lo
	v_cmp_eq_u32_e32 vcc_lo, s47, v7
	s_wait_alu 0xfffd
	v_cndmask_b32_e32 v5, v20, v5, vcc_lo
	v_cmp_ne_u32_e32 vcc_lo, 0, v13
	s_delay_alu instid0(VALU_DEP_2) | instskip(SKIP_4) | instid1(VALU_DEP_2)
	v_cmp_ne_u32_e64 s2, 0, v5
	s_wait_alu 0xfffd
	v_cndmask_b32_e32 v5, v15, v17, vcc_lo
	v_cndmask_b32_e32 v7, v19, v18, vcc_lo
	s_wait_alu 0xf1ff
	v_cndmask_b32_e64 v5, v9, v5, s2
	s_delay_alu instid0(VALU_DEP_2) | instskip(NEXT) | instid1(VALU_DEP_2)
	v_cndmask_b32_e64 v7, v11, v7, s2
	v_xor_b32_e32 v5, v5, v3
	s_delay_alu instid0(VALU_DEP_2) | instskip(NEXT) | instid1(VALU_DEP_2)
	v_xor_b32_e32 v7, v7, v3
	v_sub_co_u32 v18, vcc_lo, v5, v3
	s_wait_alu 0xfffd
	s_delay_alu instid0(VALU_DEP_2)
	v_sub_co_ci_u32_e64 v19, null, v7, v3, vcc_lo
.LBB84_44:                              ;   in Loop: Header=BB84_22 Depth=2
	s_wait_alu 0xfffe
	s_and_not1_saveexec_b32 s2, s27
	s_cbranch_execz .LBB84_46
; %bb.45:                               ;   in Loop: Header=BB84_22 Depth=2
	v_cvt_f32_u32_e32 v3, s40
	s_sub_co_i32 s18, 0, s40
	v_mov_b32_e32 v19, v2
	s_delay_alu instid0(VALU_DEP_2) | instskip(NEXT) | instid1(TRANS32_DEP_1)
	v_rcp_iflag_f32_e32 v3, v3
	v_mul_f32_e32 v3, 0x4f7ffffe, v3
	s_delay_alu instid0(VALU_DEP_1) | instskip(SKIP_1) | instid1(VALU_DEP_1)
	v_cvt_u32_f32_e32 v3, v3
	s_wait_alu 0xfffe
	v_mul_lo_u32 v5, s18, v3
	s_delay_alu instid0(VALU_DEP_1) | instskip(NEXT) | instid1(VALU_DEP_1)
	v_mul_hi_u32 v5, v3, v5
	v_add_nc_u32_e32 v3, v3, v5
	s_delay_alu instid0(VALU_DEP_1) | instskip(NEXT) | instid1(VALU_DEP_1)
	v_mul_hi_u32 v3, v16, v3
	v_mul_lo_u32 v5, v3, s40
	v_add_nc_u32_e32 v7, 1, v3
	s_delay_alu instid0(VALU_DEP_2) | instskip(NEXT) | instid1(VALU_DEP_1)
	v_sub_nc_u32_e32 v5, v16, v5
	v_cmp_le_u32_e32 vcc_lo, s40, v5
	v_subrev_nc_u32_e32 v9, s40, v5
	s_wait_alu 0xfffd
	v_cndmask_b32_e32 v3, v3, v7, vcc_lo
	s_delay_alu instid0(VALU_DEP_1) | instskip(NEXT) | instid1(VALU_DEP_3)
	v_add_nc_u32_e32 v7, 1, v3
	v_cndmask_b32_e32 v5, v5, v9, vcc_lo
	s_delay_alu instid0(VALU_DEP_1) | instskip(SKIP_1) | instid1(VALU_DEP_3)
	v_cmp_le_u32_e32 vcc_lo, s40, v5
	s_wait_alu 0xfffd
	v_cndmask_b32_e32 v18, v3, v7, vcc_lo
.LBB84_46:                              ;   in Loop: Header=BB84_22 Depth=2
	s_wait_alu 0xfffe
	s_or_b32 exec_lo, exec_lo, s2
	s_add_co_i32 s18, s26, 1
	s_add_nc_u64 s[44:45], s[0:1], s[44:45]
	s_wait_alu 0xfffe
	s_lshl_b64 s[48:49], s[18:19], 2
                                        ; implicit-def: $vgpr20_vgpr21
	s_mov_b32 s2, exec_lo
	s_wait_alu 0xfffe
	s_add_nc_u64 s[42:43], s[10:11], s[48:49]
	s_clause 0x1
	s_load_b32 s39, s[44:45], 0x6c
	s_load_b32 s42, s[42:43], 0x8
	s_wait_kmcnt 0x0
	s_ashr_i32 s43, s42, 31
	s_wait_alu 0xfffe
	v_or_b32_e32 v3, s43, v19
	s_delay_alu instid0(VALU_DEP_1)
	v_cmpx_ne_u64_e32 0, v[2:3]
	s_xor_b32 s27, exec_lo, s2
	s_cbranch_execz .LBB84_48
; %bb.47:                               ;   in Loop: Header=BB84_22 Depth=2
	s_ashr_i32 s44, s43, 31
	v_ashrrev_i32_e32 v3, 31, v19
	s_wait_alu 0xfffe
	s_mov_b32 s45, s44
	s_wait_alu 0xfffe
	s_add_nc_u64 s[46:47], s[42:43], s[44:45]
	v_add_co_u32 v5, vcc_lo, v18, v3
	s_wait_alu 0xfffe
	s_xor_b64 s[46:47], s[46:47], s[44:45]
	s_wait_alu 0xfffd
	v_add_co_ci_u32_e64 v7, null, v19, v3, vcc_lo
	s_wait_alu 0xfffe
	s_cvt_f32_u32 s2, s46
	s_cvt_f32_u32 s18, s47
	s_sub_nc_u64 s[58:59], 0, s[46:47]
	v_xor_b32_e32 v5, v5, v3
	v_xor_b32_e32 v7, v7, v3
	s_wait_alu 0xfffe
	s_fmamk_f32 s2, s18, 0x4f800000, s2
	v_xor_b32_e32 v3, s44, v3
	s_wait_alu 0xfffe
	s_delay_alu instid0(SALU_CYCLE_1) | instskip(NEXT) | instid1(TRANS32_DEP_1)
	v_s_rcp_f32 s2, s2
	s_mul_f32 s2, s2, 0x5f7ffffc
	s_wait_alu 0xfffe
	s_delay_alu instid0(SALU_CYCLE_2) | instskip(SKIP_1) | instid1(SALU_CYCLE_2)
	s_mul_f32 s18, s2, 0x2f800000
	s_wait_alu 0xfffe
	s_trunc_f32 s18, s18
	s_wait_alu 0xfffe
	s_delay_alu instid0(SALU_CYCLE_2) | instskip(SKIP_2) | instid1(SALU_CYCLE_1)
	s_fmamk_f32 s2, s18, 0xcf800000, s2
	s_cvt_u32_f32 s51, s18
	s_wait_alu 0xfffe
	s_cvt_u32_f32 s50, s2
	s_wait_alu 0xfffe
	s_delay_alu instid0(SALU_CYCLE_2) | instskip(NEXT) | instid1(SALU_CYCLE_1)
	s_mul_u64 s[60:61], s[58:59], s[50:51]
	s_mul_hi_u32 s63, s50, s61
	s_mul_i32 s62, s50, s61
	s_mul_hi_u32 s18, s50, s60
	s_mul_i32 s41, s51, s60
	s_wait_alu 0xfffe
	s_add_nc_u64 s[62:63], s[18:19], s[62:63]
	s_mul_hi_u32 s2, s51, s60
	s_mul_hi_u32 s43, s51, s61
	s_add_co_u32 s18, s62, s41
	s_wait_alu 0xfffe
	s_add_co_ci_u32 s18, s63, s2
	s_mul_i32 s60, s51, s61
	s_add_co_ci_u32 s61, s43, 0
	s_wait_alu 0xfffe
	s_add_nc_u64 s[60:61], s[18:19], s[60:61]
	s_delay_alu instid0(SALU_CYCLE_1)
	s_add_co_u32 s50, s50, s60
	s_cselect_b32 s2, -1, 0
	s_wait_alu 0xfffe
	s_cmp_lg_u32 s2, 0
	s_add_co_ci_u32 s51, s51, s61
	s_wait_alu 0xfffe
	s_mul_u64 s[58:59], s[58:59], s[50:51]
	s_delay_alu instid0(SALU_CYCLE_1)
	s_mul_hi_u32 s61, s50, s59
	s_mul_i32 s60, s50, s59
	s_mul_hi_u32 s18, s50, s58
	s_mul_i32 s41, s51, s58
	s_wait_alu 0xfffe
	s_add_nc_u64 s[60:61], s[18:19], s[60:61]
	s_mul_hi_u32 s2, s51, s58
	s_mul_hi_u32 s43, s51, s59
	s_add_co_u32 s18, s60, s41
	s_wait_alu 0xfffe
	s_add_co_ci_u32 s18, s61, s2
	s_mul_i32 s58, s51, s59
	s_add_co_ci_u32 s59, s43, 0
	s_wait_alu 0xfffe
	s_add_nc_u64 s[58:59], s[18:19], s[58:59]
	s_delay_alu instid0(SALU_CYCLE_1)
	s_add_co_u32 s2, s50, s58
	s_cselect_b32 s18, -1, 0
	s_wait_alu 0xfffe
	v_mul_hi_u32 v9, v5, s2
	s_cmp_lg_u32 s18, 0
	v_mad_co_u64_u32 v[21:22], null, v7, s2, 0
	s_add_co_ci_u32 s18, s51, s59
	s_wait_alu 0xfffe
	v_mad_co_u64_u32 v[19:20], null, v5, s18, 0
	v_mad_co_u64_u32 v[28:29], null, v7, s18, 0
	s_delay_alu instid0(VALU_DEP_2) | instskip(SKIP_1) | instid1(VALU_DEP_3)
	v_add_co_u32 v9, vcc_lo, v9, v19
	s_wait_alu 0xfffd
	v_add_co_ci_u32_e64 v11, null, 0, v20, vcc_lo
	s_delay_alu instid0(VALU_DEP_2) | instskip(SKIP_1) | instid1(VALU_DEP_2)
	v_add_co_u32 v9, vcc_lo, v9, v21
	s_wait_alu 0xfffd
	v_add_co_ci_u32_e32 v9, vcc_lo, v11, v22, vcc_lo
	s_wait_alu 0xfffd
	v_add_co_ci_u32_e32 v11, vcc_lo, 0, v29, vcc_lo
	s_delay_alu instid0(VALU_DEP_2) | instskip(SKIP_1) | instid1(VALU_DEP_2)
	v_add_co_u32 v9, vcc_lo, v9, v28
	s_wait_alu 0xfffd
	v_add_co_ci_u32_e64 v11, null, 0, v11, vcc_lo
	s_delay_alu instid0(VALU_DEP_2) | instskip(SKIP_1) | instid1(VALU_DEP_3)
	v_mul_lo_u32 v13, s47, v9
	v_mad_co_u64_u32 v[19:20], null, s46, v9, 0
	v_mul_lo_u32 v15, s46, v11
	v_add_co_u32 v17, s2, v9, 2
	s_delay_alu instid0(VALU_DEP_3) | instskip(NEXT) | instid1(VALU_DEP_3)
	v_sub_co_u32 v5, vcc_lo, v5, v19
	v_add3_u32 v13, v20, v15, v13
	s_wait_alu 0xf1ff
	v_add_co_ci_u32_e64 v19, null, 0, v11, s2
	s_delay_alu instid0(VALU_DEP_3) | instskip(NEXT) | instid1(VALU_DEP_3)
	v_sub_co_u32 v20, s2, v5, s46
	v_sub_nc_u32_e32 v15, v7, v13
	s_wait_alu 0xfffd
	v_sub_co_ci_u32_e64 v7, null, v7, v13, vcc_lo
	s_delay_alu instid0(VALU_DEP_2) | instskip(SKIP_2) | instid1(VALU_DEP_2)
	v_subrev_co_ci_u32_e64 v15, null, s47, v15, vcc_lo
	v_cmp_le_u32_e32 vcc_lo, s46, v20
	s_wait_alu 0xf1ff
	v_subrev_co_ci_u32_e64 v15, null, 0, v15, s2
	s_wait_alu 0xfffd
	v_cndmask_b32_e64 v13, 0, -1, vcc_lo
	s_delay_alu instid0(VALU_DEP_2)
	v_cmp_le_u32_e32 vcc_lo, s47, v15
	s_wait_alu 0xfffd
	v_cndmask_b32_e64 v20, 0, -1, vcc_lo
	v_cmp_le_u32_e32 vcc_lo, s46, v5
	s_wait_alu 0xfffd
	v_cndmask_b32_e64 v5, 0, -1, vcc_lo
	;; [unrolled: 3-line block ×3, first 2 shown]
	v_cmp_eq_u32_e32 vcc_lo, s47, v15
	s_wait_alu 0xfffd
	v_cndmask_b32_e32 v13, v20, v13, vcc_lo
	v_add_co_u32 v15, vcc_lo, v9, 1
	s_wait_alu 0xfffd
	v_add_co_ci_u32_e64 v20, null, 0, v11, vcc_lo
	v_cmp_eq_u32_e32 vcc_lo, s47, v7
	s_wait_alu 0xfffd
	v_cndmask_b32_e32 v5, v21, v5, vcc_lo
	v_cmp_ne_u32_e32 vcc_lo, 0, v13
	s_delay_alu instid0(VALU_DEP_2) | instskip(SKIP_4) | instid1(VALU_DEP_2)
	v_cmp_ne_u32_e64 s2, 0, v5
	s_wait_alu 0xfffd
	v_cndmask_b32_e32 v5, v15, v17, vcc_lo
	v_cndmask_b32_e32 v7, v20, v19, vcc_lo
	s_wait_alu 0xf1ff
	v_cndmask_b32_e64 v5, v9, v5, s2
	s_delay_alu instid0(VALU_DEP_2) | instskip(NEXT) | instid1(VALU_DEP_2)
	v_cndmask_b32_e64 v7, v11, v7, s2
	v_xor_b32_e32 v5, v5, v3
	s_delay_alu instid0(VALU_DEP_2) | instskip(NEXT) | instid1(VALU_DEP_2)
	v_xor_b32_e32 v7, v7, v3
	v_sub_co_u32 v20, vcc_lo, v5, v3
	s_wait_alu 0xfffd
	s_delay_alu instid0(VALU_DEP_2)
	v_sub_co_ci_u32_e64 v21, null, v7, v3, vcc_lo
.LBB84_48:                              ;   in Loop: Header=BB84_22 Depth=2
	s_wait_alu 0xfffe
	s_and_not1_saveexec_b32 s2, s27
	s_cbranch_execz .LBB84_50
; %bb.49:                               ;   in Loop: Header=BB84_22 Depth=2
	v_cvt_f32_u32_e32 v3, s42
	s_sub_co_i32 s18, 0, s42
	v_mov_b32_e32 v21, v2
	s_delay_alu instid0(VALU_DEP_2) | instskip(NEXT) | instid1(TRANS32_DEP_1)
	v_rcp_iflag_f32_e32 v3, v3
	v_mul_f32_e32 v3, 0x4f7ffffe, v3
	s_delay_alu instid0(VALU_DEP_1) | instskip(SKIP_1) | instid1(VALU_DEP_1)
	v_cvt_u32_f32_e32 v3, v3
	s_wait_alu 0xfffe
	v_mul_lo_u32 v5, s18, v3
	s_delay_alu instid0(VALU_DEP_1) | instskip(NEXT) | instid1(VALU_DEP_1)
	v_mul_hi_u32 v5, v3, v5
	v_add_nc_u32_e32 v3, v3, v5
	s_delay_alu instid0(VALU_DEP_1) | instskip(NEXT) | instid1(VALU_DEP_1)
	v_mul_hi_u32 v3, v18, v3
	v_mul_lo_u32 v5, v3, s42
	v_add_nc_u32_e32 v7, 1, v3
	s_delay_alu instid0(VALU_DEP_2) | instskip(NEXT) | instid1(VALU_DEP_1)
	v_sub_nc_u32_e32 v5, v18, v5
	v_cmp_le_u32_e32 vcc_lo, s42, v5
	v_subrev_nc_u32_e32 v9, s42, v5
	s_wait_alu 0xfffd
	v_cndmask_b32_e32 v3, v3, v7, vcc_lo
	s_delay_alu instid0(VALU_DEP_1) | instskip(NEXT) | instid1(VALU_DEP_3)
	v_add_nc_u32_e32 v7, 1, v3
	v_cndmask_b32_e32 v5, v5, v9, vcc_lo
	s_delay_alu instid0(VALU_DEP_1) | instskip(SKIP_1) | instid1(VALU_DEP_3)
	v_cmp_le_u32_e32 vcc_lo, s42, v5
	s_wait_alu 0xfffd
	v_cndmask_b32_e32 v20, v3, v7, vcc_lo
.LBB84_50:                              ;   in Loop: Header=BB84_22 Depth=2
	s_wait_alu 0xfffe
	s_or_b32 exec_lo, exec_lo, s2
	s_mov_b32 s27, s19
	s_add_nc_u64 s[48:49], s[0:1], s[48:49]
	s_wait_alu 0xfffe
	s_lshl_b64 s[46:47], s[26:27], 2
                                        ; implicit-def: $vgpr22_vgpr23
	s_mov_b32 s2, exec_lo
	s_wait_alu 0xfffe
	s_add_nc_u64 s[44:45], s[10:11], s[46:47]
	s_clause 0x1
	s_load_b32 s27, s[48:49], 0x6c
	s_load_b32 s44, s[44:45], 0x8
	s_wait_kmcnt 0x0
	s_ashr_i32 s45, s44, 31
	s_wait_alu 0xfffe
	v_or_b32_e32 v3, s45, v21
	s_delay_alu instid0(VALU_DEP_1)
	v_cmpx_ne_u64_e32 0, v[2:3]
	s_xor_b32 s41, exec_lo, s2
	s_cbranch_execz .LBB84_52
; %bb.51:                               ;   in Loop: Header=BB84_22 Depth=2
	s_ashr_i32 s48, s45, 31
	v_ashrrev_i32_e32 v3, 31, v21
	s_wait_alu 0xfffe
	s_mov_b32 s49, s48
	s_wait_alu 0xfffe
	s_add_nc_u64 s[50:51], s[44:45], s[48:49]
	v_add_co_u32 v5, vcc_lo, v20, v3
	s_wait_alu 0xfffe
	s_xor_b64 s[50:51], s[50:51], s[48:49]
	s_wait_alu 0xfffd
	v_add_co_ci_u32_e64 v7, null, v21, v3, vcc_lo
	s_wait_alu 0xfffe
	s_cvt_f32_u32 s2, s50
	s_cvt_f32_u32 s18, s51
	s_sub_nc_u64 s[60:61], 0, s[50:51]
	v_xor_b32_e32 v5, v5, v3
	v_xor_b32_e32 v7, v7, v3
	s_wait_alu 0xfffe
	s_fmamk_f32 s2, s18, 0x4f800000, s2
	v_xor_b32_e32 v3, s48, v3
	s_wait_alu 0xfffe
	s_delay_alu instid0(SALU_CYCLE_1) | instskip(NEXT) | instid1(TRANS32_DEP_1)
	v_s_rcp_f32 s2, s2
	s_mul_f32 s2, s2, 0x5f7ffffc
	s_wait_alu 0xfffe
	s_delay_alu instid0(SALU_CYCLE_2) | instskip(SKIP_1) | instid1(SALU_CYCLE_2)
	s_mul_f32 s18, s2, 0x2f800000
	s_wait_alu 0xfffe
	s_trunc_f32 s18, s18
	s_wait_alu 0xfffe
	s_delay_alu instid0(SALU_CYCLE_2) | instskip(SKIP_2) | instid1(SALU_CYCLE_1)
	s_fmamk_f32 s2, s18, 0xcf800000, s2
	s_cvt_u32_f32 s59, s18
	s_wait_alu 0xfffe
	s_cvt_u32_f32 s58, s2
	s_delay_alu instid0(SALU_CYCLE_3) | instskip(NEXT) | instid1(SALU_CYCLE_1)
	s_mul_u64 s[62:63], s[60:61], s[58:59]
	s_mul_hi_u32 s65, s58, s63
	s_mul_i32 s64, s58, s63
	s_mul_hi_u32 s18, s58, s62
	s_mul_i32 s43, s59, s62
	s_wait_alu 0xfffe
	s_add_nc_u64 s[64:65], s[18:19], s[64:65]
	s_mul_hi_u32 s2, s59, s62
	s_mul_hi_u32 s45, s59, s63
	s_add_co_u32 s18, s64, s43
	s_wait_alu 0xfffe
	s_add_co_ci_u32 s18, s65, s2
	s_mul_i32 s62, s59, s63
	s_add_co_ci_u32 s63, s45, 0
	s_wait_alu 0xfffe
	s_add_nc_u64 s[62:63], s[18:19], s[62:63]
	s_delay_alu instid0(SALU_CYCLE_1) | instskip(SKIP_4) | instid1(SALU_CYCLE_1)
	s_add_co_u32 s58, s58, s62
	s_cselect_b32 s2, -1, 0
	s_wait_alu 0xfffe
	s_cmp_lg_u32 s2, 0
	s_add_co_ci_u32 s59, s59, s63
	s_mul_u64 s[60:61], s[60:61], s[58:59]
	s_delay_alu instid0(SALU_CYCLE_1)
	s_mul_hi_u32 s63, s58, s61
	s_mul_i32 s62, s58, s61
	s_mul_hi_u32 s18, s58, s60
	s_mul_i32 s43, s59, s60
	s_wait_alu 0xfffe
	s_add_nc_u64 s[62:63], s[18:19], s[62:63]
	s_mul_hi_u32 s2, s59, s60
	s_mul_hi_u32 s45, s59, s61
	s_add_co_u32 s18, s62, s43
	s_wait_alu 0xfffe
	s_add_co_ci_u32 s18, s63, s2
	s_mul_i32 s60, s59, s61
	s_add_co_ci_u32 s61, s45, 0
	s_wait_alu 0xfffe
	s_add_nc_u64 s[60:61], s[18:19], s[60:61]
	s_delay_alu instid0(SALU_CYCLE_1)
	s_add_co_u32 s2, s58, s60
	s_cselect_b32 s18, -1, 0
	s_wait_alu 0xfffe
	v_mul_hi_u32 v9, v5, s2
	s_cmp_lg_u32 s18, 0
	v_mad_co_u64_u32 v[28:29], null, v7, s2, 0
	s_add_co_ci_u32 s18, s59, s61
	s_wait_alu 0xfffe
	v_mad_co_u64_u32 v[21:22], null, v5, s18, 0
	v_mad_co_u64_u32 v[30:31], null, v7, s18, 0
	s_delay_alu instid0(VALU_DEP_2) | instskip(SKIP_1) | instid1(VALU_DEP_3)
	v_add_co_u32 v9, vcc_lo, v9, v21
	s_wait_alu 0xfffd
	v_add_co_ci_u32_e64 v11, null, 0, v22, vcc_lo
	s_delay_alu instid0(VALU_DEP_2) | instskip(SKIP_1) | instid1(VALU_DEP_2)
	v_add_co_u32 v9, vcc_lo, v9, v28
	s_wait_alu 0xfffd
	v_add_co_ci_u32_e32 v9, vcc_lo, v11, v29, vcc_lo
	s_wait_alu 0xfffd
	v_add_co_ci_u32_e32 v11, vcc_lo, 0, v31, vcc_lo
	s_delay_alu instid0(VALU_DEP_2) | instskip(SKIP_1) | instid1(VALU_DEP_2)
	v_add_co_u32 v9, vcc_lo, v9, v30
	s_wait_alu 0xfffd
	v_add_co_ci_u32_e64 v11, null, 0, v11, vcc_lo
	s_delay_alu instid0(VALU_DEP_2) | instskip(SKIP_1) | instid1(VALU_DEP_3)
	v_mul_lo_u32 v13, s51, v9
	v_mad_co_u64_u32 v[21:22], null, s50, v9, 0
	v_mul_lo_u32 v15, s50, v11
	v_add_co_u32 v17, s2, v9, 2
	s_wait_alu 0xf1ff
	v_add_co_ci_u32_e64 v19, null, 0, v11, s2
	s_delay_alu instid0(VALU_DEP_4) | instskip(NEXT) | instid1(VALU_DEP_4)
	v_sub_co_u32 v5, vcc_lo, v5, v21
	v_add3_u32 v13, v22, v15, v13
	s_delay_alu instid0(VALU_DEP_2) | instskip(NEXT) | instid1(VALU_DEP_2)
	v_sub_co_u32 v21, s2, v5, s50
	v_sub_nc_u32_e32 v15, v7, v13
	s_wait_alu 0xfffd
	v_sub_co_ci_u32_e64 v7, null, v7, v13, vcc_lo
	s_delay_alu instid0(VALU_DEP_2) | instskip(SKIP_2) | instid1(VALU_DEP_2)
	v_subrev_co_ci_u32_e64 v15, null, s51, v15, vcc_lo
	v_cmp_le_u32_e32 vcc_lo, s50, v21
	s_wait_alu 0xf1ff
	v_subrev_co_ci_u32_e64 v15, null, 0, v15, s2
	s_wait_alu 0xfffd
	v_cndmask_b32_e64 v13, 0, -1, vcc_lo
	s_delay_alu instid0(VALU_DEP_2)
	v_cmp_le_u32_e32 vcc_lo, s51, v15
	s_wait_alu 0xfffd
	v_cndmask_b32_e64 v21, 0, -1, vcc_lo
	v_cmp_le_u32_e32 vcc_lo, s50, v5
	s_wait_alu 0xfffd
	v_cndmask_b32_e64 v5, 0, -1, vcc_lo
	;; [unrolled: 3-line block ×3, first 2 shown]
	v_cmp_eq_u32_e32 vcc_lo, s51, v15
	s_wait_alu 0xfffd
	v_cndmask_b32_e32 v13, v21, v13, vcc_lo
	v_add_co_u32 v15, vcc_lo, v9, 1
	s_wait_alu 0xfffd
	v_add_co_ci_u32_e64 v21, null, 0, v11, vcc_lo
	v_cmp_eq_u32_e32 vcc_lo, s51, v7
	s_wait_alu 0xfffd
	v_cndmask_b32_e32 v5, v22, v5, vcc_lo
	v_cmp_ne_u32_e32 vcc_lo, 0, v13
	s_delay_alu instid0(VALU_DEP_2) | instskip(SKIP_4) | instid1(VALU_DEP_2)
	v_cmp_ne_u32_e64 s2, 0, v5
	s_wait_alu 0xfffd
	v_cndmask_b32_e32 v5, v15, v17, vcc_lo
	v_cndmask_b32_e32 v7, v21, v19, vcc_lo
	s_wait_alu 0xf1ff
	v_cndmask_b32_e64 v5, v9, v5, s2
	s_delay_alu instid0(VALU_DEP_2) | instskip(NEXT) | instid1(VALU_DEP_2)
	v_cndmask_b32_e64 v7, v11, v7, s2
	v_xor_b32_e32 v5, v5, v3
	s_delay_alu instid0(VALU_DEP_2) | instskip(NEXT) | instid1(VALU_DEP_2)
	v_xor_b32_e32 v7, v7, v3
	v_sub_co_u32 v22, vcc_lo, v5, v3
	s_wait_alu 0xfffd
	s_delay_alu instid0(VALU_DEP_2)
	v_sub_co_ci_u32_e64 v23, null, v7, v3, vcc_lo
.LBB84_52:                              ;   in Loop: Header=BB84_22 Depth=2
	s_wait_alu 0xfffe
	s_and_not1_saveexec_b32 s2, s41
	s_cbranch_execz .LBB84_54
; %bb.53:                               ;   in Loop: Header=BB84_22 Depth=2
	v_cvt_f32_u32_e32 v3, s44
	s_sub_co_i32 s18, 0, s44
	v_mov_b32_e32 v23, v2
	s_delay_alu instid0(VALU_DEP_2) | instskip(NEXT) | instid1(TRANS32_DEP_1)
	v_rcp_iflag_f32_e32 v3, v3
	v_mul_f32_e32 v3, 0x4f7ffffe, v3
	s_delay_alu instid0(VALU_DEP_1) | instskip(SKIP_1) | instid1(VALU_DEP_1)
	v_cvt_u32_f32_e32 v3, v3
	s_wait_alu 0xfffe
	v_mul_lo_u32 v5, s18, v3
	s_delay_alu instid0(VALU_DEP_1) | instskip(NEXT) | instid1(VALU_DEP_1)
	v_mul_hi_u32 v5, v3, v5
	v_add_nc_u32_e32 v3, v3, v5
	s_delay_alu instid0(VALU_DEP_1) | instskip(NEXT) | instid1(VALU_DEP_1)
	v_mul_hi_u32 v3, v20, v3
	v_mul_lo_u32 v5, v3, s44
	v_add_nc_u32_e32 v7, 1, v3
	s_delay_alu instid0(VALU_DEP_2) | instskip(NEXT) | instid1(VALU_DEP_1)
	v_sub_nc_u32_e32 v5, v20, v5
	v_cmp_le_u32_e32 vcc_lo, s44, v5
	v_subrev_nc_u32_e32 v9, s44, v5
	s_wait_alu 0xfffd
	v_cndmask_b32_e32 v3, v3, v7, vcc_lo
	s_delay_alu instid0(VALU_DEP_1) | instskip(NEXT) | instid1(VALU_DEP_3)
	v_add_nc_u32_e32 v7, 1, v3
	v_cndmask_b32_e32 v5, v5, v9, vcc_lo
	s_delay_alu instid0(VALU_DEP_1) | instskip(SKIP_1) | instid1(VALU_DEP_3)
	v_cmp_le_u32_e32 vcc_lo, s44, v5
	s_wait_alu 0xfffd
	v_cndmask_b32_e32 v22, v3, v7, vcc_lo
.LBB84_54:                              ;   in Loop: Header=BB84_22 Depth=2
	s_wait_alu 0xfffe
	s_or_b32 exec_lo, exec_lo, s2
	v_mul_lo_u32 v3, v8, s28
	v_mul_lo_u32 v5, v10, s30
	;; [unrolled: 1-line block ×5, first 2 shown]
	s_add_nc_u64 s[40:41], s[0:1], s[46:47]
	v_mul_lo_u32 v11, v16, s38
	s_load_b32 s2, s[40:41], 0x6c
	v_sub_nc_u32_e32 v3, v6, v3
	v_sub_nc_u32_e32 v5, v8, v5
	;; [unrolled: 1-line block ×4, first 2 shown]
	v_mul_lo_u32 v8, v20, s42
	v_mul_lo_u32 v3, s25, v3
	;; [unrolled: 1-line block ×4, first 2 shown]
	v_sub_nc_u32_e32 v10, v14, v11
	v_sub_nc_u32_e32 v11, v16, v13
	v_mul_lo_u32 v6, s31, v6
	v_mul_lo_u32 v7, s35, v7
	s_add_co_i32 s26, s26, -8
	v_mul_lo_u32 v10, s37, v10
	v_add3_u32 v3, v3, v4, v5
	v_sub_nc_u32_e32 v4, v18, v8
	v_sub_nc_u32_e32 v5, v20, v9
	v_mul_lo_u32 v8, s39, v11
	s_wait_alu 0xfffe
	s_cmp_eq_u32 s26, -8
	v_add3_u32 v3, v6, v3, v7
	v_mul_lo_u32 v4, s27, v4
	s_wait_kmcnt 0x0
	v_mul_lo_u32 v5, s2, v5
	s_delay_alu instid0(VALU_DEP_3) | instskip(NEXT) | instid1(VALU_DEP_1)
	v_add3_u32 v3, v10, v3, v8
	v_add3_u32 v4, v4, v3, v5
	s_cbranch_scc1 .LBB84_56
; %bb.55:                               ;   in Loop: Header=BB84_22 Depth=2
	v_dual_mov_b32 v6, v22 :: v_dual_mov_b32 v7, v23
	s_branch .LBB84_22
.LBB84_56:                              ;   in Loop: Header=BB84_3 Depth=1
	s_load_b32 s2, s[12:13], 0x4
	s_wait_kmcnt 0x0
	v_cmp_gt_i32_e32 vcc_lo, s2, v27
	s_and_b32 exec_lo, exec_lo, vcc_lo
	s_cbranch_execz .LBB84_2
; %bb.57:                               ;   in Loop: Header=BB84_3 Depth=1
	v_ashrrev_i32_e32 v5, 31, v4
	v_mov_b32_e32 v3, v2
	s_delay_alu instid0(VALU_DEP_2) | instskip(SKIP_1) | instid1(VALU_DEP_2)
	v_lshlrev_b64_e32 v[6:7], 3, v[4:5]
	v_add_nc_u32_e32 v5, 1, v27
	v_add_co_u32 v6, vcc_lo, s16, v6
	s_wait_alu 0xfffd
	s_delay_alu instid0(VALU_DEP_3) | instskip(NEXT) | instid1(VALU_DEP_3)
	v_add_co_ci_u32_e64 v7, null, s17, v7, vcc_lo
	v_cmp_gt_i32_e32 vcc_lo, s2, v5
	global_store_b64 v[6:7], v[2:3], off
	s_and_b32 exec_lo, exec_lo, vcc_lo
	s_cbranch_execz .LBB84_2
; %bb.58:                               ;   in Loop: Header=BB84_3 Depth=1
	v_sub_nc_u32_e32 v5, v5, v26
	s_delay_alu instid0(VALU_DEP_1) | instskip(NEXT) | instid1(VALU_DEP_1)
	v_ashrrev_i32_e32 v6, 31, v5
	v_cmp_gt_i64_e32 vcc_lo, s[4:5], v[5:6]
	s_and_b32 exec_lo, exec_lo, vcc_lo
	s_cbranch_execz .LBB84_2
; %bb.59:                               ;   in Loop: Header=BB84_3 Depth=1
	v_add_nc_u32_e32 v3, s3, v4
	s_delay_alu instid0(VALU_DEP_1) | instskip(NEXT) | instid1(VALU_DEP_1)
	v_ashrrev_i32_e32 v4, 31, v3
	v_lshlrev_b64_e32 v[3:4], 3, v[3:4]
	s_delay_alu instid0(VALU_DEP_1) | instskip(SKIP_1) | instid1(VALU_DEP_2)
	v_add_co_u32 v5, vcc_lo, s16, v3
	s_wait_alu 0xfffd
	v_add_co_ci_u32_e64 v6, null, s17, v4, vcc_lo
	v_mov_b32_e32 v3, v2
	global_store_b64 v[5:6], v[2:3], off
	s_branch .LBB84_2
.LBB84_60:
	s_endpgm
	.section	.rodata,"a",@progbits
	.p2align	6, 0x0
	.amdhsa_kernel _ZN2at6native16triu_tril_kernelIN3c107complexIfEEiLb1ELi2ELb1EEEvNS_4cuda6detail10TensorInfoIT_T0_EENS7_IKS8_S9_EEllS9_
		.amdhsa_group_segment_fixed_size 0
		.amdhsa_private_segment_fixed_size 0
		.amdhsa_kernarg_size 712
		.amdhsa_user_sgpr_count 2
		.amdhsa_user_sgpr_dispatch_ptr 0
		.amdhsa_user_sgpr_queue_ptr 0
		.amdhsa_user_sgpr_kernarg_segment_ptr 1
		.amdhsa_user_sgpr_dispatch_id 0
		.amdhsa_user_sgpr_private_segment_size 0
		.amdhsa_wavefront_size32 1
		.amdhsa_uses_dynamic_stack 0
		.amdhsa_enable_private_segment 0
		.amdhsa_system_sgpr_workgroup_id_x 1
		.amdhsa_system_sgpr_workgroup_id_y 0
		.amdhsa_system_sgpr_workgroup_id_z 0
		.amdhsa_system_sgpr_workgroup_info 0
		.amdhsa_system_vgpr_workitem_id 0
		.amdhsa_next_free_vgpr 32
		.amdhsa_next_free_sgpr 66
		.amdhsa_reserve_vcc 1
		.amdhsa_float_round_mode_32 0
		.amdhsa_float_round_mode_16_64 0
		.amdhsa_float_denorm_mode_32 3
		.amdhsa_float_denorm_mode_16_64 3
		.amdhsa_fp16_overflow 0
		.amdhsa_workgroup_processor_mode 1
		.amdhsa_memory_ordered 1
		.amdhsa_forward_progress 1
		.amdhsa_inst_pref_size 95
		.amdhsa_round_robin_scheduling 0
		.amdhsa_exception_fp_ieee_invalid_op 0
		.amdhsa_exception_fp_denorm_src 0
		.amdhsa_exception_fp_ieee_div_zero 0
		.amdhsa_exception_fp_ieee_overflow 0
		.amdhsa_exception_fp_ieee_underflow 0
		.amdhsa_exception_fp_ieee_inexact 0
		.amdhsa_exception_int_div_zero 0
	.end_amdhsa_kernel
	.section	.text._ZN2at6native16triu_tril_kernelIN3c107complexIfEEiLb1ELi2ELb1EEEvNS_4cuda6detail10TensorInfoIT_T0_EENS7_IKS8_S9_EEllS9_,"axG",@progbits,_ZN2at6native16triu_tril_kernelIN3c107complexIfEEiLb1ELi2ELb1EEEvNS_4cuda6detail10TensorInfoIT_T0_EENS7_IKS8_S9_EEllS9_,comdat
.Lfunc_end84:
	.size	_ZN2at6native16triu_tril_kernelIN3c107complexIfEEiLb1ELi2ELb1EEEvNS_4cuda6detail10TensorInfoIT_T0_EENS7_IKS8_S9_EEllS9_, .Lfunc_end84-_ZN2at6native16triu_tril_kernelIN3c107complexIfEEiLb1ELi2ELb1EEEvNS_4cuda6detail10TensorInfoIT_T0_EENS7_IKS8_S9_EEllS9_
                                        ; -- End function
	.set _ZN2at6native16triu_tril_kernelIN3c107complexIfEEiLb1ELi2ELb1EEEvNS_4cuda6detail10TensorInfoIT_T0_EENS7_IKS8_S9_EEllS9_.num_vgpr, 32
	.set _ZN2at6native16triu_tril_kernelIN3c107complexIfEEiLb1ELi2ELb1EEEvNS_4cuda6detail10TensorInfoIT_T0_EENS7_IKS8_S9_EEllS9_.num_agpr, 0
	.set _ZN2at6native16triu_tril_kernelIN3c107complexIfEEiLb1ELi2ELb1EEEvNS_4cuda6detail10TensorInfoIT_T0_EENS7_IKS8_S9_EEllS9_.numbered_sgpr, 66
	.set _ZN2at6native16triu_tril_kernelIN3c107complexIfEEiLb1ELi2ELb1EEEvNS_4cuda6detail10TensorInfoIT_T0_EENS7_IKS8_S9_EEllS9_.num_named_barrier, 0
	.set _ZN2at6native16triu_tril_kernelIN3c107complexIfEEiLb1ELi2ELb1EEEvNS_4cuda6detail10TensorInfoIT_T0_EENS7_IKS8_S9_EEllS9_.private_seg_size, 0
	.set _ZN2at6native16triu_tril_kernelIN3c107complexIfEEiLb1ELi2ELb1EEEvNS_4cuda6detail10TensorInfoIT_T0_EENS7_IKS8_S9_EEllS9_.uses_vcc, 1
	.set _ZN2at6native16triu_tril_kernelIN3c107complexIfEEiLb1ELi2ELb1EEEvNS_4cuda6detail10TensorInfoIT_T0_EENS7_IKS8_S9_EEllS9_.uses_flat_scratch, 0
	.set _ZN2at6native16triu_tril_kernelIN3c107complexIfEEiLb1ELi2ELb1EEEvNS_4cuda6detail10TensorInfoIT_T0_EENS7_IKS8_S9_EEllS9_.has_dyn_sized_stack, 0
	.set _ZN2at6native16triu_tril_kernelIN3c107complexIfEEiLb1ELi2ELb1EEEvNS_4cuda6detail10TensorInfoIT_T0_EENS7_IKS8_S9_EEllS9_.has_recursion, 0
	.set _ZN2at6native16triu_tril_kernelIN3c107complexIfEEiLb1ELi2ELb1EEEvNS_4cuda6detail10TensorInfoIT_T0_EENS7_IKS8_S9_EEllS9_.has_indirect_call, 0
	.section	.AMDGPU.csdata,"",@progbits
; Kernel info:
; codeLenInByte = 12156
; TotalNumSgprs: 68
; NumVgprs: 32
; ScratchSize: 0
; MemoryBound: 0
; FloatMode: 240
; IeeeMode: 1
; LDSByteSize: 0 bytes/workgroup (compile time only)
; SGPRBlocks: 0
; VGPRBlocks: 3
; NumSGPRsForWavesPerEU: 68
; NumVGPRsForWavesPerEU: 32
; Occupancy: 16
; WaveLimiterHint : 0
; COMPUTE_PGM_RSRC2:SCRATCH_EN: 0
; COMPUTE_PGM_RSRC2:USER_SGPR: 2
; COMPUTE_PGM_RSRC2:TRAP_HANDLER: 0
; COMPUTE_PGM_RSRC2:TGID_X_EN: 1
; COMPUTE_PGM_RSRC2:TGID_Y_EN: 0
; COMPUTE_PGM_RSRC2:TGID_Z_EN: 0
; COMPUTE_PGM_RSRC2:TIDIG_COMP_CNT: 0
	.section	.text._ZN2at6native16triu_tril_kernelIN3c107complexIfEEiLb1ELi2ELb0EEEvNS_4cuda6detail10TensorInfoIT_T0_EENS7_IKS8_S9_EEllS9_,"axG",@progbits,_ZN2at6native16triu_tril_kernelIN3c107complexIfEEiLb1ELi2ELb0EEEvNS_4cuda6detail10TensorInfoIT_T0_EENS7_IKS8_S9_EEllS9_,comdat
	.protected	_ZN2at6native16triu_tril_kernelIN3c107complexIfEEiLb1ELi2ELb0EEEvNS_4cuda6detail10TensorInfoIT_T0_EENS7_IKS8_S9_EEllS9_ ; -- Begin function _ZN2at6native16triu_tril_kernelIN3c107complexIfEEiLb1ELi2ELb0EEEvNS_4cuda6detail10TensorInfoIT_T0_EENS7_IKS8_S9_EEllS9_
	.globl	_ZN2at6native16triu_tril_kernelIN3c107complexIfEEiLb1ELi2ELb0EEEvNS_4cuda6detail10TensorInfoIT_T0_EENS7_IKS8_S9_EEllS9_
	.p2align	8
	.type	_ZN2at6native16triu_tril_kernelIN3c107complexIfEEiLb1ELi2ELb0EEEvNS_4cuda6detail10TensorInfoIT_T0_EENS7_IKS8_S9_EEllS9_,@function
_ZN2at6native16triu_tril_kernelIN3c107complexIfEEiLb1ELi2ELb0EEEvNS_4cuda6detail10TensorInfoIT_T0_EENS7_IKS8_S9_EEllS9_: ; @_ZN2at6native16triu_tril_kernelIN3c107complexIfEEiLb1ELi2ELb0EEEvNS_4cuda6detail10TensorInfoIT_T0_EENS7_IKS8_S9_EEllS9_
; %bb.0:
	s_clause 0x1
	s_load_b32 s2, s[0:1], 0x1d4
	s_load_b128 s[4:7], s[0:1], 0x1b0
	v_mov_b32_e32 v2, 0
	s_delay_alu instid0(VALU_DEP_1) | instskip(SKIP_3) | instid1(VALU_DEP_1)
	v_mov_b32_e32 v1, v2
	s_wait_kmcnt 0x0
	s_and_b32 s21, s2, 0xffff
	s_mov_b32 s2, exec_lo
	v_mad_co_u64_u32 v[0:1], null, s21, ttmp9, v[0:1]
	s_delay_alu instid0(VALU_DEP_1) | instskip(NEXT) | instid1(VALU_DEP_1)
	v_lshlrev_b64_e32 v[0:1], 1, v[0:1]
	v_cmpx_gt_i64_e64 s[6:7], v[0:1]
	s_cbranch_execz .LBB85_47
; %bb.1:
	s_clause 0x2
	s_load_b32 s24, s[0:1], 0x1a8
	s_load_b32 s8, s[0:1], 0x1c0
	s_load_b64 s[10:11], s[0:1], 0xd8
	s_add_nc_u64 s[12:13], s[0:1], 0xd8
	s_add_nc_u64 s[14:15], s[0:1], 0x1c8
	s_load_b32 s26, s[14:15], 0x0
	s_load_b64 s[14:15], s[0:1], 0x0
	s_wait_kmcnt 0x0
	s_ashr_i32 s25, s24, 31
	v_cvt_f32_u32_e32 v3, s8
	s_lshl_b64 s[16:17], s[24:25], 2
	s_and_b32 s48, s24, 3
	s_add_nc_u64 s[18:19], s[12:13], s[16:17]
	s_add_nc_u64 s[22:23], s[0:1], s[16:17]
	s_load_b64 s[2:3], s[18:19], 0x0
	v_rcp_iflag_f32_e32 v3, v3
	s_clause 0x1
	s_load_b64 s[16:17], s[18:19], 0x64
	s_load_b64 s[18:19], s[22:23], 0x64
	s_mul_i32 s26, s26, s21
	s_ashr_i32 s9, s8, 31
	s_add_co_i32 s33, s24, -3
	s_lshl_b32 s50, s26, 1
	v_cmp_gt_i64_e64 s49, s[24:25], 2
	s_mov_b32 s23, 0
	v_mul_f32_e32 v3, 0x4f7ffffe, v3
	s_delay_alu instid0(VALU_DEP_1)
	v_cvt_u32_f32_e32 v18, v3
	s_wait_kmcnt 0x0
	s_mov_b32 s20, s2
	s_ashr_i32 s21, s2, 31
	s_wait_alu 0xfffe
	v_cvt_f32_u32_e32 v4, s20
	s_cmp_lg_u32 s48, 2
	s_mov_b32 s24, s17
	s_cselect_b32 s51, -1, 0
	s_cmp_gt_u32 s33, 2
	v_rcp_iflag_f32_e32 v4, v4
	s_cselect_b32 s52, -1, 0
	s_ashr_i32 s25, s17, 31
	s_ashr_i32 s27, s19, 31
	s_mov_b32 s26, s19
	s_ashr_i32 s28, s9, 31
	s_mov_b32 s17, 0
	s_delay_alu instid0(TRANS32_DEP_1) | instskip(NEXT) | instid1(VALU_DEP_1)
	v_mul_f32_e32 v3, 0x4f7ffffe, v4
	v_cvt_u32_f32_e32 v19, v3
	s_branch .LBB85_3
.LBB85_2:                               ;   in Loop: Header=BB85_3 Depth=1
	s_wait_alu 0xfffe
	s_or_b32 exec_lo, exec_lo, s2
	v_add_co_u32 v0, vcc_lo, v0, s50
	s_wait_alu 0xfffd
	v_add_co_ci_u32_e64 v1, null, 0, v1, vcc_lo
	s_delay_alu instid0(VALU_DEP_1)
	v_cmp_le_i64_e32 vcc_lo, s[6:7], v[0:1]
	s_or_b32 s17, vcc_lo, s17
	s_wait_alu 0xfffe
	s_and_not1_b32 exec_lo, exec_lo, s17
	s_cbranch_execz .LBB85_47
.LBB85_3:                               ; =>This Loop Header: Depth=1
                                        ;     Child Loop BB85_15 Depth 2
                                        ;     Child Loop BB85_20 Depth 2
	v_or_b32_e32 v3, s9, v1
                                        ; implicit-def: $vgpr4_vgpr5
	s_mov_b32 s2, exec_lo
	s_delay_alu instid0(VALU_DEP_1)
	v_cmpx_ne_u64_e32 0, v[2:3]
	s_wait_alu 0xfffe
	s_xor_b32 s19, exec_lo, s2
	s_cbranch_execz .LBB85_5
; %bb.4:                                ;   in Loop: Header=BB85_3 Depth=1
	s_mov_b32 s29, s28
	v_ashrrev_i32_e32 v9, 31, v1
	s_wait_alu 0xfffe
	s_add_nc_u64 s[30:31], s[8:9], s[28:29]
	s_wait_alu 0xfffe
	s_xor_b64 s[30:31], s[30:31], s[28:29]
	v_add_co_u32 v3, vcc_lo, v0, v9
	s_wait_alu 0xfffe
	s_cvt_f32_u32 s2, s30
	s_cvt_f32_u32 s22, s31
	s_sub_nc_u64 s[36:37], 0, s[30:31]
	s_wait_alu 0xfffd
	v_add_co_ci_u32_e64 v4, null, v1, v9, vcc_lo
	s_wait_alu 0xfffe
	s_fmamk_f32 s2, s22, 0x4f800000, s2
	v_xor_b32_e32 v10, v3, v9
	s_delay_alu instid0(VALU_DEP_2) | instskip(SKIP_2) | instid1(TRANS32_DEP_1)
	v_xor_b32_e32 v11, v4, v9
	s_wait_alu 0xfffe
	v_s_rcp_f32 s2, s2
	s_mul_f32 s2, s2, 0x5f7ffffc
	s_wait_alu 0xfffe
	s_delay_alu instid0(SALU_CYCLE_2) | instskip(SKIP_1) | instid1(SALU_CYCLE_2)
	s_mul_f32 s22, s2, 0x2f800000
	s_wait_alu 0xfffe
	s_trunc_f32 s22, s22
	s_wait_alu 0xfffe
	s_delay_alu instid0(SALU_CYCLE_2) | instskip(SKIP_2) | instid1(SALU_CYCLE_1)
	s_fmamk_f32 s2, s22, 0xcf800000, s2
	s_cvt_u32_f32 s35, s22
	s_wait_alu 0xfffe
	s_cvt_u32_f32 s34, s2
	s_wait_alu 0xfffe
	s_delay_alu instid0(SALU_CYCLE_2)
	s_mul_u64 s[38:39], s[36:37], s[34:35]
	s_wait_alu 0xfffe
	s_mul_hi_u32 s41, s34, s39
	s_mul_i32 s40, s34, s39
	s_mul_hi_u32 s22, s34, s38
	s_mul_i32 s29, s35, s38
	s_wait_alu 0xfffe
	s_add_nc_u64 s[40:41], s[22:23], s[40:41]
	s_mul_hi_u32 s2, s35, s38
	s_mul_hi_u32 s42, s35, s39
	s_wait_alu 0xfffe
	s_add_co_u32 s22, s40, s29
	s_add_co_ci_u32 s22, s41, s2
	s_mul_i32 s38, s35, s39
	s_add_co_ci_u32 s39, s42, 0
	s_wait_alu 0xfffe
	s_add_nc_u64 s[38:39], s[22:23], s[38:39]
	s_wait_alu 0xfffe
	s_add_co_u32 s34, s34, s38
	s_cselect_b32 s2, -1, 0
	s_wait_alu 0xfffe
	s_cmp_lg_u32 s2, 0
	s_add_co_ci_u32 s35, s35, s39
	s_wait_alu 0xfffe
	s_mul_u64 s[36:37], s[36:37], s[34:35]
	s_wait_alu 0xfffe
	s_mul_hi_u32 s39, s34, s37
	s_mul_i32 s38, s34, s37
	s_mul_hi_u32 s22, s34, s36
	s_mul_i32 s29, s35, s36
	s_wait_alu 0xfffe
	s_add_nc_u64 s[38:39], s[22:23], s[38:39]
	s_mul_hi_u32 s2, s35, s36
	s_mul_hi_u32 s40, s35, s37
	s_wait_alu 0xfffe
	s_add_co_u32 s22, s38, s29
	s_add_co_ci_u32 s22, s39, s2
	s_mul_i32 s36, s35, s37
	s_add_co_ci_u32 s37, s40, 0
	s_wait_alu 0xfffe
	s_add_nc_u64 s[36:37], s[22:23], s[36:37]
	s_wait_alu 0xfffe
	s_add_co_u32 s2, s34, s36
	s_cselect_b32 s22, -1, 0
	s_wait_alu 0xfffe
	v_mul_hi_u32 v12, v10, s2
	s_cmp_lg_u32 s22, 0
	v_mad_co_u64_u32 v[5:6], null, v11, s2, 0
	s_add_co_ci_u32 s22, s35, s37
	s_wait_alu 0xfffe
	v_mad_co_u64_u32 v[3:4], null, v10, s22, 0
	v_mad_co_u64_u32 v[7:8], null, v11, s22, 0
	s_delay_alu instid0(VALU_DEP_2) | instskip(SKIP_1) | instid1(VALU_DEP_3)
	v_add_co_u32 v3, vcc_lo, v12, v3
	s_wait_alu 0xfffd
	v_add_co_ci_u32_e64 v4, null, 0, v4, vcc_lo
	s_delay_alu instid0(VALU_DEP_2) | instskip(SKIP_1) | instid1(VALU_DEP_2)
	v_add_co_u32 v3, vcc_lo, v3, v5
	s_wait_alu 0xfffd
	v_add_co_ci_u32_e32 v3, vcc_lo, v4, v6, vcc_lo
	s_wait_alu 0xfffd
	v_add_co_ci_u32_e32 v4, vcc_lo, 0, v8, vcc_lo
	s_delay_alu instid0(VALU_DEP_2) | instskip(SKIP_1) | instid1(VALU_DEP_2)
	v_add_co_u32 v5, vcc_lo, v3, v7
	s_wait_alu 0xfffd
	v_add_co_ci_u32_e64 v6, null, 0, v4, vcc_lo
	s_delay_alu instid0(VALU_DEP_2) | instskip(SKIP_1) | instid1(VALU_DEP_3)
	v_mul_lo_u32 v7, s31, v5
	v_mad_co_u64_u32 v[3:4], null, s30, v5, 0
	v_mul_lo_u32 v8, s30, v6
	s_delay_alu instid0(VALU_DEP_2) | instskip(NEXT) | instid1(VALU_DEP_2)
	v_sub_co_u32 v3, vcc_lo, v10, v3
	v_add3_u32 v4, v4, v8, v7
	v_add_co_u32 v8, s2, v5, 2
	s_wait_alu 0xf1ff
	v_add_co_ci_u32_e64 v10, null, 0, v6, s2
	s_delay_alu instid0(VALU_DEP_3) | instskip(SKIP_3) | instid1(VALU_DEP_3)
	v_sub_nc_u32_e32 v7, v11, v4
	v_sub_co_u32 v12, s2, v3, s30
	s_wait_alu 0xfffd
	v_sub_co_ci_u32_e64 v4, null, v11, v4, vcc_lo
	v_subrev_co_ci_u32_e64 v7, null, s31, v7, vcc_lo
	s_delay_alu instid0(VALU_DEP_3) | instskip(SKIP_1) | instid1(VALU_DEP_2)
	v_cmp_le_u32_e32 vcc_lo, s30, v12
	s_wait_alu 0xf1ff
	v_subrev_co_ci_u32_e64 v7, null, 0, v7, s2
	s_wait_alu 0xfffd
	v_cndmask_b32_e64 v11, 0, -1, vcc_lo
	s_delay_alu instid0(VALU_DEP_2)
	v_cmp_le_u32_e32 vcc_lo, s31, v7
	s_wait_alu 0xfffd
	v_cndmask_b32_e64 v12, 0, -1, vcc_lo
	v_cmp_le_u32_e32 vcc_lo, s30, v3
	s_wait_alu 0xfffd
	v_cndmask_b32_e64 v3, 0, -1, vcc_lo
	;; [unrolled: 3-line block ×3, first 2 shown]
	v_cmp_eq_u32_e32 vcc_lo, s31, v7
	s_wait_alu 0xfffd
	v_cndmask_b32_e32 v7, v12, v11, vcc_lo
	v_add_co_u32 v11, vcc_lo, v5, 1
	s_wait_alu 0xfffd
	v_add_co_ci_u32_e64 v12, null, 0, v6, vcc_lo
	v_cmp_eq_u32_e32 vcc_lo, s31, v4
	s_wait_alu 0xfffd
	v_cndmask_b32_e32 v3, v13, v3, vcc_lo
	v_cmp_ne_u32_e32 vcc_lo, 0, v7
	v_xor_b32_e32 v7, s28, v9
	s_wait_alu 0xfffd
	v_cndmask_b32_e32 v4, v12, v10, vcc_lo
	v_cmp_ne_u32_e64 s2, 0, v3
	v_cndmask_b32_e32 v3, v11, v8, vcc_lo
	s_wait_alu 0xf1ff
	s_delay_alu instid0(VALU_DEP_2) | instskip(NEXT) | instid1(VALU_DEP_2)
	v_cndmask_b32_e64 v4, v6, v4, s2
	v_cndmask_b32_e64 v3, v5, v3, s2
	s_delay_alu instid0(VALU_DEP_2) | instskip(NEXT) | instid1(VALU_DEP_2)
	v_xor_b32_e32 v5, v4, v7
	v_xor_b32_e32 v3, v3, v7
	s_delay_alu instid0(VALU_DEP_1) | instskip(SKIP_1) | instid1(VALU_DEP_3)
	v_sub_co_u32 v4, vcc_lo, v3, v7
	s_wait_alu 0xfffd
	v_sub_co_ci_u32_e64 v5, null, v5, v7, vcc_lo
.LBB85_5:                               ;   in Loop: Header=BB85_3 Depth=1
	s_wait_alu 0xfffe
	s_and_not1_saveexec_b32 s2, s19
	s_cbranch_execz .LBB85_7
; %bb.6:                                ;   in Loop: Header=BB85_3 Depth=1
	s_sub_co_i32 s19, 0, s8
	s_wait_alu 0xfffe
	v_mul_lo_u32 v3, s19, v18
	s_delay_alu instid0(VALU_DEP_1) | instskip(NEXT) | instid1(VALU_DEP_1)
	v_mul_hi_u32 v3, v18, v3
	v_add_nc_u32_e32 v3, v18, v3
	s_delay_alu instid0(VALU_DEP_1) | instskip(NEXT) | instid1(VALU_DEP_1)
	v_mul_hi_u32 v3, v0, v3
	v_mul_lo_u32 v4, v3, s8
	v_add_nc_u32_e32 v5, 1, v3
	s_delay_alu instid0(VALU_DEP_2) | instskip(NEXT) | instid1(VALU_DEP_1)
	v_sub_nc_u32_e32 v4, v0, v4
	v_subrev_nc_u32_e32 v6, s8, v4
	v_cmp_le_u32_e32 vcc_lo, s8, v4
	s_wait_alu 0xfffd
	s_delay_alu instid0(VALU_DEP_2) | instskip(NEXT) | instid1(VALU_DEP_1)
	v_dual_cndmask_b32 v4, v4, v6 :: v_dual_cndmask_b32 v3, v3, v5
	v_cmp_le_u32_e32 vcc_lo, s8, v4
	s_delay_alu instid0(VALU_DEP_2) | instskip(SKIP_1) | instid1(VALU_DEP_1)
	v_add_nc_u32_e32 v5, 1, v3
	s_wait_alu 0xfffd
	v_dual_cndmask_b32 v4, v3, v5 :: v_dual_mov_b32 v5, v2
.LBB85_7:                               ;   in Loop: Header=BB85_3 Depth=1
	s_wait_alu 0xfffe
	s_or_b32 exec_lo, exec_lo, s2
	s_delay_alu instid0(VALU_DEP_1) | instskip(SKIP_1) | instid1(VALU_DEP_1)
	v_or_b32_e32 v3, s21, v5
                                        ; implicit-def: $vgpr8_vgpr9
	s_mov_b32 s2, exec_lo
	v_cmpx_ne_u64_e32 0, v[2:3]
	s_wait_alu 0xfffe
	s_xor_b32 s19, exec_lo, s2
	s_cbranch_execz .LBB85_9
; %bb.8:                                ;   in Loop: Header=BB85_3 Depth=1
	s_ashr_i32 s30, s21, 31
	v_ashrrev_i32_e32 v3, 31, v5
	s_wait_alu 0xfffe
	s_mov_b32 s31, s30
	s_wait_alu 0xfffe
	s_add_nc_u64 s[34:35], s[20:21], s[30:31]
	v_add_co_u32 v6, vcc_lo, v4, v3
	s_wait_alu 0xfffe
	s_xor_b64 s[34:35], s[34:35], s[30:31]
	s_wait_alu 0xfffd
	v_add_co_ci_u32_e64 v5, null, v5, v3, vcc_lo
	s_wait_alu 0xfffe
	s_cvt_f32_u32 s2, s34
	s_cvt_f32_u32 s22, s35
	s_sub_nc_u64 s[38:39], 0, s[34:35]
	v_xor_b32_e32 v11, v6, v3
	v_xor_b32_e32 v12, v5, v3
	s_wait_alu 0xfffe
	s_fmamk_f32 s2, s22, 0x4f800000, s2
	v_xor_b32_e32 v3, s30, v3
	s_wait_alu 0xfffe
	s_delay_alu instid0(SALU_CYCLE_1) | instskip(NEXT) | instid1(TRANS32_DEP_1)
	v_s_rcp_f32 s2, s2
	s_mul_f32 s2, s2, 0x5f7ffffc
	s_wait_alu 0xfffe
	s_delay_alu instid0(SALU_CYCLE_2) | instskip(SKIP_1) | instid1(SALU_CYCLE_2)
	s_mul_f32 s22, s2, 0x2f800000
	s_wait_alu 0xfffe
	s_trunc_f32 s22, s22
	s_wait_alu 0xfffe
	s_delay_alu instid0(SALU_CYCLE_2) | instskip(SKIP_2) | instid1(SALU_CYCLE_1)
	s_fmamk_f32 s2, s22, 0xcf800000, s2
	s_cvt_u32_f32 s37, s22
	s_wait_alu 0xfffe
	s_cvt_u32_f32 s36, s2
	s_wait_alu 0xfffe
	s_delay_alu instid0(SALU_CYCLE_2)
	s_mul_u64 s[40:41], s[38:39], s[36:37]
	s_wait_alu 0xfffe
	s_mul_hi_u32 s43, s36, s41
	s_mul_i32 s42, s36, s41
	s_mul_hi_u32 s22, s36, s40
	s_mul_i32 s29, s37, s40
	s_wait_alu 0xfffe
	s_add_nc_u64 s[42:43], s[22:23], s[42:43]
	s_mul_hi_u32 s2, s37, s40
	s_mul_hi_u32 s31, s37, s41
	s_wait_alu 0xfffe
	s_add_co_u32 s22, s42, s29
	s_add_co_ci_u32 s22, s43, s2
	s_mul_i32 s40, s37, s41
	s_add_co_ci_u32 s41, s31, 0
	s_wait_alu 0xfffe
	s_add_nc_u64 s[40:41], s[22:23], s[40:41]
	s_wait_alu 0xfffe
	s_add_co_u32 s36, s36, s40
	s_cselect_b32 s2, -1, 0
	s_wait_alu 0xfffe
	s_cmp_lg_u32 s2, 0
	s_add_co_ci_u32 s37, s37, s41
	s_wait_alu 0xfffe
	s_mul_u64 s[38:39], s[38:39], s[36:37]
	s_wait_alu 0xfffe
	s_mul_hi_u32 s41, s36, s39
	s_mul_i32 s40, s36, s39
	s_mul_hi_u32 s22, s36, s38
	s_mul_i32 s29, s37, s38
	s_wait_alu 0xfffe
	s_add_nc_u64 s[40:41], s[22:23], s[40:41]
	s_mul_hi_u32 s2, s37, s38
	s_mul_hi_u32 s31, s37, s39
	s_wait_alu 0xfffe
	s_add_co_u32 s22, s40, s29
	s_add_co_ci_u32 s22, s41, s2
	s_mul_i32 s38, s37, s39
	s_add_co_ci_u32 s39, s31, 0
	s_wait_alu 0xfffe
	s_add_nc_u64 s[38:39], s[22:23], s[38:39]
	s_wait_alu 0xfffe
	s_add_co_u32 s2, s36, s38
	s_cselect_b32 s22, -1, 0
	s_wait_alu 0xfffe
	v_mul_hi_u32 v13, v11, s2
	s_cmp_lg_u32 s22, 0
	v_mad_co_u64_u32 v[7:8], null, v12, s2, 0
	s_add_co_ci_u32 s22, s37, s39
	s_wait_alu 0xfffe
	v_mad_co_u64_u32 v[5:6], null, v11, s22, 0
	v_mad_co_u64_u32 v[9:10], null, v12, s22, 0
	s_delay_alu instid0(VALU_DEP_2) | instskip(SKIP_1) | instid1(VALU_DEP_3)
	v_add_co_u32 v5, vcc_lo, v13, v5
	s_wait_alu 0xfffd
	v_add_co_ci_u32_e64 v6, null, 0, v6, vcc_lo
	s_delay_alu instid0(VALU_DEP_2) | instskip(SKIP_1) | instid1(VALU_DEP_2)
	v_add_co_u32 v5, vcc_lo, v5, v7
	s_wait_alu 0xfffd
	v_add_co_ci_u32_e32 v5, vcc_lo, v6, v8, vcc_lo
	s_wait_alu 0xfffd
	v_add_co_ci_u32_e32 v6, vcc_lo, 0, v10, vcc_lo
	s_delay_alu instid0(VALU_DEP_2) | instskip(SKIP_1) | instid1(VALU_DEP_2)
	v_add_co_u32 v7, vcc_lo, v5, v9
	s_wait_alu 0xfffd
	v_add_co_ci_u32_e64 v8, null, 0, v6, vcc_lo
	s_delay_alu instid0(VALU_DEP_2) | instskip(SKIP_1) | instid1(VALU_DEP_3)
	v_mul_lo_u32 v9, s35, v7
	v_mad_co_u64_u32 v[5:6], null, s34, v7, 0
	v_mul_lo_u32 v10, s34, v8
	s_delay_alu instid0(VALU_DEP_2) | instskip(NEXT) | instid1(VALU_DEP_2)
	v_sub_co_u32 v5, vcc_lo, v11, v5
	v_add3_u32 v6, v6, v10, v9
	v_add_co_u32 v10, s2, v7, 2
	s_wait_alu 0xf1ff
	v_add_co_ci_u32_e64 v11, null, 0, v8, s2
	s_delay_alu instid0(VALU_DEP_3) | instskip(SKIP_3) | instid1(VALU_DEP_3)
	v_sub_nc_u32_e32 v9, v12, v6
	v_sub_co_u32 v13, s2, v5, s34
	s_wait_alu 0xfffd
	v_sub_co_ci_u32_e64 v6, null, v12, v6, vcc_lo
	v_subrev_co_ci_u32_e64 v9, null, s35, v9, vcc_lo
	s_delay_alu instid0(VALU_DEP_3) | instskip(SKIP_1) | instid1(VALU_DEP_2)
	v_cmp_le_u32_e32 vcc_lo, s34, v13
	s_wait_alu 0xf1ff
	v_subrev_co_ci_u32_e64 v9, null, 0, v9, s2
	s_wait_alu 0xfffd
	v_cndmask_b32_e64 v12, 0, -1, vcc_lo
	s_delay_alu instid0(VALU_DEP_2)
	v_cmp_le_u32_e32 vcc_lo, s35, v9
	s_wait_alu 0xfffd
	v_cndmask_b32_e64 v13, 0, -1, vcc_lo
	v_cmp_le_u32_e32 vcc_lo, s34, v5
	s_wait_alu 0xfffd
	v_cndmask_b32_e64 v5, 0, -1, vcc_lo
	;; [unrolled: 3-line block ×3, first 2 shown]
	v_cmp_eq_u32_e32 vcc_lo, s35, v9
	s_wait_alu 0xfffd
	v_cndmask_b32_e32 v9, v13, v12, vcc_lo
	v_add_co_u32 v12, vcc_lo, v7, 1
	s_wait_alu 0xfffd
	v_add_co_ci_u32_e64 v13, null, 0, v8, vcc_lo
	v_cmp_eq_u32_e32 vcc_lo, s35, v6
	s_wait_alu 0xfffd
	v_cndmask_b32_e32 v5, v14, v5, vcc_lo
	v_cmp_ne_u32_e32 vcc_lo, 0, v9
	s_wait_alu 0xfffd
	v_cndmask_b32_e32 v6, v13, v11, vcc_lo
	s_delay_alu instid0(VALU_DEP_3) | instskip(SKIP_2) | instid1(VALU_DEP_2)
	v_cmp_ne_u32_e64 s2, 0, v5
	v_cndmask_b32_e32 v5, v12, v10, vcc_lo
	s_wait_alu 0xf1ff
	v_cndmask_b32_e64 v6, v8, v6, s2
	s_delay_alu instid0(VALU_DEP_2) | instskip(NEXT) | instid1(VALU_DEP_2)
	v_cndmask_b32_e64 v5, v7, v5, s2
	v_xor_b32_e32 v6, v6, v3
	s_delay_alu instid0(VALU_DEP_2) | instskip(NEXT) | instid1(VALU_DEP_1)
	v_xor_b32_e32 v5, v5, v3
	v_sub_co_u32 v8, vcc_lo, v5, v3
	s_wait_alu 0xfffd
	s_delay_alu instid0(VALU_DEP_3)
	v_sub_co_ci_u32_e64 v9, null, v6, v3, vcc_lo
.LBB85_9:                               ;   in Loop: Header=BB85_3 Depth=1
	s_wait_alu 0xfffe
	s_and_not1_saveexec_b32 s2, s19
	s_cbranch_execz .LBB85_11
; %bb.10:                               ;   in Loop: Header=BB85_3 Depth=1
	s_sub_co_i32 s19, 0, s20
	v_mov_b32_e32 v9, v2
	s_wait_alu 0xfffe
	v_mul_lo_u32 v3, s19, v19
	s_delay_alu instid0(VALU_DEP_1) | instskip(NEXT) | instid1(VALU_DEP_1)
	v_mul_hi_u32 v3, v19, v3
	v_add_nc_u32_e32 v3, v19, v3
	s_delay_alu instid0(VALU_DEP_1) | instskip(NEXT) | instid1(VALU_DEP_1)
	v_mul_hi_u32 v3, v4, v3
	v_mul_lo_u32 v5, v3, s20
	v_add_nc_u32_e32 v6, 1, v3
	s_delay_alu instid0(VALU_DEP_2) | instskip(NEXT) | instid1(VALU_DEP_1)
	v_sub_nc_u32_e32 v5, v4, v5
	v_cmp_le_u32_e32 vcc_lo, s20, v5
	v_subrev_nc_u32_e32 v7, s20, v5
	s_wait_alu 0xfffd
	v_cndmask_b32_e32 v3, v3, v6, vcc_lo
	s_delay_alu instid0(VALU_DEP_1) | instskip(NEXT) | instid1(VALU_DEP_3)
	v_add_nc_u32_e32 v6, 1, v3
	v_cndmask_b32_e32 v5, v5, v7, vcc_lo
	s_delay_alu instid0(VALU_DEP_1) | instskip(SKIP_1) | instid1(VALU_DEP_3)
	v_cmp_le_u32_e32 vcc_lo, s20, v5
	s_wait_alu 0xfffd
	v_cndmask_b32_e32 v8, v3, v6, vcc_lo
.LBB85_11:                              ;   in Loop: Header=BB85_3 Depth=1
	s_wait_alu 0xfffe
	s_or_b32 exec_lo, exec_lo, s2
	v_mad_co_u64_u32 v[5:6], null, v4, s8, 0
	s_delay_alu instid0(VALU_DEP_2) | instskip(SKIP_3) | instid1(VALU_DEP_2)
	v_mad_co_u64_u32 v[6:7], null, v8, s20, 0
	s_and_not1_b32 vcc_lo, exec_lo, s49
	v_sub_co_u32 v20, null, v0, v5
	v_sub_co_u32 v21, null, v4, v6
	v_mul_lo_u32 v3, s24, v20
	v_mul_lo_u32 v5, s26, v20
	s_delay_alu instid0(VALU_DEP_2) | instskip(NEXT) | instid1(VALU_DEP_1)
	v_mad_co_u64_u32 v[6:7], null, s16, v21, v[3:4]
	v_mad_co_u64_u32 v[4:5], null, s18, v21, v[5:6]
	s_wait_alu 0xfffe
	s_cbranch_vccnz .LBB85_38
; %bb.12:                               ;   in Loop: Header=BB85_3 Depth=1
	s_mov_b32 s19, 1
	s_and_not1_b32 vcc_lo, exec_lo, s51
	s_mov_b32 s22, s33
	s_mov_b32 s2, s33
	s_wait_alu 0xfffe
	s_cbranch_vccz .LBB85_15
; %bb.13:                               ;   in Loop: Header=BB85_3 Depth=1
	s_and_b32 vcc_lo, exec_lo, s52
	s_mov_b32 s22, s2
	s_wait_alu 0xfffe
	s_cbranch_vccnz .LBB85_20
	s_branch .LBB85_38
.LBB85_14:                              ;   in Loop: Header=BB85_15 Depth=2
	s_wait_alu 0xfffe
	s_or_b32 exec_lo, exec_lo, s2
	s_add_nc_u64 s[36:37], s[0:1], s[36:37]
	s_clause 0x1
	s_load_b32 s2, s[34:35], 0x6c
	s_load_b32 s29, s[36:37], 0x6c
	v_mul_lo_u32 v3, v10, s30
	s_add_co_i32 s22, s22, -1
	s_delay_alu instid0(VALU_DEP_1) | instskip(SKIP_2) | instid1(VALU_DEP_2)
	v_sub_nc_u32_e32 v3, v8, v3
	v_dual_mov_b32 v8, v10 :: v_dual_mov_b32 v9, v11
	s_wait_kmcnt 0x0
	v_mad_co_u64_u32 v[6:7], null, s2, v3, v[6:7]
	v_mad_co_u64_u32 v[4:5], null, s29, v3, v[4:5]
	s_xor_b32 s2, s48, s19
	s_add_co_i32 s19, s19, 1
	s_wait_alu 0xfffe
	s_cmp_lg_u32 s2, 2
	s_cbranch_scc0 .LBB85_19
.LBB85_15:                              ;   Parent Loop BB85_3 Depth=1
                                        ; =>  This Inner Loop Header: Depth=2
	s_lshl_b64 s[36:37], s[22:23], 2
                                        ; implicit-def: $vgpr10_vgpr11
	s_mov_b32 s2, exec_lo
	s_wait_alu 0xfffe
	s_add_nc_u64 s[34:35], s[12:13], s[36:37]
	s_load_b32 s30, s[34:35], 0x8
	s_wait_kmcnt 0x0
	s_ashr_i32 s31, s30, 31
	s_wait_alu 0xfffe
	v_or_b32_e32 v3, s31, v9
	s_delay_alu instid0(VALU_DEP_1)
	v_cmpx_ne_u64_e32 0, v[2:3]
	s_xor_b32 s29, exec_lo, s2
	s_cbranch_execz .LBB85_17
; %bb.16:                               ;   in Loop: Header=BB85_15 Depth=2
	s_ashr_i32 s38, s31, 31
	s_mov_b32 s47, s23
	s_wait_alu 0xfffe
	s_mov_b32 s39, s38
	s_mov_b32 s57, s23
	s_wait_alu 0xfffe
	s_add_nc_u64 s[40:41], s[30:31], s[38:39]
	v_ashrrev_i32_e32 v3, 31, v9
	s_wait_alu 0xfffe
	s_xor_b64 s[40:41], s[40:41], s[38:39]
	s_wait_alu 0xfffe
	s_cvt_f32_u32 s2, s40
	s_cvt_f32_u32 s31, s41
	s_sub_nc_u64 s[44:45], 0, s[40:41]
	v_add_co_u32 v5, vcc_lo, v8, v3
	s_wait_alu 0xfffe
	s_fmamk_f32 s2, s31, 0x4f800000, s2
	s_wait_alu 0xfffd
	v_add_co_ci_u32_e64 v7, null, v9, v3, vcc_lo
	v_xor_b32_e32 v5, v5, v3
	s_wait_alu 0xfffe
	v_s_rcp_f32 s2, s2
	s_delay_alu instid0(VALU_DEP_2) | instskip(SKIP_1) | instid1(TRANS32_DEP_1)
	v_xor_b32_e32 v7, v7, v3
	v_xor_b32_e32 v3, s38, v3
	s_mul_f32 s2, s2, 0x5f7ffffc
	s_wait_alu 0xfffe
	s_delay_alu instid0(SALU_CYCLE_2) | instskip(SKIP_1) | instid1(SALU_CYCLE_2)
	s_mul_f32 s31, s2, 0x2f800000
	s_wait_alu 0xfffe
	s_trunc_f32 s31, s31
	s_wait_alu 0xfffe
	s_delay_alu instid0(SALU_CYCLE_2) | instskip(SKIP_2) | instid1(SALU_CYCLE_1)
	s_fmamk_f32 s2, s31, 0xcf800000, s2
	s_cvt_u32_f32 s43, s31
	s_wait_alu 0xfffe
	s_cvt_u32_f32 s42, s2
	s_wait_alu 0xfffe
	s_delay_alu instid0(SALU_CYCLE_2) | instskip(NEXT) | instid1(SALU_CYCLE_1)
	s_mul_u64 s[54:55], s[44:45], s[42:43]
	s_mul_hi_u32 s59, s42, s55
	s_mul_i32 s58, s42, s55
	s_mul_hi_u32 s46, s42, s54
	s_mul_i32 s31, s43, s54
	s_wait_alu 0xfffe
	s_add_nc_u64 s[46:47], s[46:47], s[58:59]
	s_mul_hi_u32 s2, s43, s54
	s_mul_hi_u32 s39, s43, s55
	s_wait_alu 0xfffe
	s_add_co_u32 s31, s46, s31
	s_add_co_ci_u32 s56, s47, s2
	s_mul_i32 s54, s43, s55
	s_add_co_ci_u32 s55, s39, 0
	s_delay_alu instid0(SALU_CYCLE_1)
	s_add_nc_u64 s[46:47], s[56:57], s[54:55]
	s_mov_b32 s55, s23
	s_wait_alu 0xfffe
	s_add_co_u32 s42, s42, s46
	s_cselect_b32 s2, -1, 0
	s_wait_alu 0xfffe
	s_cmp_lg_u32 s2, 0
	s_add_co_ci_u32 s43, s43, s47
	s_mov_b32 s47, s23
	s_wait_alu 0xfffe
	s_mul_u64 s[44:45], s[44:45], s[42:43]
	s_wait_alu 0xfffe
	s_mul_hi_u32 s57, s42, s45
	s_mul_i32 s56, s42, s45
	s_mul_hi_u32 s54, s42, s44
	s_mul_i32 s31, s43, s44
	s_add_nc_u64 s[54:55], s[54:55], s[56:57]
	s_mul_hi_u32 s2, s43, s44
	s_mul_hi_u32 s39, s43, s45
	s_wait_alu 0xfffe
	s_add_co_u32 s31, s54, s31
	s_add_co_ci_u32 s46, s55, s2
	s_mul_i32 s44, s43, s45
	s_add_co_ci_u32 s45, s39, 0
	s_wait_alu 0xfffe
	s_add_nc_u64 s[44:45], s[46:47], s[44:45]
	s_wait_alu 0xfffe
	s_add_co_u32 s2, s42, s44
	s_cselect_b32 s31, -1, 0
	s_wait_alu 0xfffe
	v_mul_hi_u32 v15, v5, s2
	s_cmp_lg_u32 s31, 0
	v_mad_co_u64_u32 v[11:12], null, v7, s2, 0
	s_add_co_ci_u32 s31, s43, s45
	s_wait_alu 0xfffe
	v_mad_co_u64_u32 v[9:10], null, v5, s31, 0
	v_mad_co_u64_u32 v[13:14], null, v7, s31, 0
	s_delay_alu instid0(VALU_DEP_2) | instskip(SKIP_1) | instid1(VALU_DEP_3)
	v_add_co_u32 v9, vcc_lo, v15, v9
	s_wait_alu 0xfffd
	v_add_co_ci_u32_e64 v10, null, 0, v10, vcc_lo
	s_delay_alu instid0(VALU_DEP_2) | instskip(SKIP_1) | instid1(VALU_DEP_2)
	v_add_co_u32 v9, vcc_lo, v9, v11
	s_wait_alu 0xfffd
	v_add_co_ci_u32_e32 v9, vcc_lo, v10, v12, vcc_lo
	s_wait_alu 0xfffd
	v_add_co_ci_u32_e32 v10, vcc_lo, 0, v14, vcc_lo
	s_delay_alu instid0(VALU_DEP_2) | instskip(SKIP_1) | instid1(VALU_DEP_2)
	v_add_co_u32 v11, vcc_lo, v9, v13
	s_wait_alu 0xfffd
	v_add_co_ci_u32_e64 v12, null, 0, v10, vcc_lo
	s_delay_alu instid0(VALU_DEP_2) | instskip(SKIP_1) | instid1(VALU_DEP_3)
	v_mul_lo_u32 v13, s41, v11
	v_mad_co_u64_u32 v[9:10], null, s40, v11, 0
	v_mul_lo_u32 v14, s40, v12
	s_delay_alu instid0(VALU_DEP_2) | instskip(NEXT) | instid1(VALU_DEP_2)
	v_sub_co_u32 v5, vcc_lo, v5, v9
	v_add3_u32 v10, v10, v14, v13
	s_delay_alu instid0(VALU_DEP_1) | instskip(SKIP_2) | instid1(VALU_DEP_2)
	v_sub_nc_u32_e32 v13, v7, v10
	s_wait_alu 0xfffd
	v_sub_co_ci_u32_e64 v7, null, v7, v10, vcc_lo
	v_subrev_co_ci_u32_e64 v9, null, s41, v13, vcc_lo
	v_add_co_u32 v13, s2, v11, 2
	s_wait_alu 0xf1ff
	v_add_co_ci_u32_e64 v14, null, 0, v12, s2
	v_sub_co_u32 v15, s2, v5, s40
	s_wait_alu 0xf1ff
	v_subrev_co_ci_u32_e64 v9, null, 0, v9, s2
	s_delay_alu instid0(VALU_DEP_2) | instskip(SKIP_2) | instid1(VALU_DEP_3)
	v_cmp_le_u32_e32 vcc_lo, s40, v15
	s_wait_alu 0xfffd
	v_cndmask_b32_e64 v10, 0, -1, vcc_lo
	v_cmp_le_u32_e32 vcc_lo, s41, v9
	s_wait_alu 0xfffd
	v_cndmask_b32_e64 v15, 0, -1, vcc_lo
	;; [unrolled: 3-line block ×4, first 2 shown]
	v_cmp_eq_u32_e32 vcc_lo, s41, v9
	s_wait_alu 0xfffd
	v_cndmask_b32_e32 v9, v15, v10, vcc_lo
	v_add_co_u32 v10, vcc_lo, v11, 1
	s_wait_alu 0xfffd
	v_add_co_ci_u32_e64 v15, null, 0, v12, vcc_lo
	v_cmp_eq_u32_e32 vcc_lo, s41, v7
	s_wait_alu 0xfffd
	v_cndmask_b32_e32 v5, v16, v5, vcc_lo
	v_cmp_ne_u32_e32 vcc_lo, 0, v9
	s_delay_alu instid0(VALU_DEP_2) | instskip(SKIP_4) | instid1(VALU_DEP_2)
	v_cmp_ne_u32_e64 s2, 0, v5
	s_wait_alu 0xfffd
	v_cndmask_b32_e32 v5, v10, v13, vcc_lo
	v_cndmask_b32_e32 v7, v15, v14, vcc_lo
	s_wait_alu 0xf1ff
	v_cndmask_b32_e64 v5, v11, v5, s2
	s_delay_alu instid0(VALU_DEP_2) | instskip(NEXT) | instid1(VALU_DEP_2)
	v_cndmask_b32_e64 v7, v12, v7, s2
	v_xor_b32_e32 v5, v5, v3
	s_delay_alu instid0(VALU_DEP_2) | instskip(NEXT) | instid1(VALU_DEP_2)
	v_xor_b32_e32 v7, v7, v3
	v_sub_co_u32 v10, vcc_lo, v5, v3
	s_wait_alu 0xfffd
	s_delay_alu instid0(VALU_DEP_2)
	v_sub_co_ci_u32_e64 v11, null, v7, v3, vcc_lo
.LBB85_17:                              ;   in Loop: Header=BB85_15 Depth=2
	s_wait_alu 0xfffe
	s_and_not1_saveexec_b32 s2, s29
	s_cbranch_execz .LBB85_14
; %bb.18:                               ;   in Loop: Header=BB85_15 Depth=2
	v_cvt_f32_u32_e32 v3, s30
	s_sub_co_i32 s29, 0, s30
	v_mov_b32_e32 v11, v2
	s_delay_alu instid0(VALU_DEP_2) | instskip(NEXT) | instid1(TRANS32_DEP_1)
	v_rcp_iflag_f32_e32 v3, v3
	v_mul_f32_e32 v3, 0x4f7ffffe, v3
	s_delay_alu instid0(VALU_DEP_1) | instskip(SKIP_1) | instid1(VALU_DEP_1)
	v_cvt_u32_f32_e32 v3, v3
	s_wait_alu 0xfffe
	v_mul_lo_u32 v5, s29, v3
	s_delay_alu instid0(VALU_DEP_1) | instskip(NEXT) | instid1(VALU_DEP_1)
	v_mul_hi_u32 v5, v3, v5
	v_add_nc_u32_e32 v3, v3, v5
	s_delay_alu instid0(VALU_DEP_1) | instskip(NEXT) | instid1(VALU_DEP_1)
	v_mul_hi_u32 v3, v8, v3
	v_mul_lo_u32 v5, v3, s30
	v_add_nc_u32_e32 v7, 1, v3
	s_delay_alu instid0(VALU_DEP_2) | instskip(NEXT) | instid1(VALU_DEP_1)
	v_sub_nc_u32_e32 v5, v8, v5
	v_cmp_le_u32_e32 vcc_lo, s30, v5
	v_subrev_nc_u32_e32 v9, s30, v5
	s_wait_alu 0xfffd
	v_cndmask_b32_e32 v3, v3, v7, vcc_lo
	s_delay_alu instid0(VALU_DEP_1) | instskip(NEXT) | instid1(VALU_DEP_3)
	v_add_nc_u32_e32 v7, 1, v3
	v_cndmask_b32_e32 v5, v5, v9, vcc_lo
	s_delay_alu instid0(VALU_DEP_1) | instskip(SKIP_1) | instid1(VALU_DEP_3)
	v_cmp_le_u32_e32 vcc_lo, s30, v5
	s_wait_alu 0xfffd
	v_cndmask_b32_e32 v10, v3, v7, vcc_lo
	s_branch .LBB85_14
.LBB85_19:                              ;   in Loop: Header=BB85_3 Depth=1
	s_mov_b32 s2, s22
	s_and_b32 vcc_lo, exec_lo, s52
	s_wait_alu 0xfffe
	s_mov_b32 s22, s2
	s_cbranch_vccz .LBB85_38
.LBB85_20:                              ;   Parent Loop BB85_3 Depth=1
                                        ; =>  This Inner Loop Header: Depth=2
	s_wait_alu 0xfffe
	s_lshl_b64 s[42:43], s[22:23], 2
                                        ; implicit-def: $vgpr10_vgpr11
	s_mov_b32 s2, exec_lo
	s_wait_alu 0xfffe
	s_add_nc_u64 s[36:37], s[12:13], s[42:43]
	s_load_b32 s30, s[36:37], 0x8
	s_wait_kmcnt 0x0
	s_ashr_i32 s31, s30, 31
	s_wait_alu 0xfffe
	v_or_b32_e32 v3, s31, v9
	s_delay_alu instid0(VALU_DEP_1)
	v_cmpx_ne_u64_e32 0, v[2:3]
	s_xor_b32 s19, exec_lo, s2
	s_cbranch_execz .LBB85_22
; %bb.21:                               ;   in Loop: Header=BB85_20 Depth=2
	s_ashr_i32 s34, s31, 31
	s_mov_b32 s47, s23
	s_wait_alu 0xfffe
	s_mov_b32 s35, s34
	s_mov_b32 s57, s23
	s_wait_alu 0xfffe
	s_add_nc_u64 s[38:39], s[30:31], s[34:35]
	v_ashrrev_i32_e32 v3, 31, v9
	s_wait_alu 0xfffe
	s_xor_b64 s[38:39], s[38:39], s[34:35]
	s_wait_alu 0xfffe
	s_cvt_f32_u32 s2, s38
	s_cvt_f32_u32 s29, s39
	s_sub_nc_u64 s[44:45], 0, s[38:39]
	v_add_co_u32 v5, vcc_lo, v8, v3
	s_wait_alu 0xfffe
	s_fmamk_f32 s2, s29, 0x4f800000, s2
	s_wait_alu 0xfffd
	v_add_co_ci_u32_e64 v7, null, v9, v3, vcc_lo
	v_xor_b32_e32 v5, v5, v3
	s_wait_alu 0xfffe
	v_s_rcp_f32 s2, s2
	s_delay_alu instid0(VALU_DEP_2) | instskip(SKIP_1) | instid1(TRANS32_DEP_1)
	v_xor_b32_e32 v7, v7, v3
	v_xor_b32_e32 v3, s34, v3
	s_mul_f32 s2, s2, 0x5f7ffffc
	s_wait_alu 0xfffe
	s_delay_alu instid0(SALU_CYCLE_2) | instskip(SKIP_1) | instid1(SALU_CYCLE_2)
	s_mul_f32 s29, s2, 0x2f800000
	s_wait_alu 0xfffe
	s_trunc_f32 s29, s29
	s_wait_alu 0xfffe
	s_delay_alu instid0(SALU_CYCLE_2) | instskip(SKIP_2) | instid1(SALU_CYCLE_1)
	s_fmamk_f32 s2, s29, 0xcf800000, s2
	s_cvt_u32_f32 s41, s29
	s_wait_alu 0xfffe
	s_cvt_u32_f32 s40, s2
	s_wait_alu 0xfffe
	s_delay_alu instid0(SALU_CYCLE_2) | instskip(NEXT) | instid1(SALU_CYCLE_1)
	s_mul_u64 s[54:55], s[44:45], s[40:41]
	s_mul_hi_u32 s59, s40, s55
	s_mul_i32 s58, s40, s55
	s_mul_hi_u32 s46, s40, s54
	s_mul_i32 s29, s41, s54
	s_wait_alu 0xfffe
	s_add_nc_u64 s[46:47], s[46:47], s[58:59]
	s_mul_hi_u32 s2, s41, s54
	s_mul_hi_u32 s31, s41, s55
	s_wait_alu 0xfffe
	s_add_co_u32 s29, s46, s29
	s_add_co_ci_u32 s56, s47, s2
	s_mul_i32 s54, s41, s55
	s_add_co_ci_u32 s55, s31, 0
	s_delay_alu instid0(SALU_CYCLE_1)
	s_add_nc_u64 s[46:47], s[56:57], s[54:55]
	s_mov_b32 s55, s23
	s_wait_alu 0xfffe
	s_add_co_u32 s40, s40, s46
	s_cselect_b32 s2, -1, 0
	s_wait_alu 0xfffe
	s_cmp_lg_u32 s2, 0
	s_add_co_ci_u32 s41, s41, s47
	s_mov_b32 s47, s23
	s_wait_alu 0xfffe
	s_mul_u64 s[44:45], s[44:45], s[40:41]
	s_wait_alu 0xfffe
	s_mul_hi_u32 s57, s40, s45
	s_mul_i32 s56, s40, s45
	s_mul_hi_u32 s54, s40, s44
	s_mul_i32 s29, s41, s44
	s_add_nc_u64 s[54:55], s[54:55], s[56:57]
	s_mul_hi_u32 s2, s41, s44
	s_mul_hi_u32 s31, s41, s45
	s_wait_alu 0xfffe
	s_add_co_u32 s29, s54, s29
	s_add_co_ci_u32 s46, s55, s2
	s_mul_i32 s44, s41, s45
	s_add_co_ci_u32 s45, s31, 0
	s_wait_alu 0xfffe
	s_add_nc_u64 s[44:45], s[46:47], s[44:45]
	s_wait_alu 0xfffe
	s_add_co_u32 s2, s40, s44
	s_cselect_b32 s29, -1, 0
	s_wait_alu 0xfffe
	v_mul_hi_u32 v15, v5, s2
	s_cmp_lg_u32 s29, 0
	v_mad_co_u64_u32 v[11:12], null, v7, s2, 0
	s_add_co_ci_u32 s29, s41, s45
	s_wait_alu 0xfffe
	v_mad_co_u64_u32 v[9:10], null, v5, s29, 0
	v_mad_co_u64_u32 v[13:14], null, v7, s29, 0
	s_delay_alu instid0(VALU_DEP_2) | instskip(SKIP_1) | instid1(VALU_DEP_3)
	v_add_co_u32 v9, vcc_lo, v15, v9
	s_wait_alu 0xfffd
	v_add_co_ci_u32_e64 v10, null, 0, v10, vcc_lo
	s_delay_alu instid0(VALU_DEP_2) | instskip(SKIP_1) | instid1(VALU_DEP_2)
	v_add_co_u32 v9, vcc_lo, v9, v11
	s_wait_alu 0xfffd
	v_add_co_ci_u32_e32 v9, vcc_lo, v10, v12, vcc_lo
	s_wait_alu 0xfffd
	v_add_co_ci_u32_e32 v10, vcc_lo, 0, v14, vcc_lo
	s_delay_alu instid0(VALU_DEP_2) | instskip(SKIP_1) | instid1(VALU_DEP_2)
	v_add_co_u32 v11, vcc_lo, v9, v13
	s_wait_alu 0xfffd
	v_add_co_ci_u32_e64 v12, null, 0, v10, vcc_lo
	s_delay_alu instid0(VALU_DEP_2) | instskip(SKIP_1) | instid1(VALU_DEP_3)
	v_mul_lo_u32 v13, s39, v11
	v_mad_co_u64_u32 v[9:10], null, s38, v11, 0
	v_mul_lo_u32 v14, s38, v12
	s_delay_alu instid0(VALU_DEP_2) | instskip(NEXT) | instid1(VALU_DEP_2)
	v_sub_co_u32 v5, vcc_lo, v5, v9
	v_add3_u32 v10, v10, v14, v13
	s_delay_alu instid0(VALU_DEP_1) | instskip(SKIP_2) | instid1(VALU_DEP_2)
	v_sub_nc_u32_e32 v13, v7, v10
	s_wait_alu 0xfffd
	v_sub_co_ci_u32_e64 v7, null, v7, v10, vcc_lo
	v_subrev_co_ci_u32_e64 v9, null, s39, v13, vcc_lo
	v_add_co_u32 v13, s2, v11, 2
	s_wait_alu 0xf1ff
	v_add_co_ci_u32_e64 v14, null, 0, v12, s2
	v_sub_co_u32 v15, s2, v5, s38
	s_wait_alu 0xf1ff
	v_subrev_co_ci_u32_e64 v9, null, 0, v9, s2
	s_delay_alu instid0(VALU_DEP_2) | instskip(SKIP_2) | instid1(VALU_DEP_3)
	v_cmp_le_u32_e32 vcc_lo, s38, v15
	s_wait_alu 0xfffd
	v_cndmask_b32_e64 v10, 0, -1, vcc_lo
	v_cmp_le_u32_e32 vcc_lo, s39, v9
	s_wait_alu 0xfffd
	v_cndmask_b32_e64 v15, 0, -1, vcc_lo
	;; [unrolled: 3-line block ×4, first 2 shown]
	v_cmp_eq_u32_e32 vcc_lo, s39, v9
	s_wait_alu 0xfffd
	v_cndmask_b32_e32 v9, v15, v10, vcc_lo
	v_add_co_u32 v10, vcc_lo, v11, 1
	s_wait_alu 0xfffd
	v_add_co_ci_u32_e64 v15, null, 0, v12, vcc_lo
	v_cmp_eq_u32_e32 vcc_lo, s39, v7
	s_wait_alu 0xfffd
	v_cndmask_b32_e32 v5, v16, v5, vcc_lo
	v_cmp_ne_u32_e32 vcc_lo, 0, v9
	s_delay_alu instid0(VALU_DEP_2) | instskip(SKIP_4) | instid1(VALU_DEP_2)
	v_cmp_ne_u32_e64 s2, 0, v5
	s_wait_alu 0xfffd
	v_cndmask_b32_e32 v5, v10, v13, vcc_lo
	v_cndmask_b32_e32 v7, v15, v14, vcc_lo
	s_wait_alu 0xf1ff
	v_cndmask_b32_e64 v5, v11, v5, s2
	s_delay_alu instid0(VALU_DEP_2) | instskip(NEXT) | instid1(VALU_DEP_2)
	v_cndmask_b32_e64 v7, v12, v7, s2
	v_xor_b32_e32 v5, v5, v3
	s_delay_alu instid0(VALU_DEP_2) | instskip(NEXT) | instid1(VALU_DEP_2)
	v_xor_b32_e32 v7, v7, v3
	v_sub_co_u32 v10, vcc_lo, v5, v3
	s_wait_alu 0xfffd
	s_delay_alu instid0(VALU_DEP_2)
	v_sub_co_ci_u32_e64 v11, null, v7, v3, vcc_lo
.LBB85_22:                              ;   in Loop: Header=BB85_20 Depth=2
	s_wait_alu 0xfffe
	s_and_not1_saveexec_b32 s2, s19
	s_cbranch_execz .LBB85_24
; %bb.23:                               ;   in Loop: Header=BB85_20 Depth=2
	v_cvt_f32_u32_e32 v3, s30
	s_sub_co_i32 s19, 0, s30
	v_mov_b32_e32 v11, v2
	s_delay_alu instid0(VALU_DEP_2) | instskip(NEXT) | instid1(TRANS32_DEP_1)
	v_rcp_iflag_f32_e32 v3, v3
	v_mul_f32_e32 v3, 0x4f7ffffe, v3
	s_delay_alu instid0(VALU_DEP_1) | instskip(SKIP_1) | instid1(VALU_DEP_1)
	v_cvt_u32_f32_e32 v3, v3
	s_wait_alu 0xfffe
	v_mul_lo_u32 v5, s19, v3
	s_delay_alu instid0(VALU_DEP_1) | instskip(NEXT) | instid1(VALU_DEP_1)
	v_mul_hi_u32 v5, v3, v5
	v_add_nc_u32_e32 v3, v3, v5
	s_delay_alu instid0(VALU_DEP_1) | instskip(NEXT) | instid1(VALU_DEP_1)
	v_mul_hi_u32 v3, v8, v3
	v_mul_lo_u32 v5, v3, s30
	v_add_nc_u32_e32 v7, 1, v3
	s_delay_alu instid0(VALU_DEP_2) | instskip(NEXT) | instid1(VALU_DEP_1)
	v_sub_nc_u32_e32 v5, v8, v5
	v_cmp_le_u32_e32 vcc_lo, s30, v5
	v_subrev_nc_u32_e32 v9, s30, v5
	s_wait_alu 0xfffd
	v_cndmask_b32_e32 v3, v3, v7, vcc_lo
	s_delay_alu instid0(VALU_DEP_1) | instskip(NEXT) | instid1(VALU_DEP_3)
	v_add_nc_u32_e32 v7, 1, v3
	v_cndmask_b32_e32 v5, v5, v9, vcc_lo
	s_delay_alu instid0(VALU_DEP_1) | instskip(SKIP_1) | instid1(VALU_DEP_3)
	v_cmp_le_u32_e32 vcc_lo, s30, v5
	s_wait_alu 0xfffd
	v_cndmask_b32_e32 v10, v3, v7, vcc_lo
.LBB85_24:                              ;   in Loop: Header=BB85_20 Depth=2
	s_wait_alu 0xfffe
	s_or_b32 exec_lo, exec_lo, s2
	s_add_co_i32 s34, s22, -1
	s_mov_b32 s35, s23
	s_add_nc_u64 s[42:43], s[0:1], s[42:43]
	s_wait_alu 0xfffe
	s_lshl_b64 s[40:41], s[34:35], 2
                                        ; implicit-def: $vgpr12_vgpr13
	s_mov_b32 s2, exec_lo
	s_wait_alu 0xfffe
	s_add_nc_u64 s[38:39], s[12:13], s[40:41]
	s_clause 0x2
	s_load_b32 s34, s[38:39], 0x8
	s_load_b32 s19, s[36:37], 0x6c
	;; [unrolled: 1-line block ×3, first 2 shown]
	s_wait_kmcnt 0x0
	s_ashr_i32 s35, s34, 31
	s_wait_alu 0xfffe
	v_or_b32_e32 v3, s35, v11
	s_delay_alu instid0(VALU_DEP_1)
	v_cmpx_ne_u64_e32 0, v[2:3]
	s_xor_b32 s31, exec_lo, s2
	s_cbranch_execz .LBB85_26
; %bb.25:                               ;   in Loop: Header=BB85_20 Depth=2
	s_ashr_i32 s36, s35, 31
	s_mov_b32 s55, s23
	s_wait_alu 0xfffe
	s_mov_b32 s37, s36
	s_mov_b32 s59, s23
	s_wait_alu 0xfffe
	s_add_nc_u64 s[42:43], s[34:35], s[36:37]
	v_ashrrev_i32_e32 v3, 31, v11
	s_wait_alu 0xfffe
	s_xor_b64 s[42:43], s[42:43], s[36:37]
	s_wait_alu 0xfffe
	s_cvt_f32_u32 s2, s42
	s_cvt_f32_u32 s35, s43
	s_sub_nc_u64 s[46:47], 0, s[42:43]
	v_add_co_u32 v5, vcc_lo, v10, v3
	s_wait_alu 0xfffe
	s_fmamk_f32 s2, s35, 0x4f800000, s2
	s_wait_alu 0xfffd
	v_add_co_ci_u32_e64 v7, null, v11, v3, vcc_lo
	v_xor_b32_e32 v5, v5, v3
	s_wait_alu 0xfffe
	v_s_rcp_f32 s2, s2
	s_delay_alu instid0(VALU_DEP_2) | instskip(SKIP_1) | instid1(TRANS32_DEP_1)
	v_xor_b32_e32 v7, v7, v3
	v_xor_b32_e32 v3, s36, v3
	s_mul_f32 s2, s2, 0x5f7ffffc
	s_wait_alu 0xfffe
	s_delay_alu instid0(SALU_CYCLE_2) | instskip(SKIP_1) | instid1(SALU_CYCLE_2)
	s_mul_f32 s35, s2, 0x2f800000
	s_wait_alu 0xfffe
	s_trunc_f32 s35, s35
	s_wait_alu 0xfffe
	s_delay_alu instid0(SALU_CYCLE_2) | instskip(SKIP_2) | instid1(SALU_CYCLE_1)
	s_fmamk_f32 s2, s35, 0xcf800000, s2
	s_cvt_u32_f32 s45, s35
	s_wait_alu 0xfffe
	s_cvt_u32_f32 s44, s2
	s_wait_alu 0xfffe
	s_delay_alu instid0(SALU_CYCLE_2) | instskip(NEXT) | instid1(SALU_CYCLE_1)
	s_mul_u64 s[56:57], s[46:47], s[44:45]
	s_mul_hi_u32 s61, s44, s57
	s_mul_i32 s60, s44, s57
	s_mul_hi_u32 s54, s44, s56
	s_mul_i32 s35, s45, s56
	s_add_nc_u64 s[54:55], s[54:55], s[60:61]
	s_mul_hi_u32 s2, s45, s56
	s_mul_hi_u32 s37, s45, s57
	s_wait_alu 0xfffe
	s_add_co_u32 s35, s54, s35
	s_add_co_ci_u32 s58, s55, s2
	s_mul_i32 s56, s45, s57
	s_add_co_ci_u32 s57, s37, 0
	s_delay_alu instid0(SALU_CYCLE_1)
	s_add_nc_u64 s[54:55], s[58:59], s[56:57]
	s_mov_b32 s57, s23
	s_add_co_u32 s44, s44, s54
	s_cselect_b32 s2, -1, 0
	s_wait_alu 0xfffe
	s_cmp_lg_u32 s2, 0
	s_add_co_ci_u32 s45, s45, s55
	s_mov_b32 s55, s23
	s_wait_alu 0xfffe
	s_mul_u64 s[46:47], s[46:47], s[44:45]
	s_wait_alu 0xfffe
	s_mul_hi_u32 s59, s44, s47
	s_mul_i32 s58, s44, s47
	s_mul_hi_u32 s56, s44, s46
	s_mul_i32 s35, s45, s46
	s_add_nc_u64 s[56:57], s[56:57], s[58:59]
	s_mul_hi_u32 s2, s45, s46
	s_mul_hi_u32 s37, s45, s47
	s_wait_alu 0xfffe
	s_add_co_u32 s35, s56, s35
	s_add_co_ci_u32 s54, s57, s2
	s_mul_i32 s46, s45, s47
	s_add_co_ci_u32 s47, s37, 0
	s_wait_alu 0xfffe
	s_add_nc_u64 s[46:47], s[54:55], s[46:47]
	s_wait_alu 0xfffe
	s_add_co_u32 s2, s44, s46
	s_cselect_b32 s35, -1, 0
	s_wait_alu 0xfffe
	v_mul_hi_u32 v9, v5, s2
	s_cmp_lg_u32 s35, 0
	v_mad_co_u64_u32 v[13:14], null, v7, s2, 0
	s_add_co_ci_u32 s35, s45, s47
	s_wait_alu 0xfffe
	v_mad_co_u64_u32 v[11:12], null, v5, s35, 0
	v_mad_co_u64_u32 v[15:16], null, v7, s35, 0
	s_delay_alu instid0(VALU_DEP_2) | instskip(SKIP_1) | instid1(VALU_DEP_3)
	v_add_co_u32 v9, vcc_lo, v9, v11
	s_wait_alu 0xfffd
	v_add_co_ci_u32_e64 v11, null, 0, v12, vcc_lo
	s_delay_alu instid0(VALU_DEP_2) | instskip(SKIP_1) | instid1(VALU_DEP_2)
	v_add_co_u32 v9, vcc_lo, v9, v13
	s_wait_alu 0xfffd
	v_add_co_ci_u32_e32 v9, vcc_lo, v11, v14, vcc_lo
	s_wait_alu 0xfffd
	v_add_co_ci_u32_e32 v11, vcc_lo, 0, v16, vcc_lo
	s_delay_alu instid0(VALU_DEP_2) | instskip(SKIP_1) | instid1(VALU_DEP_2)
	v_add_co_u32 v9, vcc_lo, v9, v15
	s_wait_alu 0xfffd
	v_add_co_ci_u32_e64 v13, null, 0, v11, vcc_lo
	s_delay_alu instid0(VALU_DEP_2) | instskip(SKIP_1) | instid1(VALU_DEP_3)
	v_mul_lo_u32 v14, s43, v9
	v_mad_co_u64_u32 v[11:12], null, s42, v9, 0
	v_mul_lo_u32 v15, s42, v13
	s_delay_alu instid0(VALU_DEP_2) | instskip(NEXT) | instid1(VALU_DEP_2)
	v_sub_co_u32 v5, vcc_lo, v5, v11
	v_add3_u32 v12, v12, v15, v14
	s_delay_alu instid0(VALU_DEP_1) | instskip(SKIP_2) | instid1(VALU_DEP_2)
	v_sub_nc_u32_e32 v14, v7, v12
	s_wait_alu 0xfffd
	v_sub_co_ci_u32_e64 v7, null, v7, v12, vcc_lo
	v_subrev_co_ci_u32_e64 v11, null, s43, v14, vcc_lo
	v_add_co_u32 v14, s2, v9, 2
	s_wait_alu 0xf1ff
	v_add_co_ci_u32_e64 v15, null, 0, v13, s2
	v_sub_co_u32 v16, s2, v5, s42
	s_wait_alu 0xf1ff
	v_subrev_co_ci_u32_e64 v11, null, 0, v11, s2
	s_delay_alu instid0(VALU_DEP_2) | instskip(SKIP_2) | instid1(VALU_DEP_3)
	v_cmp_le_u32_e32 vcc_lo, s42, v16
	s_wait_alu 0xfffd
	v_cndmask_b32_e64 v12, 0, -1, vcc_lo
	v_cmp_le_u32_e32 vcc_lo, s43, v11
	s_wait_alu 0xfffd
	v_cndmask_b32_e64 v16, 0, -1, vcc_lo
	v_cmp_le_u32_e32 vcc_lo, s42, v5
	s_wait_alu 0xfffd
	v_cndmask_b32_e64 v5, 0, -1, vcc_lo
	v_cmp_le_u32_e32 vcc_lo, s43, v7
	s_wait_alu 0xfffd
	v_cndmask_b32_e64 v17, 0, -1, vcc_lo
	v_cmp_eq_u32_e32 vcc_lo, s43, v11
	s_wait_alu 0xfffd
	v_cndmask_b32_e32 v11, v16, v12, vcc_lo
	v_add_co_u32 v12, vcc_lo, v9, 1
	s_wait_alu 0xfffd
	v_add_co_ci_u32_e64 v16, null, 0, v13, vcc_lo
	v_cmp_eq_u32_e32 vcc_lo, s43, v7
	s_wait_alu 0xfffd
	v_cndmask_b32_e32 v5, v17, v5, vcc_lo
	v_cmp_ne_u32_e32 vcc_lo, 0, v11
	s_delay_alu instid0(VALU_DEP_2) | instskip(SKIP_4) | instid1(VALU_DEP_2)
	v_cmp_ne_u32_e64 s2, 0, v5
	s_wait_alu 0xfffd
	v_cndmask_b32_e32 v5, v12, v14, vcc_lo
	v_cndmask_b32_e32 v7, v16, v15, vcc_lo
	s_wait_alu 0xf1ff
	v_cndmask_b32_e64 v5, v9, v5, s2
	s_delay_alu instid0(VALU_DEP_2) | instskip(NEXT) | instid1(VALU_DEP_2)
	v_cndmask_b32_e64 v7, v13, v7, s2
	v_xor_b32_e32 v5, v5, v3
	s_delay_alu instid0(VALU_DEP_2) | instskip(NEXT) | instid1(VALU_DEP_2)
	v_xor_b32_e32 v7, v7, v3
	v_sub_co_u32 v12, vcc_lo, v5, v3
	s_wait_alu 0xfffd
	s_delay_alu instid0(VALU_DEP_2)
	v_sub_co_ci_u32_e64 v13, null, v7, v3, vcc_lo
.LBB85_26:                              ;   in Loop: Header=BB85_20 Depth=2
	s_wait_alu 0xfffe
	s_and_not1_saveexec_b32 s2, s31
	s_cbranch_execz .LBB85_28
; %bb.27:                               ;   in Loop: Header=BB85_20 Depth=2
	v_cvt_f32_u32_e32 v3, s34
	s_sub_co_i32 s31, 0, s34
	v_mov_b32_e32 v13, v2
	s_delay_alu instid0(VALU_DEP_2) | instskip(NEXT) | instid1(TRANS32_DEP_1)
	v_rcp_iflag_f32_e32 v3, v3
	v_mul_f32_e32 v3, 0x4f7ffffe, v3
	s_delay_alu instid0(VALU_DEP_1) | instskip(SKIP_1) | instid1(VALU_DEP_1)
	v_cvt_u32_f32_e32 v3, v3
	s_wait_alu 0xfffe
	v_mul_lo_u32 v5, s31, v3
	s_delay_alu instid0(VALU_DEP_1) | instskip(NEXT) | instid1(VALU_DEP_1)
	v_mul_hi_u32 v5, v3, v5
	v_add_nc_u32_e32 v3, v3, v5
	s_delay_alu instid0(VALU_DEP_1) | instskip(NEXT) | instid1(VALU_DEP_1)
	v_mul_hi_u32 v3, v10, v3
	v_mul_lo_u32 v5, v3, s34
	v_add_nc_u32_e32 v7, 1, v3
	s_delay_alu instid0(VALU_DEP_2) | instskip(NEXT) | instid1(VALU_DEP_1)
	v_sub_nc_u32_e32 v5, v10, v5
	v_cmp_le_u32_e32 vcc_lo, s34, v5
	v_subrev_nc_u32_e32 v9, s34, v5
	s_wait_alu 0xfffd
	v_cndmask_b32_e32 v3, v3, v7, vcc_lo
	s_delay_alu instid0(VALU_DEP_1) | instskip(NEXT) | instid1(VALU_DEP_3)
	v_add_nc_u32_e32 v7, 1, v3
	v_cndmask_b32_e32 v5, v5, v9, vcc_lo
	s_delay_alu instid0(VALU_DEP_1) | instskip(SKIP_1) | instid1(VALU_DEP_3)
	v_cmp_le_u32_e32 vcc_lo, s34, v5
	s_wait_alu 0xfffd
	v_cndmask_b32_e32 v12, v3, v7, vcc_lo
.LBB85_28:                              ;   in Loop: Header=BB85_20 Depth=2
	s_wait_alu 0xfffe
	s_or_b32 exec_lo, exec_lo, s2
	s_add_co_i32 s36, s22, -2
	s_mov_b32 s37, s23
	s_add_nc_u64 s[40:41], s[0:1], s[40:41]
	s_wait_alu 0xfffe
	s_lshl_b64 s[46:47], s[36:37], 2
                                        ; implicit-def: $vgpr14_vgpr15
	s_mov_b32 s2, exec_lo
	s_wait_alu 0xfffe
	s_add_nc_u64 s[44:45], s[12:13], s[46:47]
	s_clause 0x2
	s_load_b32 s36, s[44:45], 0x8
	s_load_b32 s31, s[38:39], 0x6c
	;; [unrolled: 1-line block ×3, first 2 shown]
	s_wait_kmcnt 0x0
	s_ashr_i32 s37, s36, 31
	s_wait_alu 0xfffe
	v_or_b32_e32 v3, s37, v13
	s_delay_alu instid0(VALU_DEP_1)
	v_cmpx_ne_u64_e32 0, v[2:3]
	s_xor_b32 s42, exec_lo, s2
	s_cbranch_execz .LBB85_30
; %bb.29:                               ;   in Loop: Header=BB85_20 Depth=2
	s_ashr_i32 s38, s37, 31
	s_mov_b32 s59, s23
	s_wait_alu 0xfffe
	s_mov_b32 s39, s38
	s_mov_b32 s63, s23
	s_wait_alu 0xfffe
	s_add_nc_u64 s[40:41], s[36:37], s[38:39]
	v_ashrrev_i32_e32 v3, 31, v13
	s_wait_alu 0xfffe
	s_xor_b64 s[40:41], s[40:41], s[38:39]
	s_wait_alu 0xfffe
	s_cvt_f32_u32 s2, s40
	s_cvt_f32_u32 s37, s41
	s_sub_nc_u64 s[56:57], 0, s[40:41]
	v_add_co_u32 v5, vcc_lo, v12, v3
	s_wait_alu 0xfffe
	s_fmamk_f32 s2, s37, 0x4f800000, s2
	s_wait_alu 0xfffd
	v_add_co_ci_u32_e64 v7, null, v13, v3, vcc_lo
	v_xor_b32_e32 v5, v5, v3
	s_wait_alu 0xfffe
	v_s_rcp_f32 s2, s2
	s_delay_alu instid0(VALU_DEP_2) | instskip(SKIP_1) | instid1(TRANS32_DEP_1)
	v_xor_b32_e32 v7, v7, v3
	v_xor_b32_e32 v3, s38, v3
	s_mul_f32 s2, s2, 0x5f7ffffc
	s_wait_alu 0xfffe
	s_delay_alu instid0(SALU_CYCLE_2) | instskip(SKIP_1) | instid1(SALU_CYCLE_2)
	s_mul_f32 s37, s2, 0x2f800000
	s_wait_alu 0xfffe
	s_trunc_f32 s37, s37
	s_wait_alu 0xfffe
	s_delay_alu instid0(SALU_CYCLE_2) | instskip(SKIP_2) | instid1(SALU_CYCLE_1)
	s_fmamk_f32 s2, s37, 0xcf800000, s2
	s_cvt_u32_f32 s55, s37
	s_wait_alu 0xfffe
	s_cvt_u32_f32 s54, s2
	s_delay_alu instid0(SALU_CYCLE_3) | instskip(NEXT) | instid1(SALU_CYCLE_1)
	s_mul_u64 s[60:61], s[56:57], s[54:55]
	s_mul_hi_u32 s65, s54, s61
	s_mul_i32 s64, s54, s61
	s_mul_hi_u32 s58, s54, s60
	s_mul_i32 s37, s55, s60
	s_add_nc_u64 s[58:59], s[58:59], s[64:65]
	s_mul_hi_u32 s2, s55, s60
	s_mul_hi_u32 s39, s55, s61
	s_wait_alu 0xfffe
	s_add_co_u32 s37, s58, s37
	s_add_co_ci_u32 s62, s59, s2
	s_mul_i32 s60, s55, s61
	s_add_co_ci_u32 s61, s39, 0
	s_delay_alu instid0(SALU_CYCLE_1)
	s_add_nc_u64 s[58:59], s[62:63], s[60:61]
	s_mov_b32 s61, s23
	s_add_co_u32 s54, s54, s58
	s_cselect_b32 s2, -1, 0
	s_wait_alu 0xfffe
	s_cmp_lg_u32 s2, 0
	s_add_co_ci_u32 s55, s55, s59
	s_mov_b32 s59, s23
	s_mul_u64 s[56:57], s[56:57], s[54:55]
	s_delay_alu instid0(SALU_CYCLE_1)
	s_mul_hi_u32 s63, s54, s57
	s_mul_i32 s62, s54, s57
	s_mul_hi_u32 s60, s54, s56
	s_mul_i32 s37, s55, s56
	s_add_nc_u64 s[60:61], s[60:61], s[62:63]
	s_mul_hi_u32 s2, s55, s56
	s_mul_hi_u32 s39, s55, s57
	s_wait_alu 0xfffe
	s_add_co_u32 s37, s60, s37
	s_add_co_ci_u32 s58, s61, s2
	s_mul_i32 s56, s55, s57
	s_add_co_ci_u32 s57, s39, 0
	s_delay_alu instid0(SALU_CYCLE_1) | instskip(NEXT) | instid1(SALU_CYCLE_1)
	s_add_nc_u64 s[56:57], s[58:59], s[56:57]
	s_add_co_u32 s2, s54, s56
	s_cselect_b32 s37, -1, 0
	s_wait_alu 0xfffe
	v_mul_hi_u32 v9, v5, s2
	s_cmp_lg_u32 s37, 0
	v_mad_co_u64_u32 v[15:16], null, v7, s2, 0
	s_add_co_ci_u32 s37, s55, s57
	s_wait_alu 0xfffe
	v_mad_co_u64_u32 v[13:14], null, v5, s37, 0
	v_mad_co_u64_u32 v[22:23], null, v7, s37, 0
	s_delay_alu instid0(VALU_DEP_2) | instskip(SKIP_1) | instid1(VALU_DEP_3)
	v_add_co_u32 v9, vcc_lo, v9, v13
	s_wait_alu 0xfffd
	v_add_co_ci_u32_e64 v11, null, 0, v14, vcc_lo
	s_delay_alu instid0(VALU_DEP_2) | instskip(SKIP_1) | instid1(VALU_DEP_2)
	v_add_co_u32 v9, vcc_lo, v9, v15
	s_wait_alu 0xfffd
	v_add_co_ci_u32_e32 v9, vcc_lo, v11, v16, vcc_lo
	s_wait_alu 0xfffd
	v_add_co_ci_u32_e32 v11, vcc_lo, 0, v23, vcc_lo
	s_delay_alu instid0(VALU_DEP_2) | instskip(SKIP_1) | instid1(VALU_DEP_2)
	v_add_co_u32 v9, vcc_lo, v9, v22
	s_wait_alu 0xfffd
	v_add_co_ci_u32_e64 v11, null, 0, v11, vcc_lo
	s_delay_alu instid0(VALU_DEP_2) | instskip(SKIP_1) | instid1(VALU_DEP_3)
	v_mul_lo_u32 v15, s41, v9
	v_mad_co_u64_u32 v[13:14], null, s40, v9, 0
	v_mul_lo_u32 v16, s40, v11
	s_delay_alu instid0(VALU_DEP_2) | instskip(NEXT) | instid1(VALU_DEP_2)
	v_sub_co_u32 v5, vcc_lo, v5, v13
	v_add3_u32 v14, v14, v16, v15
	s_delay_alu instid0(VALU_DEP_1) | instskip(SKIP_2) | instid1(VALU_DEP_2)
	v_sub_nc_u32_e32 v15, v7, v14
	s_wait_alu 0xfffd
	v_sub_co_ci_u32_e64 v7, null, v7, v14, vcc_lo
	v_subrev_co_ci_u32_e64 v13, null, s41, v15, vcc_lo
	v_add_co_u32 v15, s2, v9, 2
	s_wait_alu 0xf1ff
	v_add_co_ci_u32_e64 v16, null, 0, v11, s2
	v_sub_co_u32 v17, s2, v5, s40
	s_wait_alu 0xf1ff
	v_subrev_co_ci_u32_e64 v13, null, 0, v13, s2
	s_delay_alu instid0(VALU_DEP_2) | instskip(SKIP_2) | instid1(VALU_DEP_3)
	v_cmp_le_u32_e32 vcc_lo, s40, v17
	s_wait_alu 0xfffd
	v_cndmask_b32_e64 v14, 0, -1, vcc_lo
	v_cmp_le_u32_e32 vcc_lo, s41, v13
	s_wait_alu 0xfffd
	v_cndmask_b32_e64 v17, 0, -1, vcc_lo
	v_cmp_le_u32_e32 vcc_lo, s40, v5
	s_wait_alu 0xfffd
	v_cndmask_b32_e64 v5, 0, -1, vcc_lo
	v_cmp_le_u32_e32 vcc_lo, s41, v7
	s_wait_alu 0xfffd
	v_cndmask_b32_e64 v22, 0, -1, vcc_lo
	v_cmp_eq_u32_e32 vcc_lo, s41, v13
	s_wait_alu 0xfffd
	v_cndmask_b32_e32 v13, v17, v14, vcc_lo
	v_add_co_u32 v14, vcc_lo, v9, 1
	s_wait_alu 0xfffd
	v_add_co_ci_u32_e64 v17, null, 0, v11, vcc_lo
	v_cmp_eq_u32_e32 vcc_lo, s41, v7
	s_wait_alu 0xfffd
	v_cndmask_b32_e32 v5, v22, v5, vcc_lo
	v_cmp_ne_u32_e32 vcc_lo, 0, v13
	s_delay_alu instid0(VALU_DEP_2) | instskip(SKIP_4) | instid1(VALU_DEP_2)
	v_cmp_ne_u32_e64 s2, 0, v5
	s_wait_alu 0xfffd
	v_cndmask_b32_e32 v5, v14, v15, vcc_lo
	v_cndmask_b32_e32 v7, v17, v16, vcc_lo
	s_wait_alu 0xf1ff
	v_cndmask_b32_e64 v5, v9, v5, s2
	s_delay_alu instid0(VALU_DEP_2) | instskip(NEXT) | instid1(VALU_DEP_2)
	v_cndmask_b32_e64 v7, v11, v7, s2
	v_xor_b32_e32 v5, v5, v3
	s_delay_alu instid0(VALU_DEP_2) | instskip(NEXT) | instid1(VALU_DEP_2)
	v_xor_b32_e32 v7, v7, v3
	v_sub_co_u32 v14, vcc_lo, v5, v3
	s_wait_alu 0xfffd
	s_delay_alu instid0(VALU_DEP_2)
	v_sub_co_ci_u32_e64 v15, null, v7, v3, vcc_lo
.LBB85_30:                              ;   in Loop: Header=BB85_20 Depth=2
	s_wait_alu 0xfffe
	s_and_not1_saveexec_b32 s2, s42
	s_cbranch_execz .LBB85_32
; %bb.31:                               ;   in Loop: Header=BB85_20 Depth=2
	v_cvt_f32_u32_e32 v3, s36
	s_sub_co_i32 s37, 0, s36
	v_mov_b32_e32 v15, v2
	s_delay_alu instid0(VALU_DEP_2) | instskip(NEXT) | instid1(TRANS32_DEP_1)
	v_rcp_iflag_f32_e32 v3, v3
	v_mul_f32_e32 v3, 0x4f7ffffe, v3
	s_delay_alu instid0(VALU_DEP_1) | instskip(SKIP_1) | instid1(VALU_DEP_1)
	v_cvt_u32_f32_e32 v3, v3
	s_wait_alu 0xfffe
	v_mul_lo_u32 v5, s37, v3
	s_delay_alu instid0(VALU_DEP_1) | instskip(NEXT) | instid1(VALU_DEP_1)
	v_mul_hi_u32 v5, v3, v5
	v_add_nc_u32_e32 v3, v3, v5
	s_delay_alu instid0(VALU_DEP_1) | instskip(NEXT) | instid1(VALU_DEP_1)
	v_mul_hi_u32 v3, v12, v3
	v_mul_lo_u32 v5, v3, s36
	v_add_nc_u32_e32 v7, 1, v3
	s_delay_alu instid0(VALU_DEP_2) | instskip(NEXT) | instid1(VALU_DEP_1)
	v_sub_nc_u32_e32 v5, v12, v5
	v_cmp_le_u32_e32 vcc_lo, s36, v5
	v_subrev_nc_u32_e32 v9, s36, v5
	s_wait_alu 0xfffd
	v_cndmask_b32_e32 v3, v3, v7, vcc_lo
	s_delay_alu instid0(VALU_DEP_1) | instskip(NEXT) | instid1(VALU_DEP_3)
	v_add_nc_u32_e32 v7, 1, v3
	v_cndmask_b32_e32 v5, v5, v9, vcc_lo
	s_delay_alu instid0(VALU_DEP_1) | instskip(SKIP_1) | instid1(VALU_DEP_3)
	v_cmp_le_u32_e32 vcc_lo, s36, v5
	s_wait_alu 0xfffd
	v_cndmask_b32_e32 v14, v3, v7, vcc_lo
.LBB85_32:                              ;   in Loop: Header=BB85_20 Depth=2
	s_wait_alu 0xfffe
	s_or_b32 exec_lo, exec_lo, s2
	s_add_co_i32 s38, s22, -3
	s_mov_b32 s39, s23
	s_add_nc_u64 s[46:47], s[0:1], s[46:47]
	s_wait_alu 0xfffe
	s_lshl_b64 s[42:43], s[38:39], 2
                                        ; implicit-def: $vgpr16_vgpr17
	s_mov_b32 s2, exec_lo
	s_wait_alu 0xfffe
	s_add_nc_u64 s[40:41], s[12:13], s[42:43]
	s_clause 0x2
	s_load_b32 s38, s[40:41], 0x8
	s_load_b32 s37, s[44:45], 0x6c
	;; [unrolled: 1-line block ×3, first 2 shown]
	s_wait_kmcnt 0x0
	s_ashr_i32 s39, s38, 31
	s_wait_alu 0xfffe
	v_or_b32_e32 v3, s39, v15
	s_delay_alu instid0(VALU_DEP_1)
	v_cmpx_ne_u64_e32 0, v[2:3]
	s_xor_b32 s54, exec_lo, s2
	s_cbranch_execz .LBB85_34
; %bb.33:                               ;   in Loop: Header=BB85_20 Depth=2
	s_ashr_i32 s44, s39, 31
	s_mov_b32 s61, s23
	s_wait_alu 0xfffe
	s_mov_b32 s45, s44
	s_mov_b32 s65, s23
	s_wait_alu 0xfffe
	s_add_nc_u64 s[46:47], s[38:39], s[44:45]
	v_ashrrev_i32_e32 v3, 31, v15
	s_wait_alu 0xfffe
	s_xor_b64 s[46:47], s[46:47], s[44:45]
	s_wait_alu 0xfffe
	s_cvt_f32_u32 s2, s46
	s_cvt_f32_u32 s39, s47
	s_sub_nc_u64 s[58:59], 0, s[46:47]
	v_add_co_u32 v5, vcc_lo, v14, v3
	s_wait_alu 0xfffe
	s_fmamk_f32 s2, s39, 0x4f800000, s2
	s_wait_alu 0xfffd
	v_add_co_ci_u32_e64 v7, null, v15, v3, vcc_lo
	v_xor_b32_e32 v5, v5, v3
	s_wait_alu 0xfffe
	v_s_rcp_f32 s2, s2
	s_delay_alu instid0(VALU_DEP_2) | instskip(SKIP_1) | instid1(TRANS32_DEP_1)
	v_xor_b32_e32 v7, v7, v3
	v_xor_b32_e32 v3, s44, v3
	s_mul_f32 s2, s2, 0x5f7ffffc
	s_wait_alu 0xfffe
	s_delay_alu instid0(SALU_CYCLE_2) | instskip(SKIP_1) | instid1(SALU_CYCLE_2)
	s_mul_f32 s39, s2, 0x2f800000
	s_wait_alu 0xfffe
	s_trunc_f32 s39, s39
	s_wait_alu 0xfffe
	s_delay_alu instid0(SALU_CYCLE_2) | instskip(SKIP_2) | instid1(SALU_CYCLE_1)
	s_fmamk_f32 s2, s39, 0xcf800000, s2
	s_cvt_u32_f32 s57, s39
	s_wait_alu 0xfffe
	s_cvt_u32_f32 s56, s2
	s_delay_alu instid0(SALU_CYCLE_3) | instskip(NEXT) | instid1(SALU_CYCLE_1)
	s_mul_u64 s[62:63], s[58:59], s[56:57]
	s_mul_hi_u32 s67, s56, s63
	s_mul_i32 s66, s56, s63
	s_mul_hi_u32 s60, s56, s62
	s_mul_i32 s39, s57, s62
	s_add_nc_u64 s[60:61], s[60:61], s[66:67]
	s_mul_hi_u32 s2, s57, s62
	s_mul_hi_u32 s45, s57, s63
	s_wait_alu 0xfffe
	s_add_co_u32 s39, s60, s39
	s_add_co_ci_u32 s64, s61, s2
	s_mul_i32 s62, s57, s63
	s_add_co_ci_u32 s63, s45, 0
	s_delay_alu instid0(SALU_CYCLE_1)
	s_add_nc_u64 s[60:61], s[64:65], s[62:63]
	s_mov_b32 s63, s23
	s_add_co_u32 s56, s56, s60
	s_cselect_b32 s2, -1, 0
	s_wait_alu 0xfffe
	s_cmp_lg_u32 s2, 0
	s_add_co_ci_u32 s57, s57, s61
	s_mov_b32 s61, s23
	s_mul_u64 s[58:59], s[58:59], s[56:57]
	s_delay_alu instid0(SALU_CYCLE_1)
	s_mul_hi_u32 s65, s56, s59
	s_mul_i32 s64, s56, s59
	s_mul_hi_u32 s62, s56, s58
	s_mul_i32 s39, s57, s58
	s_add_nc_u64 s[62:63], s[62:63], s[64:65]
	s_mul_hi_u32 s2, s57, s58
	s_mul_hi_u32 s45, s57, s59
	s_wait_alu 0xfffe
	s_add_co_u32 s39, s62, s39
	s_add_co_ci_u32 s60, s63, s2
	s_mul_i32 s58, s57, s59
	s_add_co_ci_u32 s59, s45, 0
	s_delay_alu instid0(SALU_CYCLE_1) | instskip(NEXT) | instid1(SALU_CYCLE_1)
	s_add_nc_u64 s[58:59], s[60:61], s[58:59]
	s_add_co_u32 s2, s56, s58
	s_cselect_b32 s39, -1, 0
	s_wait_alu 0xfffe
	v_mul_hi_u32 v9, v5, s2
	s_cmp_lg_u32 s39, 0
	v_mad_co_u64_u32 v[22:23], null, v7, s2, 0
	s_add_co_ci_u32 s39, s57, s59
	s_wait_alu 0xfffe
	v_mad_co_u64_u32 v[15:16], null, v5, s39, 0
	v_mad_co_u64_u32 v[24:25], null, v7, s39, 0
	s_delay_alu instid0(VALU_DEP_2) | instskip(SKIP_1) | instid1(VALU_DEP_3)
	v_add_co_u32 v9, vcc_lo, v9, v15
	s_wait_alu 0xfffd
	v_add_co_ci_u32_e64 v11, null, 0, v16, vcc_lo
	s_delay_alu instid0(VALU_DEP_2) | instskip(SKIP_1) | instid1(VALU_DEP_2)
	v_add_co_u32 v9, vcc_lo, v9, v22
	s_wait_alu 0xfffd
	v_add_co_ci_u32_e32 v9, vcc_lo, v11, v23, vcc_lo
	s_wait_alu 0xfffd
	v_add_co_ci_u32_e32 v11, vcc_lo, 0, v25, vcc_lo
	s_delay_alu instid0(VALU_DEP_2) | instskip(SKIP_1) | instid1(VALU_DEP_2)
	v_add_co_u32 v9, vcc_lo, v9, v24
	s_wait_alu 0xfffd
	v_add_co_ci_u32_e64 v11, null, 0, v11, vcc_lo
	s_delay_alu instid0(VALU_DEP_2) | instskip(SKIP_1) | instid1(VALU_DEP_3)
	v_mul_lo_u32 v13, s47, v9
	v_mad_co_u64_u32 v[15:16], null, s46, v9, 0
	v_mul_lo_u32 v17, s46, v11
	s_delay_alu instid0(VALU_DEP_2) | instskip(NEXT) | instid1(VALU_DEP_2)
	v_sub_co_u32 v5, vcc_lo, v5, v15
	v_add3_u32 v13, v16, v17, v13
	s_delay_alu instid0(VALU_DEP_1) | instskip(SKIP_2) | instid1(VALU_DEP_2)
	v_sub_nc_u32_e32 v16, v7, v13
	s_wait_alu 0xfffd
	v_sub_co_ci_u32_e64 v7, null, v7, v13, vcc_lo
	v_subrev_co_ci_u32_e64 v15, null, s47, v16, vcc_lo
	v_add_co_u32 v16, s2, v9, 2
	s_wait_alu 0xf1ff
	v_add_co_ci_u32_e64 v17, null, 0, v11, s2
	v_sub_co_u32 v22, s2, v5, s46
	s_wait_alu 0xf1ff
	v_subrev_co_ci_u32_e64 v15, null, 0, v15, s2
	s_delay_alu instid0(VALU_DEP_2) | instskip(SKIP_2) | instid1(VALU_DEP_3)
	v_cmp_le_u32_e32 vcc_lo, s46, v22
	s_wait_alu 0xfffd
	v_cndmask_b32_e64 v13, 0, -1, vcc_lo
	v_cmp_le_u32_e32 vcc_lo, s47, v15
	s_wait_alu 0xfffd
	v_cndmask_b32_e64 v22, 0, -1, vcc_lo
	;; [unrolled: 3-line block ×4, first 2 shown]
	v_cmp_eq_u32_e32 vcc_lo, s47, v15
	s_wait_alu 0xfffd
	v_cndmask_b32_e32 v13, v22, v13, vcc_lo
	v_add_co_u32 v15, vcc_lo, v9, 1
	s_wait_alu 0xfffd
	v_add_co_ci_u32_e64 v22, null, 0, v11, vcc_lo
	v_cmp_eq_u32_e32 vcc_lo, s47, v7
	s_wait_alu 0xfffd
	v_cndmask_b32_e32 v5, v23, v5, vcc_lo
	v_cmp_ne_u32_e32 vcc_lo, 0, v13
	s_delay_alu instid0(VALU_DEP_2) | instskip(SKIP_4) | instid1(VALU_DEP_2)
	v_cmp_ne_u32_e64 s2, 0, v5
	s_wait_alu 0xfffd
	v_cndmask_b32_e32 v5, v15, v16, vcc_lo
	v_cndmask_b32_e32 v7, v22, v17, vcc_lo
	s_wait_alu 0xf1ff
	v_cndmask_b32_e64 v5, v9, v5, s2
	s_delay_alu instid0(VALU_DEP_2) | instskip(NEXT) | instid1(VALU_DEP_2)
	v_cndmask_b32_e64 v7, v11, v7, s2
	v_xor_b32_e32 v5, v5, v3
	s_delay_alu instid0(VALU_DEP_2) | instskip(NEXT) | instid1(VALU_DEP_2)
	v_xor_b32_e32 v7, v7, v3
	v_sub_co_u32 v16, vcc_lo, v5, v3
	s_wait_alu 0xfffd
	s_delay_alu instid0(VALU_DEP_2)
	v_sub_co_ci_u32_e64 v17, null, v7, v3, vcc_lo
.LBB85_34:                              ;   in Loop: Header=BB85_20 Depth=2
	s_and_not1_saveexec_b32 s2, s54
	s_cbranch_execz .LBB85_36
; %bb.35:                               ;   in Loop: Header=BB85_20 Depth=2
	v_cvt_f32_u32_e32 v3, s38
	s_sub_co_i32 s39, 0, s38
	v_mov_b32_e32 v17, v2
	s_delay_alu instid0(VALU_DEP_2) | instskip(NEXT) | instid1(TRANS32_DEP_1)
	v_rcp_iflag_f32_e32 v3, v3
	v_mul_f32_e32 v3, 0x4f7ffffe, v3
	s_delay_alu instid0(VALU_DEP_1) | instskip(SKIP_1) | instid1(VALU_DEP_1)
	v_cvt_u32_f32_e32 v3, v3
	s_wait_alu 0xfffe
	v_mul_lo_u32 v5, s39, v3
	s_delay_alu instid0(VALU_DEP_1) | instskip(NEXT) | instid1(VALU_DEP_1)
	v_mul_hi_u32 v5, v3, v5
	v_add_nc_u32_e32 v3, v3, v5
	s_delay_alu instid0(VALU_DEP_1) | instskip(NEXT) | instid1(VALU_DEP_1)
	v_mul_hi_u32 v3, v14, v3
	v_mul_lo_u32 v5, v3, s38
	v_add_nc_u32_e32 v7, 1, v3
	s_delay_alu instid0(VALU_DEP_2) | instskip(NEXT) | instid1(VALU_DEP_1)
	v_sub_nc_u32_e32 v5, v14, v5
	v_cmp_le_u32_e32 vcc_lo, s38, v5
	v_subrev_nc_u32_e32 v9, s38, v5
	s_wait_alu 0xfffd
	v_cndmask_b32_e32 v3, v3, v7, vcc_lo
	s_delay_alu instid0(VALU_DEP_1) | instskip(NEXT) | instid1(VALU_DEP_3)
	v_add_nc_u32_e32 v7, 1, v3
	v_cndmask_b32_e32 v5, v5, v9, vcc_lo
	s_delay_alu instid0(VALU_DEP_1) | instskip(SKIP_1) | instid1(VALU_DEP_3)
	v_cmp_le_u32_e32 vcc_lo, s38, v5
	s_wait_alu 0xfffd
	v_cndmask_b32_e32 v16, v3, v7, vcc_lo
.LBB85_36:                              ;   in Loop: Header=BB85_20 Depth=2
	s_wait_alu 0xfffe
	s_or_b32 exec_lo, exec_lo, s2
	s_add_nc_u64 s[42:43], s[0:1], s[42:43]
	v_mul_lo_u32 v3, v10, s30
	s_clause 0x1
	s_load_b32 s2, s[40:41], 0x6c
	s_load_b32 s30, s[42:43], 0x6c
	v_mul_lo_u32 v5, v12, s34
	v_mul_lo_u32 v7, v14, s36
	;; [unrolled: 1-line block ×3, first 2 shown]
	s_add_co_i32 s22, s22, -4
	s_wait_alu 0xfffe
	s_cmp_eq_u32 s22, -1
	v_sub_nc_u32_e32 v3, v8, v3
	s_delay_alu instid0(VALU_DEP_4) | instskip(NEXT) | instid1(VALU_DEP_4)
	v_sub_nc_u32_e32 v5, v10, v5
	v_sub_nc_u32_e32 v7, v12, v7
	s_delay_alu instid0(VALU_DEP_4) | instskip(NEXT) | instid1(VALU_DEP_4)
	v_sub_nc_u32_e32 v8, v14, v9
	v_mul_lo_u32 v9, s19, v3
	v_mul_lo_u32 v3, s29, v3
	v_mul_lo_u32 v10, s31, v5
	v_mul_lo_u32 v5, s35, v5
	v_mul_lo_u32 v11, s37, v7
	v_mul_lo_u32 v7, s53, v7
	s_wait_kmcnt 0x0
	v_mul_lo_u32 v12, s2, v8
	v_mul_lo_u32 v8, s30, v8
	v_add3_u32 v6, v9, v6, v10
	v_add3_u32 v3, v3, v4, v5
	s_delay_alu instid0(VALU_DEP_2) | instskip(NEXT) | instid1(VALU_DEP_2)
	v_add3_u32 v6, v11, v6, v12
	v_add3_u32 v4, v7, v3, v8
	s_cbranch_scc1 .LBB85_38
; %bb.37:                               ;   in Loop: Header=BB85_20 Depth=2
	v_dual_mov_b32 v8, v16 :: v_dual_mov_b32 v9, v17
	s_branch .LBB85_20
.LBB85_38:                              ;   in Loop: Header=BB85_3 Depth=1
	v_sub_nc_u32_e32 v5, v20, v21
	v_dual_mov_b32 v7, 0 :: v_dual_mov_b32 v12, 0
	v_mov_b32_e32 v11, 0
	s_mov_b32 s19, exec_lo
	s_delay_alu instid0(VALU_DEP_3) | instskip(NEXT) | instid1(VALU_DEP_1)
	v_dual_mov_b32 v8, 0 :: v_dual_add_nc_u32 v9, 2, v5
	v_ashrrev_i32_e32 v10, 31, v9
	s_delay_alu instid0(VALU_DEP_1)
	v_cmpx_le_i64_e64 s[4:5], v[9:10]
	s_cbranch_execz .LBB85_44
; %bb.39:                               ;   in Loop: Header=BB85_3 Depth=1
	v_dual_mov_b32 v8, 0 :: v_dual_mov_b32 v7, 0
	v_dual_mov_b32 v10, 0 :: v_dual_mov_b32 v9, 0
	s_mov_b32 s2, exec_lo
	v_cmpx_gt_i32_e64 s3, v20
	s_cbranch_execz .LBB85_43
; %bb.40:                               ;   in Loop: Header=BB85_3 Depth=1
	v_ashrrev_i32_e32 v7, 31, v6
	v_dual_mov_b32 v10, 0 :: v_dual_add_nc_u32 v3, 1, v20
	v_mov_b32_e32 v9, 0
	s_mov_b32 s22, exec_lo
	s_delay_alu instid0(VALU_DEP_3) | instskip(NEXT) | instid1(VALU_DEP_1)
	v_lshlrev_b64_e32 v[6:7], 3, v[6:7]
	v_add_co_u32 v11, vcc_lo, s10, v6
	s_wait_alu 0xfffd
	s_delay_alu instid0(VALU_DEP_2)
	v_add_co_ci_u32_e64 v12, null, s11, v7, vcc_lo
	global_load_b64 v[7:8], v[11:12], off
	v_cmpx_gt_i32_e64 s3, v3
	s_wait_alu 0xfffe
	s_xor_b32 s22, exec_lo, s22
	s_cbranch_execz .LBB85_42
; %bb.41:                               ;   in Loop: Header=BB85_3 Depth=1
	s_lshl_b64 s[30:31], s[24:25], 3
	s_wait_alu 0xfffe
	v_add_co_u32 v9, vcc_lo, v11, s30
	s_wait_alu 0xfffd
	v_add_co_ci_u32_e64 v10, null, s31, v12, vcc_lo
	global_load_b64 v[9:10], v[9:10], off
.LBB85_42:                              ;   in Loop: Header=BB85_3 Depth=1
	s_wait_alu 0xfffe
	s_or_b32 exec_lo, exec_lo, s22
.LBB85_43:                              ;   in Loop: Header=BB85_3 Depth=1
	s_wait_alu 0xfffe
	s_or_b32 exec_lo, exec_lo, s2
	v_add_nc_u32_e32 v11, 1, v5
	v_ashrrev_i32_e32 v6, 31, v5
	s_delay_alu instid0(VALU_DEP_2) | instskip(NEXT) | instid1(VALU_DEP_2)
	v_ashrrev_i32_e32 v12, 31, v11
	v_cmp_gt_i64_e32 vcc_lo, s[4:5], v[5:6]
	s_delay_alu instid0(VALU_DEP_2)
	v_cmp_gt_i64_e64 s2, s[4:5], v[11:12]
	s_wait_loadcnt 0x0
	s_wait_alu 0xfffd
	v_cndmask_b32_e64 v11, v7, 0, vcc_lo
	v_cndmask_b32_e64 v12, v8, 0, vcc_lo
	s_wait_alu 0xf1ff
	v_cndmask_b32_e64 v7, v9, 0, s2
	v_cndmask_b32_e64 v8, v10, 0, s2
.LBB85_44:                              ;   in Loop: Header=BB85_3 Depth=1
	s_wait_alu 0xfffe
	s_or_b32 exec_lo, exec_lo, s19
	s_delay_alu instid0(SALU_CYCLE_1)
	s_mov_b32 s2, exec_lo
	v_cmpx_gt_i32_e64 s3, v20
	s_cbranch_execz .LBB85_2
; %bb.45:                               ;   in Loop: Header=BB85_3 Depth=1
	v_ashrrev_i32_e32 v5, 31, v4
	s_mov_b32 s19, exec_lo
	s_delay_alu instid0(VALU_DEP_1) | instskip(SKIP_1) | instid1(VALU_DEP_2)
	v_lshlrev_b64_e32 v[3:4], 3, v[4:5]
	v_add_nc_u32_e32 v5, 1, v20
	v_add_co_u32 v3, vcc_lo, s14, v3
	s_wait_alu 0xfffd
	s_delay_alu instid0(VALU_DEP_3)
	v_add_co_ci_u32_e64 v4, null, s15, v4, vcc_lo
	global_store_b64 v[3:4], v[11:12], off
	v_cmpx_gt_i32_e64 s3, v5
	s_wait_alu 0xfffe
	s_xor_b32 s19, exec_lo, s19
	s_cbranch_execz .LBB85_2
; %bb.46:                               ;   in Loop: Header=BB85_3 Depth=1
	s_lshl_b64 s[30:31], s[26:27], 3
	s_wait_alu 0xfffe
	v_add_co_u32 v3, vcc_lo, v3, s30
	s_wait_alu 0xfffd
	v_add_co_ci_u32_e64 v4, null, s31, v4, vcc_lo
	global_store_b64 v[3:4], v[7:8], off
	s_branch .LBB85_2
.LBB85_47:
	s_endpgm
	.section	.rodata,"a",@progbits
	.p2align	6, 0x0
	.amdhsa_kernel _ZN2at6native16triu_tril_kernelIN3c107complexIfEEiLb1ELi2ELb0EEEvNS_4cuda6detail10TensorInfoIT_T0_EENS7_IKS8_S9_EEllS9_
		.amdhsa_group_segment_fixed_size 0
		.amdhsa_private_segment_fixed_size 0
		.amdhsa_kernarg_size 712
		.amdhsa_user_sgpr_count 2
		.amdhsa_user_sgpr_dispatch_ptr 0
		.amdhsa_user_sgpr_queue_ptr 0
		.amdhsa_user_sgpr_kernarg_segment_ptr 1
		.amdhsa_user_sgpr_dispatch_id 0
		.amdhsa_user_sgpr_private_segment_size 0
		.amdhsa_wavefront_size32 1
		.amdhsa_uses_dynamic_stack 0
		.amdhsa_enable_private_segment 0
		.amdhsa_system_sgpr_workgroup_id_x 1
		.amdhsa_system_sgpr_workgroup_id_y 0
		.amdhsa_system_sgpr_workgroup_id_z 0
		.amdhsa_system_sgpr_workgroup_info 0
		.amdhsa_system_vgpr_workitem_id 0
		.amdhsa_next_free_vgpr 26
		.amdhsa_next_free_sgpr 68
		.amdhsa_reserve_vcc 1
		.amdhsa_float_round_mode_32 0
		.amdhsa_float_round_mode_16_64 0
		.amdhsa_float_denorm_mode_32 3
		.amdhsa_float_denorm_mode_16_64 3
		.amdhsa_fp16_overflow 0
		.amdhsa_workgroup_processor_mode 1
		.amdhsa_memory_ordered 1
		.amdhsa_forward_progress 1
		.amdhsa_inst_pref_size 66
		.amdhsa_round_robin_scheduling 0
		.amdhsa_exception_fp_ieee_invalid_op 0
		.amdhsa_exception_fp_denorm_src 0
		.amdhsa_exception_fp_ieee_div_zero 0
		.amdhsa_exception_fp_ieee_overflow 0
		.amdhsa_exception_fp_ieee_underflow 0
		.amdhsa_exception_fp_ieee_inexact 0
		.amdhsa_exception_int_div_zero 0
	.end_amdhsa_kernel
	.section	.text._ZN2at6native16triu_tril_kernelIN3c107complexIfEEiLb1ELi2ELb0EEEvNS_4cuda6detail10TensorInfoIT_T0_EENS7_IKS8_S9_EEllS9_,"axG",@progbits,_ZN2at6native16triu_tril_kernelIN3c107complexIfEEiLb1ELi2ELb0EEEvNS_4cuda6detail10TensorInfoIT_T0_EENS7_IKS8_S9_EEllS9_,comdat
.Lfunc_end85:
	.size	_ZN2at6native16triu_tril_kernelIN3c107complexIfEEiLb1ELi2ELb0EEEvNS_4cuda6detail10TensorInfoIT_T0_EENS7_IKS8_S9_EEllS9_, .Lfunc_end85-_ZN2at6native16triu_tril_kernelIN3c107complexIfEEiLb1ELi2ELb0EEEvNS_4cuda6detail10TensorInfoIT_T0_EENS7_IKS8_S9_EEllS9_
                                        ; -- End function
	.set _ZN2at6native16triu_tril_kernelIN3c107complexIfEEiLb1ELi2ELb0EEEvNS_4cuda6detail10TensorInfoIT_T0_EENS7_IKS8_S9_EEllS9_.num_vgpr, 26
	.set _ZN2at6native16triu_tril_kernelIN3c107complexIfEEiLb1ELi2ELb0EEEvNS_4cuda6detail10TensorInfoIT_T0_EENS7_IKS8_S9_EEllS9_.num_agpr, 0
	.set _ZN2at6native16triu_tril_kernelIN3c107complexIfEEiLb1ELi2ELb0EEEvNS_4cuda6detail10TensorInfoIT_T0_EENS7_IKS8_S9_EEllS9_.numbered_sgpr, 68
	.set _ZN2at6native16triu_tril_kernelIN3c107complexIfEEiLb1ELi2ELb0EEEvNS_4cuda6detail10TensorInfoIT_T0_EENS7_IKS8_S9_EEllS9_.num_named_barrier, 0
	.set _ZN2at6native16triu_tril_kernelIN3c107complexIfEEiLb1ELi2ELb0EEEvNS_4cuda6detail10TensorInfoIT_T0_EENS7_IKS8_S9_EEllS9_.private_seg_size, 0
	.set _ZN2at6native16triu_tril_kernelIN3c107complexIfEEiLb1ELi2ELb0EEEvNS_4cuda6detail10TensorInfoIT_T0_EENS7_IKS8_S9_EEllS9_.uses_vcc, 1
	.set _ZN2at6native16triu_tril_kernelIN3c107complexIfEEiLb1ELi2ELb0EEEvNS_4cuda6detail10TensorInfoIT_T0_EENS7_IKS8_S9_EEllS9_.uses_flat_scratch, 0
	.set _ZN2at6native16triu_tril_kernelIN3c107complexIfEEiLb1ELi2ELb0EEEvNS_4cuda6detail10TensorInfoIT_T0_EENS7_IKS8_S9_EEllS9_.has_dyn_sized_stack, 0
	.set _ZN2at6native16triu_tril_kernelIN3c107complexIfEEiLb1ELi2ELb0EEEvNS_4cuda6detail10TensorInfoIT_T0_EENS7_IKS8_S9_EEllS9_.has_recursion, 0
	.set _ZN2at6native16triu_tril_kernelIN3c107complexIfEEiLb1ELi2ELb0EEEvNS_4cuda6detail10TensorInfoIT_T0_EENS7_IKS8_S9_EEllS9_.has_indirect_call, 0
	.section	.AMDGPU.csdata,"",@progbits
; Kernel info:
; codeLenInByte = 8324
; TotalNumSgprs: 70
; NumVgprs: 26
; ScratchSize: 0
; MemoryBound: 0
; FloatMode: 240
; IeeeMode: 1
; LDSByteSize: 0 bytes/workgroup (compile time only)
; SGPRBlocks: 0
; VGPRBlocks: 3
; NumSGPRsForWavesPerEU: 70
; NumVGPRsForWavesPerEU: 26
; Occupancy: 16
; WaveLimiterHint : 1
; COMPUTE_PGM_RSRC2:SCRATCH_EN: 0
; COMPUTE_PGM_RSRC2:USER_SGPR: 2
; COMPUTE_PGM_RSRC2:TRAP_HANDLER: 0
; COMPUTE_PGM_RSRC2:TGID_X_EN: 1
; COMPUTE_PGM_RSRC2:TGID_Y_EN: 0
; COMPUTE_PGM_RSRC2:TGID_Z_EN: 0
; COMPUTE_PGM_RSRC2:TIDIG_COMP_CNT: 0
	.section	.text._ZN2at6native16triu_tril_kernelIN3c107complexIfEElLb1ELi2ELb1EEEvNS_4cuda6detail10TensorInfoIT_T0_EENS7_IKS8_S9_EEllS9_,"axG",@progbits,_ZN2at6native16triu_tril_kernelIN3c107complexIfEElLb1ELi2ELb1EEEvNS_4cuda6detail10TensorInfoIT_T0_EENS7_IKS8_S9_EEllS9_,comdat
	.protected	_ZN2at6native16triu_tril_kernelIN3c107complexIfEElLb1ELi2ELb1EEEvNS_4cuda6detail10TensorInfoIT_T0_EENS7_IKS8_S9_EEllS9_ ; -- Begin function _ZN2at6native16triu_tril_kernelIN3c107complexIfEElLb1ELi2ELb1EEEvNS_4cuda6detail10TensorInfoIT_T0_EENS7_IKS8_S9_EEllS9_
	.globl	_ZN2at6native16triu_tril_kernelIN3c107complexIfEElLb1ELi2ELb1EEEvNS_4cuda6detail10TensorInfoIT_T0_EENS7_IKS8_S9_EEllS9_
	.p2align	8
	.type	_ZN2at6native16triu_tril_kernelIN3c107complexIfEElLb1ELi2ELb1EEEvNS_4cuda6detail10TensorInfoIT_T0_EENS7_IKS8_S9_EEllS9_,@function
_ZN2at6native16triu_tril_kernelIN3c107complexIfEElLb1ELi2ELb1EEEvNS_4cuda6detail10TensorInfoIT_T0_EENS7_IKS8_S9_EEllS9_: ; @_ZN2at6native16triu_tril_kernelIN3c107complexIfEElLb1ELi2ELb1EEEvNS_4cuda6detail10TensorInfoIT_T0_EENS7_IKS8_S9_EEllS9_
; %bb.0:
	s_clause 0x1
	s_load_b32 s2, s[0:1], 0x364
	s_load_b128 s[4:7], s[0:1], 0x340
	v_mov_b32_e32 v2, 0
	s_mov_b32 s3, exec_lo
	s_delay_alu instid0(VALU_DEP_1)
	v_mov_b32_e32 v1, v2
	s_wait_kmcnt 0x0
	s_and_b32 s2, s2, 0xffff
	s_delay_alu instid0(VALU_DEP_1) | instid1(SALU_CYCLE_1)
	v_mad_co_u64_u32 v[0:1], null, s2, ttmp9, v[0:1]
	s_delay_alu instid0(VALU_DEP_1) | instskip(NEXT) | instid1(VALU_DEP_1)
	v_lshlrev_b64_e32 v[0:1], 1, v[0:1]
	v_cmpx_gt_i64_e64 s[6:7], v[0:1]
	s_cbranch_execz .LBB86_41
; %bb.1:
	s_load_b32 s22, s[0:1], 0x338
	s_add_nc_u64 s[12:13], s[0:1], 0x358
	s_clause 0x1
	s_load_b64 s[8:9], s[0:1], 0x350
	s_load_b64 s[10:11], s[0:1], 0x0
	s_add_nc_u64 s[28:29], s[0:1], 0x1a0
	s_load_b32 s3, s[12:13], 0x0
	s_movk_i32 s18, 0xffe0
	s_add_nc_u64 s[16:17], s[0:1], 0xb8
	s_mov_b32 s19, -1
	s_add_nc_u64 s[34:35], s[0:1], 0x190
	s_mov_b32 s65, 0
	s_wait_kmcnt 0x0
	s_add_co_i32 s14, s22, -2
	v_cvt_f32_u32_e32 v3, s8
	s_ashr_i32 s15, s14, 31
	s_add_co_i32 s20, s22, -3
	s_lshl_b64 s[12:13], s[14:15], 3
	s_ashr_i32 s23, s22, 31
	s_add_nc_u64 s[12:13], s[28:29], s[12:13]
	v_rcp_iflag_f32_e32 v3, v3
	s_load_b64 s[12:13], s[12:13], 0x8
	s_mul_i32 s24, s3, s2
	s_and_b32 s25, s20, 3
	s_lshl_b64 s[2:3], s[22:23], 3
	s_ashr_i32 s21, s20, 31
	s_and_b32 s14, s14, 3
	s_lshl_b32 s62, s24, 1
	s_cmp_lg_u32 s25, 3
	v_cmp_gt_i64_e64 s33, s[22:23], 2
	s_cselect_b32 s63, -1, 0
	s_cmp_gt_u32 s20, 2
	s_wait_alu 0xfffe
	s_add_nc_u64 s[22:23], s[0:1], s[2:3]
	s_add_nc_u64 s[24:25], s[28:29], s[2:3]
	s_cselect_b32 s64, -1, 0
	s_lshl_b64 s[2:3], s[20:21], 3
	s_mov_b32 s15, 0
	s_wait_alu 0xfffe
	s_add_nc_u64 s[30:31], s[0:1], s[2:3]
	s_add_nc_u64 s[2:3], s[28:29], s[2:3]
	s_mov_b64 s[26:27], s[14:15]
	s_add_nc_u64 s[28:29], s[30:31], 0xd0
	s_wait_kmcnt 0x0
	v_cvt_f32_u32_e32 v4, s12
	s_wait_alu 0xfffe
	s_add_nc_u64 s[30:31], s[2:3], 8
	s_ashr_i32 s36, s9, 31
	s_delay_alu instid0(VALU_DEP_1) | instskip(NEXT) | instid1(TRANS32_DEP_1)
	v_rcp_iflag_f32_e32 v4, v4
	v_dual_mul_f32 v3, 0x4f7ffffe, v3 :: v_dual_mul_f32 v4, 0x4f7ffffe, v4
	s_delay_alu instid0(VALU_DEP_1) | instskip(NEXT) | instid1(VALU_DEP_2)
	v_cvt_u32_f32_e32 v18, v3
	v_cvt_u32_f32_e32 v19, v4
	s_branch .LBB86_3
.LBB86_2:                               ;   in Loop: Header=BB86_3 Depth=1
	s_wait_alu 0xfffe
	s_or_b32 exec_lo, exec_lo, s37
	v_add_co_u32 v0, vcc_lo, v0, s62
	s_wait_alu 0xfffd
	v_add_co_ci_u32_e64 v1, null, 0, v1, vcc_lo
	s_delay_alu instid0(VALU_DEP_1) | instskip(SKIP_1) | instid1(SALU_CYCLE_1)
	v_cmp_le_i64_e32 vcc_lo, s[6:7], v[0:1]
	s_or_b32 s65, vcc_lo, s65
	s_and_not1_b32 exec_lo, exec_lo, s65
	s_cbranch_execz .LBB86_41
.LBB86_3:                               ; =>This Loop Header: Depth=1
                                        ;     Child Loop BB86_17 Depth 2
                                        ;     Child Loop BB86_22 Depth 2
	v_or_b32_e32 v3, s9, v1
                                        ; implicit-def: $vgpr6_vgpr7
	s_mov_b32 s0, exec_lo
	s_delay_alu instid0(VALU_DEP_1)
	v_cmpx_ne_u64_e32 0, v[2:3]
	s_wait_alu 0xfffe
	s_xor_b32 s1, exec_lo, s0
	s_cbranch_execz .LBB86_5
; %bb.4:                                ;   in Loop: Header=BB86_3 Depth=1
	s_mov_b32 s37, s36
	v_ashrrev_i32_e32 v9, 31, v1
	s_wait_alu 0xfffe
	s_add_nc_u64 s[2:3], s[8:9], s[36:37]
	s_wait_alu 0xfffe
	s_xor_b64 s[2:3], s[2:3], s[36:37]
	v_add_co_u32 v3, vcc_lo, v0, v9
	s_wait_alu 0xfffe
	s_cvt_f32_u32 s0, s2
	s_cvt_f32_u32 s14, s3
	s_sub_nc_u64 s[40:41], 0, s[2:3]
	s_wait_alu 0xfffd
	v_add_co_ci_u32_e64 v4, null, v1, v9, vcc_lo
	s_wait_alu 0xfffe
	s_fmamk_f32 s0, s14, 0x4f800000, s0
	v_xor_b32_e32 v10, v3, v9
	s_delay_alu instid0(VALU_DEP_2) | instskip(SKIP_2) | instid1(TRANS32_DEP_1)
	v_xor_b32_e32 v11, v4, v9
	s_wait_alu 0xfffe
	v_s_rcp_f32 s0, s0
	s_mul_f32 s0, s0, 0x5f7ffffc
	s_wait_alu 0xfffe
	s_delay_alu instid0(SALU_CYCLE_2) | instskip(SKIP_1) | instid1(SALU_CYCLE_2)
	s_mul_f32 s14, s0, 0x2f800000
	s_wait_alu 0xfffe
	s_trunc_f32 s14, s14
	s_wait_alu 0xfffe
	s_delay_alu instid0(SALU_CYCLE_2) | instskip(SKIP_2) | instid1(SALU_CYCLE_1)
	s_fmamk_f32 s0, s14, 0xcf800000, s0
	s_cvt_u32_f32 s39, s14
	s_wait_alu 0xfffe
	s_cvt_u32_f32 s38, s0
	s_wait_alu 0xfffe
	s_delay_alu instid0(SALU_CYCLE_2) | instskip(NEXT) | instid1(SALU_CYCLE_1)
	s_mul_u64 s[42:43], s[40:41], s[38:39]
	s_mul_hi_u32 s45, s38, s43
	s_mul_i32 s44, s38, s43
	s_mul_hi_u32 s14, s38, s42
	s_mul_i32 s37, s39, s42
	s_wait_alu 0xfffe
	s_add_nc_u64 s[44:45], s[14:15], s[44:45]
	s_mul_hi_u32 s0, s39, s42
	s_mul_hi_u32 s46, s39, s43
	s_wait_alu 0xfffe
	s_add_co_u32 s14, s44, s37
	s_add_co_ci_u32 s14, s45, s0
	s_mul_i32 s42, s39, s43
	s_add_co_ci_u32 s43, s46, 0
	s_wait_alu 0xfffe
	s_add_nc_u64 s[42:43], s[14:15], s[42:43]
	s_delay_alu instid0(SALU_CYCLE_1)
	s_add_co_u32 s38, s38, s42
	s_cselect_b32 s0, -1, 0
	s_wait_alu 0xfffe
	s_cmp_lg_u32 s0, 0
	s_add_co_ci_u32 s39, s39, s43
	s_wait_alu 0xfffe
	s_mul_u64 s[40:41], s[40:41], s[38:39]
	s_delay_alu instid0(SALU_CYCLE_1)
	s_mul_hi_u32 s43, s38, s41
	s_mul_i32 s42, s38, s41
	s_mul_hi_u32 s14, s38, s40
	s_mul_i32 s37, s39, s40
	s_wait_alu 0xfffe
	s_add_nc_u64 s[42:43], s[14:15], s[42:43]
	s_mul_hi_u32 s0, s39, s40
	s_mul_hi_u32 s44, s39, s41
	s_add_co_u32 s14, s42, s37
	s_wait_alu 0xfffe
	s_add_co_ci_u32 s14, s43, s0
	s_mul_i32 s40, s39, s41
	s_add_co_ci_u32 s41, s44, 0
	s_wait_alu 0xfffe
	s_add_nc_u64 s[40:41], s[14:15], s[40:41]
	s_delay_alu instid0(SALU_CYCLE_1)
	s_add_co_u32 s0, s38, s40
	s_cselect_b32 s14, -1, 0
	s_wait_alu 0xfffe
	v_mul_hi_u32 v12, v10, s0
	s_cmp_lg_u32 s14, 0
	v_mad_co_u64_u32 v[5:6], null, v11, s0, 0
	s_add_co_ci_u32 s14, s39, s41
	s_wait_alu 0xfffe
	v_mad_co_u64_u32 v[3:4], null, v10, s14, 0
	v_mad_co_u64_u32 v[7:8], null, v11, s14, 0
	s_delay_alu instid0(VALU_DEP_2) | instskip(SKIP_1) | instid1(VALU_DEP_3)
	v_add_co_u32 v3, vcc_lo, v12, v3
	s_wait_alu 0xfffd
	v_add_co_ci_u32_e64 v4, null, 0, v4, vcc_lo
	s_delay_alu instid0(VALU_DEP_2) | instskip(SKIP_1) | instid1(VALU_DEP_2)
	v_add_co_u32 v3, vcc_lo, v3, v5
	s_wait_alu 0xfffd
	v_add_co_ci_u32_e32 v3, vcc_lo, v4, v6, vcc_lo
	s_wait_alu 0xfffd
	v_add_co_ci_u32_e32 v4, vcc_lo, 0, v8, vcc_lo
	s_delay_alu instid0(VALU_DEP_2) | instskip(SKIP_1) | instid1(VALU_DEP_2)
	v_add_co_u32 v5, vcc_lo, v3, v7
	s_wait_alu 0xfffd
	v_add_co_ci_u32_e64 v6, null, 0, v4, vcc_lo
	s_delay_alu instid0(VALU_DEP_2) | instskip(SKIP_1) | instid1(VALU_DEP_3)
	v_mul_lo_u32 v7, s3, v5
	v_mad_co_u64_u32 v[3:4], null, s2, v5, 0
	v_mul_lo_u32 v8, s2, v6
	s_delay_alu instid0(VALU_DEP_2) | instskip(NEXT) | instid1(VALU_DEP_2)
	v_sub_co_u32 v3, vcc_lo, v10, v3
	v_add3_u32 v4, v4, v8, v7
	v_add_co_u32 v8, s0, v5, 2
	s_wait_alu 0xf1ff
	v_add_co_ci_u32_e64 v10, null, 0, v6, s0
	s_delay_alu instid0(VALU_DEP_3) | instskip(SKIP_3) | instid1(VALU_DEP_3)
	v_sub_nc_u32_e32 v7, v11, v4
	v_sub_co_u32 v12, s0, v3, s2
	s_wait_alu 0xfffd
	v_sub_co_ci_u32_e64 v4, null, v11, v4, vcc_lo
	v_subrev_co_ci_u32_e64 v7, null, s3, v7, vcc_lo
	s_delay_alu instid0(VALU_DEP_3) | instskip(SKIP_1) | instid1(VALU_DEP_2)
	v_cmp_le_u32_e32 vcc_lo, s2, v12
	s_wait_alu 0xf1ff
	v_subrev_co_ci_u32_e64 v7, null, 0, v7, s0
	s_wait_alu 0xfffd
	v_cndmask_b32_e64 v11, 0, -1, vcc_lo
	s_delay_alu instid0(VALU_DEP_2)
	v_cmp_le_u32_e32 vcc_lo, s3, v7
	s_wait_alu 0xfffd
	v_cndmask_b32_e64 v12, 0, -1, vcc_lo
	v_cmp_le_u32_e32 vcc_lo, s2, v3
	s_wait_alu 0xfffd
	v_cndmask_b32_e64 v3, 0, -1, vcc_lo
	;; [unrolled: 3-line block ×3, first 2 shown]
	v_cmp_eq_u32_e32 vcc_lo, s3, v7
	s_wait_alu 0xfffd
	v_cndmask_b32_e32 v7, v12, v11, vcc_lo
	v_add_co_u32 v11, vcc_lo, v5, 1
	s_wait_alu 0xfffd
	v_add_co_ci_u32_e64 v12, null, 0, v6, vcc_lo
	v_cmp_eq_u32_e32 vcc_lo, s3, v4
	s_wait_alu 0xfffd
	v_cndmask_b32_e32 v3, v13, v3, vcc_lo
	v_cmp_ne_u32_e32 vcc_lo, 0, v7
	v_xor_b32_e32 v7, s36, v9
	s_wait_alu 0xfffd
	v_cndmask_b32_e32 v4, v12, v10, vcc_lo
	v_cmp_ne_u32_e64 s0, 0, v3
	v_cndmask_b32_e32 v3, v11, v8, vcc_lo
	s_wait_alu 0xf1ff
	s_delay_alu instid0(VALU_DEP_2) | instskip(NEXT) | instid1(VALU_DEP_2)
	v_cndmask_b32_e64 v4, v6, v4, s0
	v_cndmask_b32_e64 v3, v5, v3, s0
	s_delay_alu instid0(VALU_DEP_2) | instskip(NEXT) | instid1(VALU_DEP_2)
	v_xor_b32_e32 v4, v4, v7
	v_xor_b32_e32 v3, v3, v7
	s_delay_alu instid0(VALU_DEP_1) | instskip(SKIP_1) | instid1(VALU_DEP_3)
	v_sub_co_u32 v6, vcc_lo, v3, v7
	s_wait_alu 0xfffd
	v_sub_co_ci_u32_e64 v7, null, v4, v7, vcc_lo
.LBB86_5:                               ;   in Loop: Header=BB86_3 Depth=1
	s_wait_alu 0xfffe
	s_and_not1_saveexec_b32 s0, s1
	s_cbranch_execz .LBB86_7
; %bb.6:                                ;   in Loop: Header=BB86_3 Depth=1
	s_sub_co_i32 s1, 0, s8
	v_mov_b32_e32 v7, v2
	s_wait_alu 0xfffe
	v_mul_lo_u32 v3, s1, v18
	s_delay_alu instid0(VALU_DEP_1) | instskip(NEXT) | instid1(VALU_DEP_1)
	v_mul_hi_u32 v3, v18, v3
	v_add_nc_u32_e32 v3, v18, v3
	s_delay_alu instid0(VALU_DEP_1) | instskip(NEXT) | instid1(VALU_DEP_1)
	v_mul_hi_u32 v3, v0, v3
	v_mul_lo_u32 v4, v3, s8
	v_add_nc_u32_e32 v5, 1, v3
	s_delay_alu instid0(VALU_DEP_2) | instskip(NEXT) | instid1(VALU_DEP_1)
	v_sub_nc_u32_e32 v4, v0, v4
	v_subrev_nc_u32_e32 v6, s8, v4
	v_cmp_le_u32_e32 vcc_lo, s8, v4
	s_wait_alu 0xfffd
	s_delay_alu instid0(VALU_DEP_2) | instskip(NEXT) | instid1(VALU_DEP_1)
	v_dual_cndmask_b32 v4, v4, v6 :: v_dual_cndmask_b32 v3, v3, v5
	v_cmp_le_u32_e32 vcc_lo, s8, v4
	s_delay_alu instid0(VALU_DEP_2) | instskip(SKIP_1) | instid1(VALU_DEP_1)
	v_add_nc_u32_e32 v5, 1, v3
	s_wait_alu 0xfffd
	v_cndmask_b32_e32 v6, v3, v5, vcc_lo
.LBB86_7:                               ;   in Loop: Header=BB86_3 Depth=1
	s_wait_alu 0xfffe
	s_or_b32 exec_lo, exec_lo, s0
	v_or_b32_e32 v3, s13, v7
                                        ; implicit-def: $vgpr8_vgpr9
	s_mov_b32 s0, exec_lo
	s_delay_alu instid0(VALU_DEP_1)
	v_cmpx_ne_u64_e32 0, v[2:3]
	s_wait_alu 0xfffe
	s_xor_b32 s1, exec_lo, s0
	s_cbranch_execz .LBB86_9
; %bb.8:                                ;   in Loop: Header=BB86_3 Depth=1
	s_ashr_i32 s2, s13, 31
	v_ashrrev_i32_e32 v5, 31, v7
	s_wait_alu 0xfffe
	s_mov_b32 s3, s2
	s_wait_alu 0xfffe
	s_add_nc_u64 s[38:39], s[12:13], s[2:3]
	v_add_co_u32 v3, vcc_lo, v6, v5
	s_wait_alu 0xfffe
	s_xor_b64 s[38:39], s[38:39], s[2:3]
	s_wait_alu 0xfffd
	v_add_co_ci_u32_e64 v4, null, v7, v5, vcc_lo
	s_wait_alu 0xfffe
	s_cvt_f32_u32 s0, s38
	s_cvt_f32_u32 s3, s39
	s_sub_nc_u64 s[42:43], 0, s[38:39]
	v_xor_b32_e32 v12, v3, v5
	v_xor_b32_e32 v13, v4, v5
	s_wait_alu 0xfffe
	s_fmamk_f32 s0, s3, 0x4f800000, s0
	v_xor_b32_e32 v5, s2, v5
	s_wait_alu 0xfffe
	s_delay_alu instid0(SALU_CYCLE_1) | instskip(NEXT) | instid1(TRANS32_DEP_1)
	v_s_rcp_f32 s0, s0
	s_mul_f32 s0, s0, 0x5f7ffffc
	s_wait_alu 0xfffe
	s_delay_alu instid0(SALU_CYCLE_2) | instskip(SKIP_1) | instid1(SALU_CYCLE_2)
	s_mul_f32 s3, s0, 0x2f800000
	s_wait_alu 0xfffe
	s_trunc_f32 s3, s3
	s_wait_alu 0xfffe
	s_delay_alu instid0(SALU_CYCLE_2) | instskip(SKIP_2) | instid1(SALU_CYCLE_1)
	s_fmamk_f32 s0, s3, 0xcf800000, s0
	s_cvt_u32_f32 s41, s3
	s_wait_alu 0xfffe
	s_cvt_u32_f32 s40, s0
	s_delay_alu instid0(SALU_CYCLE_3)
	s_mul_u64 s[44:45], s[42:43], s[40:41]
	s_wait_alu 0xfffe
	s_mul_hi_u32 s47, s40, s45
	s_mul_i32 s46, s40, s45
	s_mul_hi_u32 s14, s40, s44
	s_mul_i32 s3, s41, s44
	s_wait_alu 0xfffe
	s_add_nc_u64 s[46:47], s[14:15], s[46:47]
	s_mul_hi_u32 s0, s41, s44
	s_mul_hi_u32 s37, s41, s45
	s_wait_alu 0xfffe
	s_add_co_u32 s3, s46, s3
	s_add_co_ci_u32 s14, s47, s0
	s_mul_i32 s44, s41, s45
	s_add_co_ci_u32 s45, s37, 0
	s_wait_alu 0xfffe
	s_add_nc_u64 s[44:45], s[14:15], s[44:45]
	s_wait_alu 0xfffe
	s_add_co_u32 s40, s40, s44
	s_cselect_b32 s0, -1, 0
	s_wait_alu 0xfffe
	s_cmp_lg_u32 s0, 0
	s_add_co_ci_u32 s41, s41, s45
	s_delay_alu instid0(SALU_CYCLE_1) | instskip(NEXT) | instid1(SALU_CYCLE_1)
	s_mul_u64 s[42:43], s[42:43], s[40:41]
	s_mul_hi_u32 s45, s40, s43
	s_mul_i32 s44, s40, s43
	s_mul_hi_u32 s14, s40, s42
	s_mul_i32 s3, s41, s42
	s_wait_alu 0xfffe
	s_add_nc_u64 s[44:45], s[14:15], s[44:45]
	s_mul_hi_u32 s0, s41, s42
	s_mul_hi_u32 s37, s41, s43
	s_wait_alu 0xfffe
	s_add_co_u32 s3, s44, s3
	s_add_co_ci_u32 s14, s45, s0
	s_mul_i32 s42, s41, s43
	s_add_co_ci_u32 s43, s37, 0
	s_wait_alu 0xfffe
	s_add_nc_u64 s[42:43], s[14:15], s[42:43]
	s_delay_alu instid0(SALU_CYCLE_1)
	s_add_co_u32 s0, s40, s42
	s_cselect_b32 s3, -1, 0
	s_wait_alu 0xfffe
	v_mul_hi_u32 v14, v12, s0
	s_cmp_lg_u32 s3, 0
	v_mad_co_u64_u32 v[8:9], null, v13, s0, 0
	s_add_co_ci_u32 s3, s41, s43
	s_wait_alu 0xfffe
	v_mad_co_u64_u32 v[3:4], null, v12, s3, 0
	v_mad_co_u64_u32 v[10:11], null, v13, s3, 0
	s_delay_alu instid0(VALU_DEP_2) | instskip(SKIP_1) | instid1(VALU_DEP_3)
	v_add_co_u32 v3, vcc_lo, v14, v3
	s_wait_alu 0xfffd
	v_add_co_ci_u32_e64 v4, null, 0, v4, vcc_lo
	s_delay_alu instid0(VALU_DEP_2) | instskip(SKIP_1) | instid1(VALU_DEP_2)
	v_add_co_u32 v3, vcc_lo, v3, v8
	s_wait_alu 0xfffd
	v_add_co_ci_u32_e32 v3, vcc_lo, v4, v9, vcc_lo
	s_wait_alu 0xfffd
	v_add_co_ci_u32_e32 v4, vcc_lo, 0, v11, vcc_lo
	s_delay_alu instid0(VALU_DEP_2) | instskip(SKIP_1) | instid1(VALU_DEP_2)
	v_add_co_u32 v8, vcc_lo, v3, v10
	s_wait_alu 0xfffd
	v_add_co_ci_u32_e64 v9, null, 0, v4, vcc_lo
	s_delay_alu instid0(VALU_DEP_2) | instskip(SKIP_1) | instid1(VALU_DEP_3)
	v_mul_lo_u32 v10, s39, v8
	v_mad_co_u64_u32 v[3:4], null, s38, v8, 0
	v_mul_lo_u32 v11, s38, v9
	s_delay_alu instid0(VALU_DEP_2) | instskip(NEXT) | instid1(VALU_DEP_2)
	v_sub_co_u32 v3, vcc_lo, v12, v3
	v_add3_u32 v4, v4, v11, v10
	v_add_co_u32 v11, s0, v8, 2
	s_wait_alu 0xf1ff
	v_add_co_ci_u32_e64 v12, null, 0, v9, s0
	s_delay_alu instid0(VALU_DEP_3) | instskip(SKIP_3) | instid1(VALU_DEP_3)
	v_sub_nc_u32_e32 v10, v13, v4
	v_sub_co_u32 v14, s0, v3, s38
	s_wait_alu 0xfffd
	v_sub_co_ci_u32_e64 v4, null, v13, v4, vcc_lo
	v_subrev_co_ci_u32_e64 v10, null, s39, v10, vcc_lo
	s_delay_alu instid0(VALU_DEP_3) | instskip(SKIP_1) | instid1(VALU_DEP_2)
	v_cmp_le_u32_e32 vcc_lo, s38, v14
	s_wait_alu 0xf1ff
	v_subrev_co_ci_u32_e64 v10, null, 0, v10, s0
	s_wait_alu 0xfffd
	v_cndmask_b32_e64 v13, 0, -1, vcc_lo
	s_delay_alu instid0(VALU_DEP_2)
	v_cmp_le_u32_e32 vcc_lo, s39, v10
	s_wait_alu 0xfffd
	v_cndmask_b32_e64 v14, 0, -1, vcc_lo
	v_cmp_le_u32_e32 vcc_lo, s38, v3
	s_wait_alu 0xfffd
	v_cndmask_b32_e64 v3, 0, -1, vcc_lo
	;; [unrolled: 3-line block ×3, first 2 shown]
	v_cmp_eq_u32_e32 vcc_lo, s39, v10
	s_wait_alu 0xfffd
	v_cndmask_b32_e32 v10, v14, v13, vcc_lo
	v_add_co_u32 v13, vcc_lo, v8, 1
	s_wait_alu 0xfffd
	v_add_co_ci_u32_e64 v14, null, 0, v9, vcc_lo
	v_cmp_eq_u32_e32 vcc_lo, s39, v4
	s_wait_alu 0xfffd
	v_cndmask_b32_e32 v3, v15, v3, vcc_lo
	v_cmp_ne_u32_e32 vcc_lo, 0, v10
	s_delay_alu instid0(VALU_DEP_2) | instskip(SKIP_3) | instid1(VALU_DEP_1)
	v_cmp_ne_u32_e64 s0, 0, v3
	s_wait_alu 0xfffd
	v_dual_cndmask_b32 v4, v14, v12 :: v_dual_cndmask_b32 v3, v13, v11
	s_wait_alu 0xf1ff
	v_cndmask_b32_e64 v4, v9, v4, s0
	s_delay_alu instid0(VALU_DEP_2) | instskip(NEXT) | instid1(VALU_DEP_2)
	v_cndmask_b32_e64 v3, v8, v3, s0
	v_xor_b32_e32 v4, v4, v5
	s_delay_alu instid0(VALU_DEP_2) | instskip(NEXT) | instid1(VALU_DEP_1)
	v_xor_b32_e32 v3, v3, v5
	v_sub_co_u32 v8, vcc_lo, v3, v5
	s_wait_alu 0xfffd
	s_delay_alu instid0(VALU_DEP_3)
	v_sub_co_ci_u32_e64 v9, null, v4, v5, vcc_lo
.LBB86_9:                               ;   in Loop: Header=BB86_3 Depth=1
	s_wait_alu 0xfffe
	s_and_not1_saveexec_b32 s0, s1
	s_cbranch_execz .LBB86_11
; %bb.10:                               ;   in Loop: Header=BB86_3 Depth=1
	s_sub_co_i32 s1, 0, s12
	v_mov_b32_e32 v9, v2
	s_wait_alu 0xfffe
	v_mul_lo_u32 v3, s1, v19
	s_delay_alu instid0(VALU_DEP_1) | instskip(NEXT) | instid1(VALU_DEP_1)
	v_mul_hi_u32 v3, v19, v3
	v_add_nc_u32_e32 v3, v19, v3
	s_delay_alu instid0(VALU_DEP_1) | instskip(NEXT) | instid1(VALU_DEP_1)
	v_mul_hi_u32 v3, v6, v3
	v_mul_lo_u32 v4, v3, s12
	v_add_nc_u32_e32 v5, 1, v3
	s_delay_alu instid0(VALU_DEP_2) | instskip(NEXT) | instid1(VALU_DEP_1)
	v_sub_nc_u32_e32 v4, v6, v4
	v_subrev_nc_u32_e32 v8, s12, v4
	v_cmp_le_u32_e32 vcc_lo, s12, v4
	s_wait_alu 0xfffd
	s_delay_alu instid0(VALU_DEP_2) | instskip(NEXT) | instid1(VALU_DEP_1)
	v_dual_cndmask_b32 v4, v4, v8 :: v_dual_cndmask_b32 v3, v3, v5
	v_cmp_le_u32_e32 vcc_lo, s12, v4
	s_delay_alu instid0(VALU_DEP_2) | instskip(SKIP_1) | instid1(VALU_DEP_1)
	v_add_nc_u32_e32 v5, 1, v3
	s_wait_alu 0xfffd
	v_cndmask_b32_e32 v8, v3, v5, vcc_lo
.LBB86_11:                              ;   in Loop: Header=BB86_3 Depth=1
	s_wait_alu 0xfffe
	s_or_b32 exec_lo, exec_lo, s0
	v_mul_lo_u32 v5, v7, s8
	v_mul_lo_u32 v12, v6, s9
	v_mad_co_u64_u32 v[3:4], null, v6, s8, 0
	v_mul_lo_u32 v13, v9, s12
	v_mul_lo_u32 v14, v8, s13
	v_mad_co_u64_u32 v[10:11], null, v8, s12, 0
	s_mov_b32 s37, exec_lo
	v_add3_u32 v5, v4, v12, v5
	v_sub_co_u32 v4, vcc_lo, v0, v3
	v_add3_u32 v11, v11, v14, v13
	s_wait_alu 0xfffd
	s_delay_alu instid0(VALU_DEP_3) | instskip(SKIP_3) | instid1(VALU_DEP_2)
	v_sub_co_ci_u32_e64 v5, null, v1, v5, vcc_lo
	v_sub_co_u32 v20, vcc_lo, v6, v10
	s_wait_alu 0xfffd
	v_sub_co_ci_u32_e64 v21, null, v7, v11, vcc_lo
	v_sub_co_u32 v6, vcc_lo, v4, v20
	s_wait_alu 0xfffd
	s_delay_alu instid0(VALU_DEP_2) | instskip(NEXT) | instid1(VALU_DEP_1)
	v_sub_co_ci_u32_e64 v7, null, v5, v21, vcc_lo
	v_cmpx_gt_i64_e64 s[4:5], v[6:7]
	s_cbranch_execz .LBB86_2
; %bb.12:                               ;   in Loop: Header=BB86_3 Depth=1
	s_load_b128 s[0:3], s[22:23], 0xc0
	s_and_not1_b32 vcc_lo, exec_lo, s33
	s_wait_kmcnt 0x0
	v_mul_lo_u32 v3, s3, v4
	v_mul_lo_u32 v10, s2, v5
	v_mad_co_u64_u32 v[6:7], null, s2, v4, 0
	s_delay_alu instid0(VALU_DEP_1) | instskip(SKIP_2) | instid1(VALU_DEP_3)
	v_add3_u32 v7, v7, v10, v3
	v_mul_lo_u32 v3, s0, v21
	v_mul_lo_u32 v10, s1, v20
	v_mad_co_u64_u32 v[6:7], null, s0, v20, v[6:7]
	s_delay_alu instid0(VALU_DEP_1)
	v_add3_u32 v7, v10, v7, v3
	s_wait_alu 0xfffe
	s_cbranch_vccnz .LBB86_38
; %bb.13:                               ;   in Loop: Header=BB86_3 Depth=1
	s_mov_b64 s[38:39], s[26:27]
	s_mov_b64 s[40:41], s[30:31]
	s_and_not1_b32 vcc_lo, exec_lo, s63
	s_mov_b64 s[44:45], s[28:29]
	s_mov_b64 s[42:43], s[20:21]
	s_wait_alu 0xfffe
	s_cbranch_vccz .LBB86_17
.LBB86_14:                              ;   in Loop: Header=BB86_3 Depth=1
	s_and_not1_b32 vcc_lo, exec_lo, s64
	s_wait_alu 0xfffe
	s_cbranch_vccnz .LBB86_38
; %bb.15:                               ;   in Loop: Header=BB86_3 Depth=1
	s_lshl_b64 s[0:1], s[42:43], 3
	s_add_nc_u64 s[42:43], s[42:43], 1
	s_wait_alu 0xfffe
	s_add_nc_u64 s[38:39], s[16:17], s[0:1]
	s_add_nc_u64 s[40:41], s[34:35], s[0:1]
	s_branch .LBB86_22
.LBB86_16:                              ;   in Loop: Header=BB86_17 Depth=2
	s_wait_alu 0xfffe
	s_or_b32 exec_lo, exec_lo, s0
	s_load_b64 s[0:1], s[44:45], 0x0
	v_mul_lo_u32 v3, v11, s46
	v_mul_lo_u32 v14, v10, s47
	v_mad_co_u64_u32 v[12:13], null, v10, s46, 0
	s_add_nc_u64 s[38:39], s[38:39], -1
	s_add_nc_u64 s[42:43], s[42:43], -1
	s_add_nc_u64 s[44:45], s[44:45], -8
	s_wait_alu 0xfffe
	s_cmp_lg_u64 s[38:39], 0
	s_add_nc_u64 s[40:41], s[40:41], -8
	v_add3_u32 v3, v13, v14, v3
	v_sub_co_u32 v8, vcc_lo, v8, v12
	s_wait_alu 0xfffd
	s_delay_alu instid0(VALU_DEP_2) | instskip(SKIP_1) | instid1(VALU_DEP_2)
	v_sub_co_ci_u32_e64 v3, null, v9, v3, vcc_lo
	s_wait_kmcnt 0x0
	v_mul_lo_u32 v9, s1, v8
	s_delay_alu instid0(VALU_DEP_2) | instskip(SKIP_1) | instid1(VALU_DEP_1)
	v_mul_lo_u32 v3, s0, v3
	v_mad_co_u64_u32 v[6:7], null, s0, v8, v[6:7]
	v_add3_u32 v7, v9, v7, v3
	v_dual_mov_b32 v8, v10 :: v_dual_mov_b32 v9, v11
	s_cbranch_scc0 .LBB86_14
.LBB86_17:                              ;   Parent Loop BB86_3 Depth=1
                                        ; =>  This Inner Loop Header: Depth=2
	s_load_b64 s[46:47], s[40:41], 0x0
                                        ; implicit-def: $vgpr10_vgpr11
	s_mov_b32 s0, exec_lo
	s_wait_kmcnt 0x0
	v_or_b32_e32 v3, s47, v9
	s_delay_alu instid0(VALU_DEP_1)
	v_cmpx_ne_u64_e32 0, v[2:3]
	s_wait_alu 0xfffe
	s_xor_b32 s1, exec_lo, s0
	s_cbranch_execz .LBB86_19
; %bb.18:                               ;   in Loop: Header=BB86_17 Depth=2
	s_ashr_i32 s48, s47, 31
	v_ashrrev_i32_e32 v3, 31, v9
	s_wait_alu 0xfffe
	s_mov_b32 s49, s48
	s_wait_alu 0xfffe
	s_add_nc_u64 s[50:51], s[46:47], s[48:49]
	v_add_co_u32 v10, vcc_lo, v8, v3
	s_wait_alu 0xfffe
	s_xor_b64 s[50:51], s[50:51], s[48:49]
	s_wait_alu 0xfffd
	v_add_co_ci_u32_e64 v11, null, v9, v3, vcc_lo
	s_wait_alu 0xfffe
	s_cvt_f32_u32 s0, s50
	s_cvt_f32_u32 s14, s51
	s_sub_nc_u64 s[54:55], 0, s[50:51]
	v_xor_b32_e32 v16, v10, v3
	v_xor_b32_e32 v17, v11, v3
	s_wait_alu 0xfffe
	s_fmamk_f32 s0, s14, 0x4f800000, s0
	v_xor_b32_e32 v3, s48, v3
	s_wait_alu 0xfffe
	s_delay_alu instid0(SALU_CYCLE_1) | instskip(NEXT) | instid1(TRANS32_DEP_1)
	v_s_rcp_f32 s0, s0
	s_mul_f32 s0, s0, 0x5f7ffffc
	s_wait_alu 0xfffe
	s_delay_alu instid0(SALU_CYCLE_2) | instskip(SKIP_1) | instid1(SALU_CYCLE_2)
	s_mul_f32 s14, s0, 0x2f800000
	s_wait_alu 0xfffe
	s_trunc_f32 s14, s14
	s_wait_alu 0xfffe
	s_delay_alu instid0(SALU_CYCLE_2) | instskip(SKIP_2) | instid1(SALU_CYCLE_1)
	s_fmamk_f32 s0, s14, 0xcf800000, s0
	s_cvt_u32_f32 s53, s14
	s_wait_alu 0xfffe
	s_cvt_u32_f32 s52, s0
	s_wait_alu 0xfffe
	s_delay_alu instid0(SALU_CYCLE_2)
	s_mul_u64 s[56:57], s[54:55], s[52:53]
	s_wait_alu 0xfffe
	s_mul_hi_u32 s59, s52, s57
	s_mul_i32 s58, s52, s57
	s_mul_hi_u32 s14, s52, s56
	s_mul_i32 s49, s53, s56
	s_wait_alu 0xfffe
	s_add_nc_u64 s[58:59], s[14:15], s[58:59]
	s_mul_hi_u32 s0, s53, s56
	s_mul_hi_u32 s60, s53, s57
	s_wait_alu 0xfffe
	s_add_co_u32 s14, s58, s49
	s_add_co_ci_u32 s14, s59, s0
	s_mul_i32 s56, s53, s57
	s_add_co_ci_u32 s57, s60, 0
	s_wait_alu 0xfffe
	s_add_nc_u64 s[56:57], s[14:15], s[56:57]
	s_wait_alu 0xfffe
	s_add_co_u32 s52, s52, s56
	s_cselect_b32 s0, -1, 0
	s_wait_alu 0xfffe
	s_cmp_lg_u32 s0, 0
	s_add_co_ci_u32 s53, s53, s57
	s_wait_alu 0xfffe
	s_mul_u64 s[54:55], s[54:55], s[52:53]
	s_wait_alu 0xfffe
	s_mul_hi_u32 s57, s52, s55
	s_mul_i32 s56, s52, s55
	s_mul_hi_u32 s14, s52, s54
	s_mul_i32 s49, s53, s54
	s_wait_alu 0xfffe
	s_add_nc_u64 s[56:57], s[14:15], s[56:57]
	s_mul_hi_u32 s0, s53, s54
	s_mul_hi_u32 s58, s53, s55
	s_wait_alu 0xfffe
	s_add_co_u32 s14, s56, s49
	s_add_co_ci_u32 s14, s57, s0
	s_mul_i32 s54, s53, s55
	s_add_co_ci_u32 s55, s58, 0
	s_wait_alu 0xfffe
	s_add_nc_u64 s[54:55], s[14:15], s[54:55]
	s_wait_alu 0xfffe
	s_add_co_u32 s0, s52, s54
	s_cselect_b32 s14, -1, 0
	s_wait_alu 0xfffe
	v_mul_hi_u32 v22, v16, s0
	s_cmp_lg_u32 s14, 0
	v_mad_co_u64_u32 v[12:13], null, v17, s0, 0
	s_add_co_ci_u32 s14, s53, s55
	s_wait_alu 0xfffe
	v_mad_co_u64_u32 v[10:11], null, v16, s14, 0
	v_mad_co_u64_u32 v[14:15], null, v17, s14, 0
	s_delay_alu instid0(VALU_DEP_2) | instskip(SKIP_1) | instid1(VALU_DEP_3)
	v_add_co_u32 v10, vcc_lo, v22, v10
	s_wait_alu 0xfffd
	v_add_co_ci_u32_e64 v11, null, 0, v11, vcc_lo
	s_delay_alu instid0(VALU_DEP_2) | instskip(SKIP_1) | instid1(VALU_DEP_2)
	v_add_co_u32 v10, vcc_lo, v10, v12
	s_wait_alu 0xfffd
	v_add_co_ci_u32_e32 v10, vcc_lo, v11, v13, vcc_lo
	s_wait_alu 0xfffd
	v_add_co_ci_u32_e32 v11, vcc_lo, 0, v15, vcc_lo
	s_delay_alu instid0(VALU_DEP_2) | instskip(SKIP_1) | instid1(VALU_DEP_2)
	v_add_co_u32 v12, vcc_lo, v10, v14
	s_wait_alu 0xfffd
	v_add_co_ci_u32_e64 v13, null, 0, v11, vcc_lo
	s_delay_alu instid0(VALU_DEP_2) | instskip(SKIP_1) | instid1(VALU_DEP_3)
	v_mul_lo_u32 v14, s51, v12
	v_mad_co_u64_u32 v[10:11], null, s50, v12, 0
	v_mul_lo_u32 v15, s50, v13
	s_delay_alu instid0(VALU_DEP_2) | instskip(NEXT) | instid1(VALU_DEP_2)
	v_sub_co_u32 v10, vcc_lo, v16, v10
	v_add3_u32 v11, v11, v15, v14
	v_add_co_u32 v15, s0, v12, 2
	s_wait_alu 0xf1ff
	v_add_co_ci_u32_e64 v16, null, 0, v13, s0
	s_delay_alu instid0(VALU_DEP_3) | instskip(SKIP_3) | instid1(VALU_DEP_3)
	v_sub_nc_u32_e32 v14, v17, v11
	v_sub_co_u32 v22, s0, v10, s50
	s_wait_alu 0xfffd
	v_sub_co_ci_u32_e64 v11, null, v17, v11, vcc_lo
	v_subrev_co_ci_u32_e64 v14, null, s51, v14, vcc_lo
	s_delay_alu instid0(VALU_DEP_3) | instskip(SKIP_1) | instid1(VALU_DEP_2)
	v_cmp_le_u32_e32 vcc_lo, s50, v22
	s_wait_alu 0xf1ff
	v_subrev_co_ci_u32_e64 v14, null, 0, v14, s0
	s_wait_alu 0xfffd
	v_cndmask_b32_e64 v17, 0, -1, vcc_lo
	s_delay_alu instid0(VALU_DEP_2)
	v_cmp_le_u32_e32 vcc_lo, s51, v14
	s_wait_alu 0xfffd
	v_cndmask_b32_e64 v22, 0, -1, vcc_lo
	v_cmp_le_u32_e32 vcc_lo, s50, v10
	s_wait_alu 0xfffd
	v_cndmask_b32_e64 v10, 0, -1, vcc_lo
	;; [unrolled: 3-line block ×3, first 2 shown]
	v_cmp_eq_u32_e32 vcc_lo, s51, v14
	s_wait_alu 0xfffd
	v_cndmask_b32_e32 v14, v22, v17, vcc_lo
	v_add_co_u32 v17, vcc_lo, v12, 1
	s_wait_alu 0xfffd
	v_add_co_ci_u32_e64 v22, null, 0, v13, vcc_lo
	v_cmp_eq_u32_e32 vcc_lo, s51, v11
	s_wait_alu 0xfffd
	v_cndmask_b32_e32 v10, v23, v10, vcc_lo
	v_cmp_ne_u32_e32 vcc_lo, 0, v14
	s_wait_alu 0xfffd
	v_cndmask_b32_e32 v11, v22, v16, vcc_lo
	s_delay_alu instid0(VALU_DEP_3) | instskip(SKIP_2) | instid1(VALU_DEP_2)
	v_cmp_ne_u32_e64 s0, 0, v10
	v_cndmask_b32_e32 v10, v17, v15, vcc_lo
	s_wait_alu 0xf1ff
	v_cndmask_b32_e64 v11, v13, v11, s0
	s_delay_alu instid0(VALU_DEP_2) | instskip(NEXT) | instid1(VALU_DEP_2)
	v_cndmask_b32_e64 v10, v12, v10, s0
	v_xor_b32_e32 v11, v11, v3
	s_delay_alu instid0(VALU_DEP_2) | instskip(NEXT) | instid1(VALU_DEP_1)
	v_xor_b32_e32 v10, v10, v3
	v_sub_co_u32 v10, vcc_lo, v10, v3
	s_wait_alu 0xfffd
	s_delay_alu instid0(VALU_DEP_3)
	v_sub_co_ci_u32_e64 v11, null, v11, v3, vcc_lo
.LBB86_19:                              ;   in Loop: Header=BB86_17 Depth=2
	s_wait_alu 0xfffe
	s_and_not1_saveexec_b32 s0, s1
	s_cbranch_execz .LBB86_16
; %bb.20:                               ;   in Loop: Header=BB86_17 Depth=2
	v_cvt_f32_u32_e32 v3, s46
	s_sub_co_i32 s1, 0, s46
	s_delay_alu instid0(VALU_DEP_1) | instskip(NEXT) | instid1(TRANS32_DEP_1)
	v_rcp_iflag_f32_e32 v3, v3
	v_mul_f32_e32 v3, 0x4f7ffffe, v3
	s_delay_alu instid0(VALU_DEP_1) | instskip(SKIP_1) | instid1(VALU_DEP_1)
	v_cvt_u32_f32_e32 v3, v3
	s_wait_alu 0xfffe
	v_mul_lo_u32 v10, s1, v3
	s_delay_alu instid0(VALU_DEP_1) | instskip(NEXT) | instid1(VALU_DEP_1)
	v_mul_hi_u32 v10, v3, v10
	v_add_nc_u32_e32 v3, v3, v10
	s_delay_alu instid0(VALU_DEP_1) | instskip(NEXT) | instid1(VALU_DEP_1)
	v_mul_hi_u32 v3, v8, v3
	v_mul_lo_u32 v10, v3, s46
	v_add_nc_u32_e32 v11, 1, v3
	s_delay_alu instid0(VALU_DEP_2) | instskip(NEXT) | instid1(VALU_DEP_1)
	v_sub_nc_u32_e32 v10, v8, v10
	v_subrev_nc_u32_e32 v12, s46, v10
	v_cmp_le_u32_e32 vcc_lo, s46, v10
	s_wait_alu 0xfffd
	s_delay_alu instid0(VALU_DEP_2) | instskip(NEXT) | instid1(VALU_DEP_1)
	v_dual_cndmask_b32 v10, v10, v12 :: v_dual_cndmask_b32 v3, v3, v11
	v_cmp_le_u32_e32 vcc_lo, s46, v10
	s_delay_alu instid0(VALU_DEP_2) | instskip(SKIP_1) | instid1(VALU_DEP_1)
	v_add_nc_u32_e32 v11, 1, v3
	s_wait_alu 0xfffd
	v_dual_cndmask_b32 v10, v3, v11 :: v_dual_mov_b32 v11, v2
	s_branch .LBB86_16
.LBB86_21:                              ;   in Loop: Header=BB86_22 Depth=2
	s_wait_alu 0xfffe
	s_or_b32 exec_lo, exec_lo, s0
	v_mul_lo_u32 v3, v11, s44
	v_mul_lo_u32 v26, v10, s45
	v_mad_co_u64_u32 v[22:23], null, v10, s44, 0
	v_mul_lo_u32 v27, v13, s48
	v_mul_lo_u32 v28, v12, s49
	v_mad_co_u64_u32 v[24:25], null, v12, s48, 0
	s_load_b64 s[0:1], s[38:39], 0x0
	s_add_nc_u64 s[42:43], s[42:43], -4
	v_add3_u32 v3, v23, v26, v3
	v_sub_co_u32 v8, vcc_lo, v8, v22
	v_mul_lo_u32 v22, v15, s52
	v_add3_u32 v23, v25, v28, v27
	s_wait_alu 0xfffd
	v_sub_co_ci_u32_e64 v3, null, v9, v3, vcc_lo
	v_mul_lo_u32 v25, s47, v8
	v_mad_co_u64_u32 v[6:7], null, s46, v8, v[6:7]
	s_delay_alu instid0(VALU_DEP_3)
	v_mul_lo_u32 v3, s46, v3
	v_mul_lo_u32 v26, v14, s53
	v_mad_co_u64_u32 v[8:9], null, v14, s52, 0
	v_sub_co_u32 v10, vcc_lo, v10, v24
	s_wait_alu 0xfffd
	v_sub_co_ci_u32_e64 v11, null, v11, v23, vcc_lo
	v_add3_u32 v7, v25, v7, v3
	s_add_nc_u64 s[38:39], s[38:39], s[18:19]
	s_delay_alu instid0(VALU_DEP_4)
	v_add3_u32 v3, v9, v26, v22
	v_mul_lo_u32 v22, s51, v10
	v_mul_lo_u32 v11, s50, v11
	v_mad_co_u64_u32 v[6:7], null, s50, v10, v[6:7]
	v_sub_co_u32 v10, vcc_lo, v12, v8
	s_wait_alu 0xfffd
	v_sub_co_ci_u32_e64 v3, null, v13, v3, vcc_lo
	v_mul_lo_u32 v12, v17, s56
	v_mul_lo_u32 v13, v16, s57
	v_mad_co_u64_u32 v[8:9], null, v16, s56, 0
	v_add3_u32 v7, v22, v7, v11
	v_mul_lo_u32 v3, s54, v3
	s_cmp_eq_u64 s[42:43], 0
	s_add_nc_u64 s[40:41], s[40:41], s[18:19]
	s_delay_alu instid0(VALU_DEP_2) | instskip(SKIP_4) | instid1(VALU_DEP_2)
	v_mad_co_u64_u32 v[6:7], null, s54, v10, v[6:7]
	v_mul_lo_u32 v10, s55, v10
	v_add3_u32 v9, v9, v13, v12
	v_sub_co_u32 v8, vcc_lo, v14, v8
	s_wait_alu 0xfffd
	v_sub_co_ci_u32_e64 v9, null, v15, v9, vcc_lo
	s_delay_alu instid0(VALU_DEP_4) | instskip(SKIP_1) | instid1(VALU_DEP_2)
	v_add3_u32 v7, v10, v7, v3
	s_wait_kmcnt 0x0
	v_mul_lo_u32 v3, s0, v9
	v_mul_lo_u32 v9, s1, v8
	s_delay_alu instid0(VALU_DEP_3) | instskip(NEXT) | instid1(VALU_DEP_1)
	v_mad_co_u64_u32 v[6:7], null, s0, v8, v[6:7]
	v_add3_u32 v7, v9, v7, v3
	v_dual_mov_b32 v8, v16 :: v_dual_mov_b32 v9, v17
	s_cbranch_scc1 .LBB86_38
.LBB86_22:                              ;   Parent Loop BB86_3 Depth=1
                                        ; =>  This Inner Loop Header: Depth=2
	s_load_b64 s[44:45], s[40:41], 0x18
                                        ; implicit-def: $vgpr10_vgpr11
	s_mov_b32 s0, exec_lo
	s_wait_kmcnt 0x0
	v_or_b32_e32 v3, s45, v9
	s_delay_alu instid0(VALU_DEP_1)
	v_cmpx_ne_u64_e32 0, v[2:3]
	s_wait_alu 0xfffe
	s_xor_b32 s1, exec_lo, s0
	s_cbranch_execz .LBB86_24
; %bb.23:                               ;   in Loop: Header=BB86_22 Depth=2
	s_ashr_i32 s46, s45, 31
	v_ashrrev_i32_e32 v3, 31, v9
	s_wait_alu 0xfffe
	s_mov_b32 s47, s46
	s_wait_alu 0xfffe
	s_add_nc_u64 s[48:49], s[44:45], s[46:47]
	v_add_co_u32 v10, vcc_lo, v8, v3
	s_wait_alu 0xfffe
	s_xor_b64 s[48:49], s[48:49], s[46:47]
	s_wait_alu 0xfffd
	v_add_co_ci_u32_e64 v11, null, v9, v3, vcc_lo
	s_wait_alu 0xfffe
	s_cvt_f32_u32 s0, s48
	s_cvt_f32_u32 s14, s49
	s_sub_nc_u64 s[52:53], 0, s[48:49]
	v_xor_b32_e32 v16, v10, v3
	v_xor_b32_e32 v17, v11, v3
	s_wait_alu 0xfffe
	s_fmamk_f32 s0, s14, 0x4f800000, s0
	v_xor_b32_e32 v3, s46, v3
	s_wait_alu 0xfffe
	s_delay_alu instid0(SALU_CYCLE_1) | instskip(NEXT) | instid1(TRANS32_DEP_1)
	v_s_rcp_f32 s0, s0
	s_mul_f32 s0, s0, 0x5f7ffffc
	s_wait_alu 0xfffe
	s_delay_alu instid0(SALU_CYCLE_2) | instskip(SKIP_1) | instid1(SALU_CYCLE_2)
	s_mul_f32 s14, s0, 0x2f800000
	s_wait_alu 0xfffe
	s_trunc_f32 s14, s14
	s_wait_alu 0xfffe
	s_delay_alu instid0(SALU_CYCLE_2) | instskip(SKIP_2) | instid1(SALU_CYCLE_1)
	s_fmamk_f32 s0, s14, 0xcf800000, s0
	s_cvt_u32_f32 s51, s14
	s_wait_alu 0xfffe
	s_cvt_u32_f32 s50, s0
	s_wait_alu 0xfffe
	s_delay_alu instid0(SALU_CYCLE_2)
	s_mul_u64 s[54:55], s[52:53], s[50:51]
	s_wait_alu 0xfffe
	s_mul_hi_u32 s57, s50, s55
	s_mul_i32 s56, s50, s55
	s_mul_hi_u32 s14, s50, s54
	s_mul_i32 s47, s51, s54
	s_wait_alu 0xfffe
	s_add_nc_u64 s[56:57], s[14:15], s[56:57]
	s_mul_hi_u32 s0, s51, s54
	s_mul_hi_u32 s58, s51, s55
	s_wait_alu 0xfffe
	s_add_co_u32 s14, s56, s47
	s_add_co_ci_u32 s14, s57, s0
	s_mul_i32 s54, s51, s55
	s_add_co_ci_u32 s55, s58, 0
	s_wait_alu 0xfffe
	s_add_nc_u64 s[54:55], s[14:15], s[54:55]
	s_wait_alu 0xfffe
	s_add_co_u32 s50, s50, s54
	s_cselect_b32 s0, -1, 0
	s_wait_alu 0xfffe
	s_cmp_lg_u32 s0, 0
	s_add_co_ci_u32 s51, s51, s55
	s_wait_alu 0xfffe
	s_mul_u64 s[52:53], s[52:53], s[50:51]
	s_wait_alu 0xfffe
	s_mul_hi_u32 s55, s50, s53
	s_mul_i32 s54, s50, s53
	s_mul_hi_u32 s14, s50, s52
	s_mul_i32 s47, s51, s52
	s_wait_alu 0xfffe
	s_add_nc_u64 s[54:55], s[14:15], s[54:55]
	s_mul_hi_u32 s0, s51, s52
	s_mul_hi_u32 s56, s51, s53
	s_wait_alu 0xfffe
	s_add_co_u32 s14, s54, s47
	s_add_co_ci_u32 s14, s55, s0
	s_mul_i32 s52, s51, s53
	s_add_co_ci_u32 s53, s56, 0
	s_wait_alu 0xfffe
	s_add_nc_u64 s[52:53], s[14:15], s[52:53]
	s_wait_alu 0xfffe
	s_add_co_u32 s0, s50, s52
	s_cselect_b32 s14, -1, 0
	s_wait_alu 0xfffe
	v_mul_hi_u32 v22, v16, s0
	s_cmp_lg_u32 s14, 0
	v_mad_co_u64_u32 v[12:13], null, v17, s0, 0
	s_add_co_ci_u32 s14, s51, s53
	s_wait_alu 0xfffe
	v_mad_co_u64_u32 v[10:11], null, v16, s14, 0
	v_mad_co_u64_u32 v[14:15], null, v17, s14, 0
	s_delay_alu instid0(VALU_DEP_2) | instskip(SKIP_1) | instid1(VALU_DEP_3)
	v_add_co_u32 v10, vcc_lo, v22, v10
	s_wait_alu 0xfffd
	v_add_co_ci_u32_e64 v11, null, 0, v11, vcc_lo
	s_delay_alu instid0(VALU_DEP_2) | instskip(SKIP_1) | instid1(VALU_DEP_2)
	v_add_co_u32 v10, vcc_lo, v10, v12
	s_wait_alu 0xfffd
	v_add_co_ci_u32_e32 v10, vcc_lo, v11, v13, vcc_lo
	s_wait_alu 0xfffd
	v_add_co_ci_u32_e32 v11, vcc_lo, 0, v15, vcc_lo
	s_delay_alu instid0(VALU_DEP_2) | instskip(SKIP_1) | instid1(VALU_DEP_2)
	v_add_co_u32 v12, vcc_lo, v10, v14
	s_wait_alu 0xfffd
	v_add_co_ci_u32_e64 v13, null, 0, v11, vcc_lo
	s_delay_alu instid0(VALU_DEP_2) | instskip(SKIP_1) | instid1(VALU_DEP_3)
	v_mul_lo_u32 v14, s49, v12
	v_mad_co_u64_u32 v[10:11], null, s48, v12, 0
	v_mul_lo_u32 v15, s48, v13
	s_delay_alu instid0(VALU_DEP_2) | instskip(NEXT) | instid1(VALU_DEP_2)
	v_sub_co_u32 v10, vcc_lo, v16, v10
	v_add3_u32 v11, v11, v15, v14
	v_add_co_u32 v15, s0, v12, 2
	s_wait_alu 0xf1ff
	v_add_co_ci_u32_e64 v16, null, 0, v13, s0
	s_delay_alu instid0(VALU_DEP_3) | instskip(SKIP_3) | instid1(VALU_DEP_3)
	v_sub_nc_u32_e32 v14, v17, v11
	v_sub_co_u32 v22, s0, v10, s48
	s_wait_alu 0xfffd
	v_sub_co_ci_u32_e64 v11, null, v17, v11, vcc_lo
	v_subrev_co_ci_u32_e64 v14, null, s49, v14, vcc_lo
	s_delay_alu instid0(VALU_DEP_3) | instskip(SKIP_1) | instid1(VALU_DEP_2)
	v_cmp_le_u32_e32 vcc_lo, s48, v22
	s_wait_alu 0xf1ff
	v_subrev_co_ci_u32_e64 v14, null, 0, v14, s0
	s_wait_alu 0xfffd
	v_cndmask_b32_e64 v17, 0, -1, vcc_lo
	s_delay_alu instid0(VALU_DEP_2)
	v_cmp_le_u32_e32 vcc_lo, s49, v14
	s_wait_alu 0xfffd
	v_cndmask_b32_e64 v22, 0, -1, vcc_lo
	v_cmp_le_u32_e32 vcc_lo, s48, v10
	s_wait_alu 0xfffd
	v_cndmask_b32_e64 v10, 0, -1, vcc_lo
	v_cmp_le_u32_e32 vcc_lo, s49, v11
	s_wait_alu 0xfffd
	v_cndmask_b32_e64 v23, 0, -1, vcc_lo
	v_cmp_eq_u32_e32 vcc_lo, s49, v14
	s_wait_alu 0xfffd
	v_cndmask_b32_e32 v14, v22, v17, vcc_lo
	v_add_co_u32 v17, vcc_lo, v12, 1
	s_wait_alu 0xfffd
	v_add_co_ci_u32_e64 v22, null, 0, v13, vcc_lo
	v_cmp_eq_u32_e32 vcc_lo, s49, v11
	s_wait_alu 0xfffd
	v_cndmask_b32_e32 v10, v23, v10, vcc_lo
	v_cmp_ne_u32_e32 vcc_lo, 0, v14
	s_wait_alu 0xfffd
	v_cndmask_b32_e32 v11, v22, v16, vcc_lo
	s_delay_alu instid0(VALU_DEP_3) | instskip(SKIP_2) | instid1(VALU_DEP_2)
	v_cmp_ne_u32_e64 s0, 0, v10
	v_cndmask_b32_e32 v10, v17, v15, vcc_lo
	s_wait_alu 0xf1ff
	v_cndmask_b32_e64 v11, v13, v11, s0
	s_delay_alu instid0(VALU_DEP_2) | instskip(NEXT) | instid1(VALU_DEP_2)
	v_cndmask_b32_e64 v10, v12, v10, s0
	v_xor_b32_e32 v11, v11, v3
	s_delay_alu instid0(VALU_DEP_2) | instskip(NEXT) | instid1(VALU_DEP_1)
	v_xor_b32_e32 v10, v10, v3
	v_sub_co_u32 v10, vcc_lo, v10, v3
	s_wait_alu 0xfffd
	s_delay_alu instid0(VALU_DEP_3)
	v_sub_co_ci_u32_e64 v11, null, v11, v3, vcc_lo
.LBB86_24:                              ;   in Loop: Header=BB86_22 Depth=2
	s_wait_alu 0xfffe
	s_and_not1_saveexec_b32 s0, s1
	s_cbranch_execz .LBB86_26
; %bb.25:                               ;   in Loop: Header=BB86_22 Depth=2
	v_cvt_f32_u32_e32 v3, s44
	s_sub_co_i32 s1, 0, s44
	s_delay_alu instid0(VALU_DEP_1) | instskip(NEXT) | instid1(TRANS32_DEP_1)
	v_rcp_iflag_f32_e32 v3, v3
	v_mul_f32_e32 v3, 0x4f7ffffe, v3
	s_delay_alu instid0(VALU_DEP_1) | instskip(SKIP_1) | instid1(VALU_DEP_1)
	v_cvt_u32_f32_e32 v3, v3
	s_wait_alu 0xfffe
	v_mul_lo_u32 v10, s1, v3
	s_delay_alu instid0(VALU_DEP_1) | instskip(NEXT) | instid1(VALU_DEP_1)
	v_mul_hi_u32 v10, v3, v10
	v_add_nc_u32_e32 v3, v3, v10
	s_delay_alu instid0(VALU_DEP_1) | instskip(NEXT) | instid1(VALU_DEP_1)
	v_mul_hi_u32 v3, v8, v3
	v_mul_lo_u32 v10, v3, s44
	v_add_nc_u32_e32 v11, 1, v3
	s_delay_alu instid0(VALU_DEP_2) | instskip(NEXT) | instid1(VALU_DEP_1)
	v_sub_nc_u32_e32 v10, v8, v10
	v_subrev_nc_u32_e32 v12, s44, v10
	v_cmp_le_u32_e32 vcc_lo, s44, v10
	s_wait_alu 0xfffd
	s_delay_alu instid0(VALU_DEP_2) | instskip(NEXT) | instid1(VALU_DEP_1)
	v_dual_cndmask_b32 v10, v10, v12 :: v_dual_cndmask_b32 v3, v3, v11
	v_cmp_le_u32_e32 vcc_lo, s44, v10
	s_delay_alu instid0(VALU_DEP_2) | instskip(SKIP_1) | instid1(VALU_DEP_1)
	v_add_nc_u32_e32 v11, 1, v3
	s_wait_alu 0xfffd
	v_dual_cndmask_b32 v10, v3, v11 :: v_dual_mov_b32 v11, v2
.LBB86_26:                              ;   in Loop: Header=BB86_22 Depth=2
	s_wait_alu 0xfffe
	s_or_b32 exec_lo, exec_lo, s0
	s_load_b64 s[48:49], s[40:41], 0x10
	s_load_b64 s[46:47], s[38:39], 0x18
                                        ; implicit-def: $vgpr12_vgpr13
	s_mov_b32 s0, exec_lo
	s_wait_kmcnt 0x0
	v_or_b32_e32 v3, s49, v11
	s_delay_alu instid0(VALU_DEP_1)
	v_cmpx_ne_u64_e32 0, v[2:3]
	s_wait_alu 0xfffe
	s_xor_b32 s1, exec_lo, s0
	s_cbranch_execz .LBB86_28
; %bb.27:                               ;   in Loop: Header=BB86_22 Depth=2
	s_ashr_i32 s50, s49, 31
	v_ashrrev_i32_e32 v3, 31, v11
	s_wait_alu 0xfffe
	s_mov_b32 s51, s50
	s_wait_alu 0xfffe
	s_add_nc_u64 s[52:53], s[48:49], s[50:51]
	v_add_co_u32 v12, vcc_lo, v10, v3
	s_wait_alu 0xfffe
	s_xor_b64 s[52:53], s[52:53], s[50:51]
	s_wait_alu 0xfffd
	v_add_co_ci_u32_e64 v13, null, v11, v3, vcc_lo
	s_wait_alu 0xfffe
	s_cvt_f32_u32 s0, s52
	s_cvt_f32_u32 s14, s53
	s_sub_nc_u64 s[56:57], 0, s[52:53]
	v_xor_b32_e32 v22, v12, v3
	v_xor_b32_e32 v23, v13, v3
	s_wait_alu 0xfffe
	s_fmamk_f32 s0, s14, 0x4f800000, s0
	v_xor_b32_e32 v3, s50, v3
	s_wait_alu 0xfffe
	s_delay_alu instid0(SALU_CYCLE_1) | instskip(NEXT) | instid1(TRANS32_DEP_1)
	v_s_rcp_f32 s0, s0
	s_mul_f32 s0, s0, 0x5f7ffffc
	s_wait_alu 0xfffe
	s_delay_alu instid0(SALU_CYCLE_2) | instskip(SKIP_1) | instid1(SALU_CYCLE_2)
	s_mul_f32 s14, s0, 0x2f800000
	s_wait_alu 0xfffe
	s_trunc_f32 s14, s14
	s_wait_alu 0xfffe
	s_delay_alu instid0(SALU_CYCLE_2) | instskip(SKIP_2) | instid1(SALU_CYCLE_1)
	s_fmamk_f32 s0, s14, 0xcf800000, s0
	s_cvt_u32_f32 s55, s14
	s_wait_alu 0xfffe
	s_cvt_u32_f32 s54, s0
	s_wait_alu 0xfffe
	s_delay_alu instid0(SALU_CYCLE_2)
	s_mul_u64 s[58:59], s[56:57], s[54:55]
	s_wait_alu 0xfffe
	s_mul_hi_u32 s61, s54, s59
	s_mul_i32 s60, s54, s59
	s_mul_hi_u32 s14, s54, s58
	s_mul_i32 s51, s55, s58
	s_wait_alu 0xfffe
	s_add_nc_u64 s[60:61], s[14:15], s[60:61]
	s_mul_hi_u32 s0, s55, s58
	s_mul_hi_u32 s66, s55, s59
	s_wait_alu 0xfffe
	s_add_co_u32 s14, s60, s51
	s_add_co_ci_u32 s14, s61, s0
	s_mul_i32 s58, s55, s59
	s_add_co_ci_u32 s59, s66, 0
	s_wait_alu 0xfffe
	s_add_nc_u64 s[58:59], s[14:15], s[58:59]
	s_wait_alu 0xfffe
	s_add_co_u32 s54, s54, s58
	s_cselect_b32 s0, -1, 0
	s_wait_alu 0xfffe
	s_cmp_lg_u32 s0, 0
	s_add_co_ci_u32 s55, s55, s59
	s_wait_alu 0xfffe
	s_mul_u64 s[56:57], s[56:57], s[54:55]
	s_wait_alu 0xfffe
	s_mul_hi_u32 s59, s54, s57
	s_mul_i32 s58, s54, s57
	s_mul_hi_u32 s14, s54, s56
	s_mul_i32 s51, s55, s56
	s_wait_alu 0xfffe
	s_add_nc_u64 s[58:59], s[14:15], s[58:59]
	s_mul_hi_u32 s0, s55, s56
	s_mul_hi_u32 s60, s55, s57
	s_wait_alu 0xfffe
	s_add_co_u32 s14, s58, s51
	s_add_co_ci_u32 s14, s59, s0
	s_mul_i32 s56, s55, s57
	s_add_co_ci_u32 s57, s60, 0
	s_wait_alu 0xfffe
	s_add_nc_u64 s[56:57], s[14:15], s[56:57]
	s_wait_alu 0xfffe
	s_add_co_u32 s0, s54, s56
	s_cselect_b32 s14, -1, 0
	s_wait_alu 0xfffe
	v_mul_hi_u32 v24, v22, s0
	s_cmp_lg_u32 s14, 0
	v_mad_co_u64_u32 v[14:15], null, v23, s0, 0
	s_add_co_ci_u32 s14, s55, s57
	s_wait_alu 0xfffe
	v_mad_co_u64_u32 v[12:13], null, v22, s14, 0
	v_mad_co_u64_u32 v[16:17], null, v23, s14, 0
	s_delay_alu instid0(VALU_DEP_2) | instskip(SKIP_1) | instid1(VALU_DEP_3)
	v_add_co_u32 v12, vcc_lo, v24, v12
	s_wait_alu 0xfffd
	v_add_co_ci_u32_e64 v13, null, 0, v13, vcc_lo
	s_delay_alu instid0(VALU_DEP_2) | instskip(SKIP_1) | instid1(VALU_DEP_2)
	v_add_co_u32 v12, vcc_lo, v12, v14
	s_wait_alu 0xfffd
	v_add_co_ci_u32_e32 v12, vcc_lo, v13, v15, vcc_lo
	s_wait_alu 0xfffd
	v_add_co_ci_u32_e32 v13, vcc_lo, 0, v17, vcc_lo
	s_delay_alu instid0(VALU_DEP_2) | instskip(SKIP_1) | instid1(VALU_DEP_2)
	v_add_co_u32 v14, vcc_lo, v12, v16
	s_wait_alu 0xfffd
	v_add_co_ci_u32_e64 v15, null, 0, v13, vcc_lo
	s_delay_alu instid0(VALU_DEP_2) | instskip(SKIP_1) | instid1(VALU_DEP_3)
	v_mul_lo_u32 v16, s53, v14
	v_mad_co_u64_u32 v[12:13], null, s52, v14, 0
	v_mul_lo_u32 v17, s52, v15
	s_delay_alu instid0(VALU_DEP_2) | instskip(NEXT) | instid1(VALU_DEP_2)
	v_sub_co_u32 v12, vcc_lo, v22, v12
	v_add3_u32 v13, v13, v17, v16
	v_add_co_u32 v17, s0, v14, 2
	s_wait_alu 0xf1ff
	v_add_co_ci_u32_e64 v22, null, 0, v15, s0
	s_delay_alu instid0(VALU_DEP_3) | instskip(SKIP_3) | instid1(VALU_DEP_3)
	v_sub_nc_u32_e32 v16, v23, v13
	v_sub_co_u32 v24, s0, v12, s52
	s_wait_alu 0xfffd
	v_sub_co_ci_u32_e64 v13, null, v23, v13, vcc_lo
	v_subrev_co_ci_u32_e64 v16, null, s53, v16, vcc_lo
	s_delay_alu instid0(VALU_DEP_3) | instskip(SKIP_1) | instid1(VALU_DEP_2)
	v_cmp_le_u32_e32 vcc_lo, s52, v24
	s_wait_alu 0xf1ff
	v_subrev_co_ci_u32_e64 v16, null, 0, v16, s0
	s_wait_alu 0xfffd
	v_cndmask_b32_e64 v23, 0, -1, vcc_lo
	s_delay_alu instid0(VALU_DEP_2)
	v_cmp_le_u32_e32 vcc_lo, s53, v16
	s_wait_alu 0xfffd
	v_cndmask_b32_e64 v24, 0, -1, vcc_lo
	v_cmp_le_u32_e32 vcc_lo, s52, v12
	s_wait_alu 0xfffd
	v_cndmask_b32_e64 v12, 0, -1, vcc_lo
	;; [unrolled: 3-line block ×3, first 2 shown]
	v_cmp_eq_u32_e32 vcc_lo, s53, v16
	s_wait_alu 0xfffd
	v_cndmask_b32_e32 v16, v24, v23, vcc_lo
	v_add_co_u32 v23, vcc_lo, v14, 1
	s_wait_alu 0xfffd
	v_add_co_ci_u32_e64 v24, null, 0, v15, vcc_lo
	v_cmp_eq_u32_e32 vcc_lo, s53, v13
	s_wait_alu 0xfffd
	v_cndmask_b32_e32 v12, v25, v12, vcc_lo
	v_cmp_ne_u32_e32 vcc_lo, 0, v16
	s_wait_alu 0xfffd
	v_cndmask_b32_e32 v13, v24, v22, vcc_lo
	s_delay_alu instid0(VALU_DEP_3) | instskip(SKIP_2) | instid1(VALU_DEP_2)
	v_cmp_ne_u32_e64 s0, 0, v12
	v_cndmask_b32_e32 v12, v23, v17, vcc_lo
	s_wait_alu 0xf1ff
	v_cndmask_b32_e64 v13, v15, v13, s0
	s_delay_alu instid0(VALU_DEP_2) | instskip(NEXT) | instid1(VALU_DEP_2)
	v_cndmask_b32_e64 v12, v14, v12, s0
	v_xor_b32_e32 v13, v13, v3
	s_delay_alu instid0(VALU_DEP_2) | instskip(NEXT) | instid1(VALU_DEP_1)
	v_xor_b32_e32 v12, v12, v3
	v_sub_co_u32 v12, vcc_lo, v12, v3
	s_wait_alu 0xfffd
	s_delay_alu instid0(VALU_DEP_3)
	v_sub_co_ci_u32_e64 v13, null, v13, v3, vcc_lo
.LBB86_28:                              ;   in Loop: Header=BB86_22 Depth=2
	s_wait_alu 0xfffe
	s_and_not1_saveexec_b32 s0, s1
	s_cbranch_execz .LBB86_30
; %bb.29:                               ;   in Loop: Header=BB86_22 Depth=2
	v_cvt_f32_u32_e32 v3, s48
	s_sub_co_i32 s1, 0, s48
	s_delay_alu instid0(VALU_DEP_1) | instskip(NEXT) | instid1(TRANS32_DEP_1)
	v_rcp_iflag_f32_e32 v3, v3
	v_mul_f32_e32 v3, 0x4f7ffffe, v3
	s_delay_alu instid0(VALU_DEP_1) | instskip(SKIP_1) | instid1(VALU_DEP_1)
	v_cvt_u32_f32_e32 v3, v3
	s_wait_alu 0xfffe
	v_mul_lo_u32 v12, s1, v3
	s_delay_alu instid0(VALU_DEP_1) | instskip(NEXT) | instid1(VALU_DEP_1)
	v_mul_hi_u32 v12, v3, v12
	v_add_nc_u32_e32 v3, v3, v12
	s_delay_alu instid0(VALU_DEP_1) | instskip(NEXT) | instid1(VALU_DEP_1)
	v_mul_hi_u32 v3, v10, v3
	v_mul_lo_u32 v12, v3, s48
	v_add_nc_u32_e32 v13, 1, v3
	s_delay_alu instid0(VALU_DEP_2) | instskip(NEXT) | instid1(VALU_DEP_1)
	v_sub_nc_u32_e32 v12, v10, v12
	v_subrev_nc_u32_e32 v14, s48, v12
	v_cmp_le_u32_e32 vcc_lo, s48, v12
	s_wait_alu 0xfffd
	s_delay_alu instid0(VALU_DEP_2) | instskip(NEXT) | instid1(VALU_DEP_1)
	v_dual_cndmask_b32 v12, v12, v14 :: v_dual_cndmask_b32 v3, v3, v13
	v_cmp_le_u32_e32 vcc_lo, s48, v12
	s_delay_alu instid0(VALU_DEP_2) | instskip(SKIP_1) | instid1(VALU_DEP_1)
	v_add_nc_u32_e32 v13, 1, v3
	s_wait_alu 0xfffd
	v_dual_cndmask_b32 v12, v3, v13 :: v_dual_mov_b32 v13, v2
.LBB86_30:                              ;   in Loop: Header=BB86_22 Depth=2
	s_wait_alu 0xfffe
	s_or_b32 exec_lo, exec_lo, s0
	s_load_b64 s[52:53], s[40:41], 0x8
	s_load_b64 s[50:51], s[38:39], 0x10
                                        ; implicit-def: $vgpr14_vgpr15
	s_mov_b32 s0, exec_lo
	s_wait_kmcnt 0x0
	v_or_b32_e32 v3, s53, v13
	s_delay_alu instid0(VALU_DEP_1)
	v_cmpx_ne_u64_e32 0, v[2:3]
	s_wait_alu 0xfffe
	s_xor_b32 s1, exec_lo, s0
	s_cbranch_execz .LBB86_32
; %bb.31:                               ;   in Loop: Header=BB86_22 Depth=2
	s_ashr_i32 s54, s53, 31
	v_ashrrev_i32_e32 v3, 31, v13
	s_wait_alu 0xfffe
	s_mov_b32 s55, s54
	s_wait_alu 0xfffe
	s_add_nc_u64 s[56:57], s[52:53], s[54:55]
	v_add_co_u32 v14, vcc_lo, v12, v3
	s_wait_alu 0xfffe
	s_xor_b64 s[56:57], s[56:57], s[54:55]
	s_wait_alu 0xfffd
	v_add_co_ci_u32_e64 v15, null, v13, v3, vcc_lo
	s_wait_alu 0xfffe
	s_cvt_f32_u32 s0, s56
	s_cvt_f32_u32 s14, s57
	s_sub_nc_u64 s[60:61], 0, s[56:57]
	v_xor_b32_e32 v24, v14, v3
	v_xor_b32_e32 v25, v15, v3
	s_wait_alu 0xfffe
	s_fmamk_f32 s0, s14, 0x4f800000, s0
	v_xor_b32_e32 v3, s54, v3
	s_wait_alu 0xfffe
	s_delay_alu instid0(SALU_CYCLE_1) | instskip(NEXT) | instid1(TRANS32_DEP_1)
	v_s_rcp_f32 s0, s0
	s_mul_f32 s0, s0, 0x5f7ffffc
	s_wait_alu 0xfffe
	s_delay_alu instid0(SALU_CYCLE_2) | instskip(SKIP_1) | instid1(SALU_CYCLE_2)
	s_mul_f32 s14, s0, 0x2f800000
	s_wait_alu 0xfffe
	s_trunc_f32 s14, s14
	s_wait_alu 0xfffe
	s_delay_alu instid0(SALU_CYCLE_2) | instskip(SKIP_2) | instid1(SALU_CYCLE_1)
	s_fmamk_f32 s0, s14, 0xcf800000, s0
	s_cvt_u32_f32 s59, s14
	s_wait_alu 0xfffe
	s_cvt_u32_f32 s58, s0
	s_wait_alu 0xfffe
	s_delay_alu instid0(SALU_CYCLE_2) | instskip(NEXT) | instid1(SALU_CYCLE_1)
	s_mul_u64 s[66:67], s[60:61], s[58:59]
	s_mul_hi_u32 s69, s58, s67
	s_mul_i32 s68, s58, s67
	s_mul_hi_u32 s14, s58, s66
	s_mul_i32 s55, s59, s66
	s_wait_alu 0xfffe
	s_add_nc_u64 s[68:69], s[14:15], s[68:69]
	s_mul_hi_u32 s0, s59, s66
	s_mul_hi_u32 s70, s59, s67
	s_add_co_u32 s14, s68, s55
	s_wait_alu 0xfffe
	s_add_co_ci_u32 s14, s69, s0
	s_mul_i32 s66, s59, s67
	s_add_co_ci_u32 s67, s70, 0
	s_wait_alu 0xfffe
	s_add_nc_u64 s[66:67], s[14:15], s[66:67]
	s_delay_alu instid0(SALU_CYCLE_1)
	s_add_co_u32 s58, s58, s66
	s_cselect_b32 s0, -1, 0
	s_wait_alu 0xfffe
	s_cmp_lg_u32 s0, 0
	s_add_co_ci_u32 s59, s59, s67
	s_wait_alu 0xfffe
	s_mul_u64 s[60:61], s[60:61], s[58:59]
	s_wait_alu 0xfffe
	s_mul_hi_u32 s67, s58, s61
	s_mul_i32 s66, s58, s61
	s_mul_hi_u32 s14, s58, s60
	s_mul_i32 s55, s59, s60
	s_wait_alu 0xfffe
	s_add_nc_u64 s[66:67], s[14:15], s[66:67]
	s_mul_hi_u32 s0, s59, s60
	s_mul_hi_u32 s68, s59, s61
	s_add_co_u32 s14, s66, s55
	s_wait_alu 0xfffe
	s_add_co_ci_u32 s14, s67, s0
	s_mul_i32 s60, s59, s61
	s_add_co_ci_u32 s61, s68, 0
	s_wait_alu 0xfffe
	s_add_nc_u64 s[60:61], s[14:15], s[60:61]
	s_wait_alu 0xfffe
	s_add_co_u32 s0, s58, s60
	s_cselect_b32 s14, -1, 0
	s_wait_alu 0xfffe
	v_mul_hi_u32 v26, v24, s0
	s_cmp_lg_u32 s14, 0
	v_mad_co_u64_u32 v[16:17], null, v25, s0, 0
	s_add_co_ci_u32 s14, s59, s61
	s_wait_alu 0xfffe
	v_mad_co_u64_u32 v[14:15], null, v24, s14, 0
	v_mad_co_u64_u32 v[22:23], null, v25, s14, 0
	s_delay_alu instid0(VALU_DEP_2) | instskip(SKIP_1) | instid1(VALU_DEP_3)
	v_add_co_u32 v14, vcc_lo, v26, v14
	s_wait_alu 0xfffd
	v_add_co_ci_u32_e64 v15, null, 0, v15, vcc_lo
	s_delay_alu instid0(VALU_DEP_2) | instskip(SKIP_1) | instid1(VALU_DEP_2)
	v_add_co_u32 v14, vcc_lo, v14, v16
	s_wait_alu 0xfffd
	v_add_co_ci_u32_e32 v14, vcc_lo, v15, v17, vcc_lo
	s_wait_alu 0xfffd
	v_add_co_ci_u32_e32 v15, vcc_lo, 0, v23, vcc_lo
	s_delay_alu instid0(VALU_DEP_2) | instskip(SKIP_1) | instid1(VALU_DEP_2)
	v_add_co_u32 v16, vcc_lo, v14, v22
	s_wait_alu 0xfffd
	v_add_co_ci_u32_e64 v17, null, 0, v15, vcc_lo
	s_delay_alu instid0(VALU_DEP_2) | instskip(SKIP_1) | instid1(VALU_DEP_3)
	v_mul_lo_u32 v22, s57, v16
	v_mad_co_u64_u32 v[14:15], null, s56, v16, 0
	v_mul_lo_u32 v23, s56, v17
	s_delay_alu instid0(VALU_DEP_2) | instskip(NEXT) | instid1(VALU_DEP_2)
	v_sub_co_u32 v14, vcc_lo, v24, v14
	v_add3_u32 v15, v15, v23, v22
	v_add_co_u32 v23, s0, v16, 2
	s_wait_alu 0xf1ff
	v_add_co_ci_u32_e64 v24, null, 0, v17, s0
	s_delay_alu instid0(VALU_DEP_3) | instskip(SKIP_3) | instid1(VALU_DEP_3)
	v_sub_nc_u32_e32 v22, v25, v15
	v_sub_co_u32 v26, s0, v14, s56
	s_wait_alu 0xfffd
	v_sub_co_ci_u32_e64 v15, null, v25, v15, vcc_lo
	v_subrev_co_ci_u32_e64 v22, null, s57, v22, vcc_lo
	s_delay_alu instid0(VALU_DEP_3) | instskip(SKIP_1) | instid1(VALU_DEP_2)
	v_cmp_le_u32_e32 vcc_lo, s56, v26
	s_wait_alu 0xf1ff
	v_subrev_co_ci_u32_e64 v22, null, 0, v22, s0
	s_wait_alu 0xfffd
	v_cndmask_b32_e64 v25, 0, -1, vcc_lo
	s_delay_alu instid0(VALU_DEP_2)
	v_cmp_le_u32_e32 vcc_lo, s57, v22
	s_wait_alu 0xfffd
	v_cndmask_b32_e64 v26, 0, -1, vcc_lo
	v_cmp_le_u32_e32 vcc_lo, s56, v14
	s_wait_alu 0xfffd
	v_cndmask_b32_e64 v14, 0, -1, vcc_lo
	;; [unrolled: 3-line block ×3, first 2 shown]
	v_cmp_eq_u32_e32 vcc_lo, s57, v22
	s_wait_alu 0xfffd
	v_cndmask_b32_e32 v22, v26, v25, vcc_lo
	v_add_co_u32 v25, vcc_lo, v16, 1
	s_wait_alu 0xfffd
	v_add_co_ci_u32_e64 v26, null, 0, v17, vcc_lo
	v_cmp_eq_u32_e32 vcc_lo, s57, v15
	s_wait_alu 0xfffd
	v_cndmask_b32_e32 v14, v27, v14, vcc_lo
	v_cmp_ne_u32_e32 vcc_lo, 0, v22
	s_wait_alu 0xfffd
	v_cndmask_b32_e32 v15, v26, v24, vcc_lo
	s_delay_alu instid0(VALU_DEP_3) | instskip(SKIP_2) | instid1(VALU_DEP_2)
	v_cmp_ne_u32_e64 s0, 0, v14
	v_cndmask_b32_e32 v14, v25, v23, vcc_lo
	s_wait_alu 0xf1ff
	v_cndmask_b32_e64 v15, v17, v15, s0
	s_delay_alu instid0(VALU_DEP_2) | instskip(NEXT) | instid1(VALU_DEP_2)
	v_cndmask_b32_e64 v14, v16, v14, s0
	v_xor_b32_e32 v15, v15, v3
	s_delay_alu instid0(VALU_DEP_2) | instskip(NEXT) | instid1(VALU_DEP_1)
	v_xor_b32_e32 v14, v14, v3
	v_sub_co_u32 v14, vcc_lo, v14, v3
	s_wait_alu 0xfffd
	s_delay_alu instid0(VALU_DEP_3)
	v_sub_co_ci_u32_e64 v15, null, v15, v3, vcc_lo
.LBB86_32:                              ;   in Loop: Header=BB86_22 Depth=2
	s_wait_alu 0xfffe
	s_and_not1_saveexec_b32 s0, s1
	s_cbranch_execz .LBB86_34
; %bb.33:                               ;   in Loop: Header=BB86_22 Depth=2
	v_cvt_f32_u32_e32 v3, s52
	s_sub_co_i32 s1, 0, s52
	s_delay_alu instid0(VALU_DEP_1) | instskip(NEXT) | instid1(TRANS32_DEP_1)
	v_rcp_iflag_f32_e32 v3, v3
	v_mul_f32_e32 v3, 0x4f7ffffe, v3
	s_delay_alu instid0(VALU_DEP_1) | instskip(SKIP_1) | instid1(VALU_DEP_1)
	v_cvt_u32_f32_e32 v3, v3
	s_wait_alu 0xfffe
	v_mul_lo_u32 v14, s1, v3
	s_delay_alu instid0(VALU_DEP_1) | instskip(NEXT) | instid1(VALU_DEP_1)
	v_mul_hi_u32 v14, v3, v14
	v_add_nc_u32_e32 v3, v3, v14
	s_delay_alu instid0(VALU_DEP_1) | instskip(NEXT) | instid1(VALU_DEP_1)
	v_mul_hi_u32 v3, v12, v3
	v_mul_lo_u32 v14, v3, s52
	v_add_nc_u32_e32 v15, 1, v3
	s_delay_alu instid0(VALU_DEP_2) | instskip(NEXT) | instid1(VALU_DEP_1)
	v_sub_nc_u32_e32 v14, v12, v14
	v_subrev_nc_u32_e32 v16, s52, v14
	v_cmp_le_u32_e32 vcc_lo, s52, v14
	s_wait_alu 0xfffd
	s_delay_alu instid0(VALU_DEP_2) | instskip(NEXT) | instid1(VALU_DEP_1)
	v_dual_cndmask_b32 v14, v14, v16 :: v_dual_cndmask_b32 v3, v3, v15
	v_cmp_le_u32_e32 vcc_lo, s52, v14
	s_delay_alu instid0(VALU_DEP_2) | instskip(SKIP_1) | instid1(VALU_DEP_1)
	v_add_nc_u32_e32 v15, 1, v3
	s_wait_alu 0xfffd
	v_dual_cndmask_b32 v14, v3, v15 :: v_dual_mov_b32 v15, v2
.LBB86_34:                              ;   in Loop: Header=BB86_22 Depth=2
	s_wait_alu 0xfffe
	s_or_b32 exec_lo, exec_lo, s0
	s_load_b64 s[56:57], s[40:41], 0x0
	s_load_b64 s[54:55], s[38:39], 0x8
                                        ; implicit-def: $vgpr16_vgpr17
	s_mov_b32 s0, exec_lo
	s_wait_kmcnt 0x0
	v_or_b32_e32 v3, s57, v15
	s_delay_alu instid0(VALU_DEP_1)
	v_cmpx_ne_u64_e32 0, v[2:3]
	s_wait_alu 0xfffe
	s_xor_b32 s1, exec_lo, s0
	s_cbranch_execz .LBB86_36
; %bb.35:                               ;   in Loop: Header=BB86_22 Depth=2
	s_ashr_i32 s58, s57, 31
	v_ashrrev_i32_e32 v3, 31, v15
	s_wait_alu 0xfffe
	s_mov_b32 s59, s58
	s_wait_alu 0xfffe
	s_add_nc_u64 s[60:61], s[56:57], s[58:59]
	v_add_co_u32 v16, vcc_lo, v14, v3
	s_wait_alu 0xfffe
	s_xor_b64 s[60:61], s[60:61], s[58:59]
	s_wait_alu 0xfffd
	v_add_co_ci_u32_e64 v17, null, v15, v3, vcc_lo
	s_wait_alu 0xfffe
	s_cvt_f32_u32 s0, s60
	s_cvt_f32_u32 s14, s61
	s_sub_nc_u64 s[68:69], 0, s[60:61]
	v_xor_b32_e32 v26, v16, v3
	v_xor_b32_e32 v27, v17, v3
	s_wait_alu 0xfffe
	s_fmamk_f32 s0, s14, 0x4f800000, s0
	v_xor_b32_e32 v3, s58, v3
	s_wait_alu 0xfffe
	s_delay_alu instid0(SALU_CYCLE_1) | instskip(NEXT) | instid1(TRANS32_DEP_1)
	v_s_rcp_f32 s0, s0
	s_mul_f32 s0, s0, 0x5f7ffffc
	s_wait_alu 0xfffe
	s_delay_alu instid0(SALU_CYCLE_2) | instskip(SKIP_1) | instid1(SALU_CYCLE_2)
	s_mul_f32 s14, s0, 0x2f800000
	s_wait_alu 0xfffe
	s_trunc_f32 s14, s14
	s_wait_alu 0xfffe
	s_delay_alu instid0(SALU_CYCLE_2) | instskip(SKIP_2) | instid1(SALU_CYCLE_1)
	s_fmamk_f32 s0, s14, 0xcf800000, s0
	s_cvt_u32_f32 s67, s14
	s_wait_alu 0xfffe
	s_cvt_u32_f32 s66, s0
	s_delay_alu instid0(SALU_CYCLE_3) | instskip(NEXT) | instid1(SALU_CYCLE_1)
	s_mul_u64 s[70:71], s[68:69], s[66:67]
	s_mul_hi_u32 s73, s66, s71
	s_mul_i32 s72, s66, s71
	s_mul_hi_u32 s14, s66, s70
	s_mul_i32 s59, s67, s70
	s_wait_alu 0xfffe
	s_add_nc_u64 s[72:73], s[14:15], s[72:73]
	s_mul_hi_u32 s0, s67, s70
	s_mul_hi_u32 s74, s67, s71
	s_add_co_u32 s14, s72, s59
	s_wait_alu 0xfffe
	s_add_co_ci_u32 s14, s73, s0
	s_mul_i32 s70, s67, s71
	s_add_co_ci_u32 s71, s74, 0
	s_wait_alu 0xfffe
	s_add_nc_u64 s[70:71], s[14:15], s[70:71]
	s_delay_alu instid0(SALU_CYCLE_1) | instskip(SKIP_4) | instid1(SALU_CYCLE_1)
	s_add_co_u32 s66, s66, s70
	s_cselect_b32 s0, -1, 0
	s_wait_alu 0xfffe
	s_cmp_lg_u32 s0, 0
	s_add_co_ci_u32 s67, s67, s71
	s_mul_u64 s[68:69], s[68:69], s[66:67]
	s_delay_alu instid0(SALU_CYCLE_1)
	s_mul_hi_u32 s71, s66, s69
	s_mul_i32 s70, s66, s69
	s_mul_hi_u32 s14, s66, s68
	s_mul_i32 s59, s67, s68
	s_wait_alu 0xfffe
	s_add_nc_u64 s[70:71], s[14:15], s[70:71]
	s_mul_hi_u32 s0, s67, s68
	s_mul_hi_u32 s72, s67, s69
	s_add_co_u32 s14, s70, s59
	s_wait_alu 0xfffe
	s_add_co_ci_u32 s14, s71, s0
	s_mul_i32 s68, s67, s69
	s_add_co_ci_u32 s69, s72, 0
	s_wait_alu 0xfffe
	s_add_nc_u64 s[68:69], s[14:15], s[68:69]
	s_delay_alu instid0(SALU_CYCLE_1)
	s_add_co_u32 s0, s66, s68
	s_cselect_b32 s14, -1, 0
	s_wait_alu 0xfffe
	v_mul_hi_u32 v28, v26, s0
	s_cmp_lg_u32 s14, 0
	v_mad_co_u64_u32 v[22:23], null, v27, s0, 0
	s_add_co_ci_u32 s14, s67, s69
	s_wait_alu 0xfffe
	v_mad_co_u64_u32 v[16:17], null, v26, s14, 0
	v_mad_co_u64_u32 v[24:25], null, v27, s14, 0
	s_delay_alu instid0(VALU_DEP_2) | instskip(SKIP_1) | instid1(VALU_DEP_3)
	v_add_co_u32 v16, vcc_lo, v28, v16
	s_wait_alu 0xfffd
	v_add_co_ci_u32_e64 v17, null, 0, v17, vcc_lo
	s_delay_alu instid0(VALU_DEP_2) | instskip(SKIP_1) | instid1(VALU_DEP_2)
	v_add_co_u32 v16, vcc_lo, v16, v22
	s_wait_alu 0xfffd
	v_add_co_ci_u32_e32 v16, vcc_lo, v17, v23, vcc_lo
	s_wait_alu 0xfffd
	v_add_co_ci_u32_e32 v17, vcc_lo, 0, v25, vcc_lo
	s_delay_alu instid0(VALU_DEP_2) | instskip(SKIP_1) | instid1(VALU_DEP_2)
	v_add_co_u32 v22, vcc_lo, v16, v24
	s_wait_alu 0xfffd
	v_add_co_ci_u32_e64 v23, null, 0, v17, vcc_lo
	s_delay_alu instid0(VALU_DEP_2) | instskip(SKIP_1) | instid1(VALU_DEP_3)
	v_mul_lo_u32 v24, s61, v22
	v_mad_co_u64_u32 v[16:17], null, s60, v22, 0
	v_mul_lo_u32 v25, s60, v23
	s_delay_alu instid0(VALU_DEP_2) | instskip(NEXT) | instid1(VALU_DEP_2)
	v_sub_co_u32 v16, vcc_lo, v26, v16
	v_add3_u32 v17, v17, v25, v24
	v_add_co_u32 v25, s0, v22, 2
	s_wait_alu 0xf1ff
	v_add_co_ci_u32_e64 v26, null, 0, v23, s0
	s_delay_alu instid0(VALU_DEP_3) | instskip(SKIP_3) | instid1(VALU_DEP_3)
	v_sub_nc_u32_e32 v24, v27, v17
	v_sub_co_u32 v28, s0, v16, s60
	s_wait_alu 0xfffd
	v_sub_co_ci_u32_e64 v17, null, v27, v17, vcc_lo
	v_subrev_co_ci_u32_e64 v24, null, s61, v24, vcc_lo
	s_delay_alu instid0(VALU_DEP_3) | instskip(SKIP_1) | instid1(VALU_DEP_2)
	v_cmp_le_u32_e32 vcc_lo, s60, v28
	s_wait_alu 0xf1ff
	v_subrev_co_ci_u32_e64 v24, null, 0, v24, s0
	s_wait_alu 0xfffd
	v_cndmask_b32_e64 v27, 0, -1, vcc_lo
	s_delay_alu instid0(VALU_DEP_2)
	v_cmp_le_u32_e32 vcc_lo, s61, v24
	s_wait_alu 0xfffd
	v_cndmask_b32_e64 v28, 0, -1, vcc_lo
	v_cmp_le_u32_e32 vcc_lo, s60, v16
	s_wait_alu 0xfffd
	v_cndmask_b32_e64 v16, 0, -1, vcc_lo
	;; [unrolled: 3-line block ×3, first 2 shown]
	v_cmp_eq_u32_e32 vcc_lo, s61, v24
	s_wait_alu 0xfffd
	v_cndmask_b32_e32 v24, v28, v27, vcc_lo
	v_add_co_u32 v27, vcc_lo, v22, 1
	s_wait_alu 0xfffd
	v_add_co_ci_u32_e64 v28, null, 0, v23, vcc_lo
	v_cmp_eq_u32_e32 vcc_lo, s61, v17
	s_wait_alu 0xfffd
	v_cndmask_b32_e32 v16, v29, v16, vcc_lo
	v_cmp_ne_u32_e32 vcc_lo, 0, v24
	s_wait_alu 0xfffd
	v_cndmask_b32_e32 v17, v28, v26, vcc_lo
	s_delay_alu instid0(VALU_DEP_3) | instskip(SKIP_2) | instid1(VALU_DEP_2)
	v_cmp_ne_u32_e64 s0, 0, v16
	v_cndmask_b32_e32 v16, v27, v25, vcc_lo
	s_wait_alu 0xf1ff
	v_cndmask_b32_e64 v17, v23, v17, s0
	s_delay_alu instid0(VALU_DEP_2) | instskip(NEXT) | instid1(VALU_DEP_2)
	v_cndmask_b32_e64 v16, v22, v16, s0
	v_xor_b32_e32 v17, v17, v3
	s_delay_alu instid0(VALU_DEP_2) | instskip(NEXT) | instid1(VALU_DEP_1)
	v_xor_b32_e32 v16, v16, v3
	v_sub_co_u32 v16, vcc_lo, v16, v3
	s_wait_alu 0xfffd
	s_delay_alu instid0(VALU_DEP_3)
	v_sub_co_ci_u32_e64 v17, null, v17, v3, vcc_lo
.LBB86_36:                              ;   in Loop: Header=BB86_22 Depth=2
	s_wait_alu 0xfffe
	s_and_not1_saveexec_b32 s0, s1
	s_cbranch_execz .LBB86_21
; %bb.37:                               ;   in Loop: Header=BB86_22 Depth=2
	v_cvt_f32_u32_e32 v3, s56
	s_sub_co_i32 s1, 0, s56
	s_delay_alu instid0(VALU_DEP_1) | instskip(NEXT) | instid1(TRANS32_DEP_1)
	v_rcp_iflag_f32_e32 v3, v3
	v_mul_f32_e32 v3, 0x4f7ffffe, v3
	s_delay_alu instid0(VALU_DEP_1) | instskip(SKIP_1) | instid1(VALU_DEP_1)
	v_cvt_u32_f32_e32 v3, v3
	s_wait_alu 0xfffe
	v_mul_lo_u32 v16, s1, v3
	s_delay_alu instid0(VALU_DEP_1) | instskip(NEXT) | instid1(VALU_DEP_1)
	v_mul_hi_u32 v16, v3, v16
	v_add_nc_u32_e32 v3, v3, v16
	s_delay_alu instid0(VALU_DEP_1) | instskip(NEXT) | instid1(VALU_DEP_1)
	v_mul_hi_u32 v3, v14, v3
	v_mul_lo_u32 v16, v3, s56
	v_add_nc_u32_e32 v17, 1, v3
	s_delay_alu instid0(VALU_DEP_2) | instskip(NEXT) | instid1(VALU_DEP_1)
	v_sub_nc_u32_e32 v16, v14, v16
	v_subrev_nc_u32_e32 v22, s56, v16
	v_cmp_le_u32_e32 vcc_lo, s56, v16
	s_wait_alu 0xfffd
	s_delay_alu instid0(VALU_DEP_2) | instskip(NEXT) | instid1(VALU_DEP_1)
	v_dual_cndmask_b32 v16, v16, v22 :: v_dual_cndmask_b32 v3, v3, v17
	v_cmp_le_u32_e32 vcc_lo, s56, v16
	s_delay_alu instid0(VALU_DEP_2) | instskip(SKIP_1) | instid1(VALU_DEP_1)
	v_add_nc_u32_e32 v17, 1, v3
	s_wait_alu 0xfffd
	v_dual_cndmask_b32 v16, v3, v17 :: v_dual_mov_b32 v17, v2
	s_branch .LBB86_21
.LBB86_38:                              ;   in Loop: Header=BB86_3 Depth=1
	s_load_b64 s[0:1], s[24:25], 0x0
	s_wait_kmcnt 0x0
	v_cmp_gt_i64_e32 vcc_lo, s[0:1], v[4:5]
	s_and_b32 exec_lo, exec_lo, vcc_lo
	s_cbranch_execz .LBB86_2
; %bb.39:                               ;   in Loop: Header=BB86_3 Depth=1
	v_add_co_u32 v3, vcc_lo, v4, 1
	s_wait_alu 0xfffd
	v_add_co_ci_u32_e64 v4, null, 0, v5, vcc_lo
	v_lshlrev_b64_e32 v[5:6], 3, v[6:7]
	s_delay_alu instid0(VALU_DEP_3) | instskip(SKIP_1) | instid1(VALU_DEP_3)
	v_sub_co_u32 v8, vcc_lo, v3, v20
	s_wait_alu 0xfffd
	v_sub_co_ci_u32_e64 v9, null, v4, v21, vcc_lo
	v_cmp_gt_i64_e32 vcc_lo, s[0:1], v[3:4]
	s_delay_alu instid0(VALU_DEP_4) | instskip(NEXT) | instid1(VALU_DEP_3)
	v_add_co_u32 v4, s1, s10, v5
	v_cmp_gt_i64_e64 s0, s[4:5], v[8:9]
	s_wait_alu 0xf1ff
	v_add_co_ci_u32_e64 v5, null, s11, v6, s1
	v_mov_b32_e32 v3, v2
	s_delay_alu instid0(VALU_DEP_3)
	s_and_b32 s0, vcc_lo, s0
	global_store_b64 v[4:5], v[2:3], off
	s_wait_alu 0xfffe
	s_and_b32 exec_lo, exec_lo, s0
	s_cbranch_execz .LBB86_2
; %bb.40:                               ;   in Loop: Header=BB86_3 Depth=1
	s_lshl_b64 s[0:1], s[2:3], 3
	s_wait_alu 0xfffe
	v_add_co_u32 v4, vcc_lo, v4, s0
	s_wait_alu 0xfffd
	v_add_co_ci_u32_e64 v5, null, s1, v5, vcc_lo
	global_store_b64 v[4:5], v[2:3], off
	s_branch .LBB86_2
.LBB86_41:
	s_endpgm
	.section	.rodata,"a",@progbits
	.p2align	6, 0x0
	.amdhsa_kernel _ZN2at6native16triu_tril_kernelIN3c107complexIfEElLb1ELi2ELb1EEEvNS_4cuda6detail10TensorInfoIT_T0_EENS7_IKS8_S9_EEllS9_
		.amdhsa_group_segment_fixed_size 0
		.amdhsa_private_segment_fixed_size 0
		.amdhsa_kernarg_size 1112
		.amdhsa_user_sgpr_count 2
		.amdhsa_user_sgpr_dispatch_ptr 0
		.amdhsa_user_sgpr_queue_ptr 0
		.amdhsa_user_sgpr_kernarg_segment_ptr 1
		.amdhsa_user_sgpr_dispatch_id 0
		.amdhsa_user_sgpr_private_segment_size 0
		.amdhsa_wavefront_size32 1
		.amdhsa_uses_dynamic_stack 0
		.amdhsa_enable_private_segment 0
		.amdhsa_system_sgpr_workgroup_id_x 1
		.amdhsa_system_sgpr_workgroup_id_y 0
		.amdhsa_system_sgpr_workgroup_id_z 0
		.amdhsa_system_sgpr_workgroup_info 0
		.amdhsa_system_vgpr_workitem_id 0
		.amdhsa_next_free_vgpr 30
		.amdhsa_next_free_sgpr 75
		.amdhsa_reserve_vcc 1
		.amdhsa_float_round_mode_32 0
		.amdhsa_float_round_mode_16_64 0
		.amdhsa_float_denorm_mode_32 3
		.amdhsa_float_denorm_mode_16_64 3
		.amdhsa_fp16_overflow 0
		.amdhsa_workgroup_processor_mode 1
		.amdhsa_memory_ordered 1
		.amdhsa_forward_progress 1
		.amdhsa_inst_pref_size 65
		.amdhsa_round_robin_scheduling 0
		.amdhsa_exception_fp_ieee_invalid_op 0
		.amdhsa_exception_fp_denorm_src 0
		.amdhsa_exception_fp_ieee_div_zero 0
		.amdhsa_exception_fp_ieee_overflow 0
		.amdhsa_exception_fp_ieee_underflow 0
		.amdhsa_exception_fp_ieee_inexact 0
		.amdhsa_exception_int_div_zero 0
	.end_amdhsa_kernel
	.section	.text._ZN2at6native16triu_tril_kernelIN3c107complexIfEElLb1ELi2ELb1EEEvNS_4cuda6detail10TensorInfoIT_T0_EENS7_IKS8_S9_EEllS9_,"axG",@progbits,_ZN2at6native16triu_tril_kernelIN3c107complexIfEElLb1ELi2ELb1EEEvNS_4cuda6detail10TensorInfoIT_T0_EENS7_IKS8_S9_EEllS9_,comdat
.Lfunc_end86:
	.size	_ZN2at6native16triu_tril_kernelIN3c107complexIfEElLb1ELi2ELb1EEEvNS_4cuda6detail10TensorInfoIT_T0_EENS7_IKS8_S9_EEllS9_, .Lfunc_end86-_ZN2at6native16triu_tril_kernelIN3c107complexIfEElLb1ELi2ELb1EEEvNS_4cuda6detail10TensorInfoIT_T0_EENS7_IKS8_S9_EEllS9_
                                        ; -- End function
	.set _ZN2at6native16triu_tril_kernelIN3c107complexIfEElLb1ELi2ELb1EEEvNS_4cuda6detail10TensorInfoIT_T0_EENS7_IKS8_S9_EEllS9_.num_vgpr, 30
	.set _ZN2at6native16triu_tril_kernelIN3c107complexIfEElLb1ELi2ELb1EEEvNS_4cuda6detail10TensorInfoIT_T0_EENS7_IKS8_S9_EEllS9_.num_agpr, 0
	.set _ZN2at6native16triu_tril_kernelIN3c107complexIfEElLb1ELi2ELb1EEEvNS_4cuda6detail10TensorInfoIT_T0_EENS7_IKS8_S9_EEllS9_.numbered_sgpr, 75
	.set _ZN2at6native16triu_tril_kernelIN3c107complexIfEElLb1ELi2ELb1EEEvNS_4cuda6detail10TensorInfoIT_T0_EENS7_IKS8_S9_EEllS9_.num_named_barrier, 0
	.set _ZN2at6native16triu_tril_kernelIN3c107complexIfEElLb1ELi2ELb1EEEvNS_4cuda6detail10TensorInfoIT_T0_EENS7_IKS8_S9_EEllS9_.private_seg_size, 0
	.set _ZN2at6native16triu_tril_kernelIN3c107complexIfEElLb1ELi2ELb1EEEvNS_4cuda6detail10TensorInfoIT_T0_EENS7_IKS8_S9_EEllS9_.uses_vcc, 1
	.set _ZN2at6native16triu_tril_kernelIN3c107complexIfEElLb1ELi2ELb1EEEvNS_4cuda6detail10TensorInfoIT_T0_EENS7_IKS8_S9_EEllS9_.uses_flat_scratch, 0
	.set _ZN2at6native16triu_tril_kernelIN3c107complexIfEElLb1ELi2ELb1EEEvNS_4cuda6detail10TensorInfoIT_T0_EENS7_IKS8_S9_EEllS9_.has_dyn_sized_stack, 0
	.set _ZN2at6native16triu_tril_kernelIN3c107complexIfEElLb1ELi2ELb1EEEvNS_4cuda6detail10TensorInfoIT_T0_EENS7_IKS8_S9_EEllS9_.has_recursion, 0
	.set _ZN2at6native16triu_tril_kernelIN3c107complexIfEElLb1ELi2ELb1EEEvNS_4cuda6detail10TensorInfoIT_T0_EENS7_IKS8_S9_EEllS9_.has_indirect_call, 0
	.section	.AMDGPU.csdata,"",@progbits
; Kernel info:
; codeLenInByte = 8320
; TotalNumSgprs: 77
; NumVgprs: 30
; ScratchSize: 0
; MemoryBound: 0
; FloatMode: 240
; IeeeMode: 1
; LDSByteSize: 0 bytes/workgroup (compile time only)
; SGPRBlocks: 0
; VGPRBlocks: 3
; NumSGPRsForWavesPerEU: 77
; NumVGPRsForWavesPerEU: 30
; Occupancy: 16
; WaveLimiterHint : 0
; COMPUTE_PGM_RSRC2:SCRATCH_EN: 0
; COMPUTE_PGM_RSRC2:USER_SGPR: 2
; COMPUTE_PGM_RSRC2:TRAP_HANDLER: 0
; COMPUTE_PGM_RSRC2:TGID_X_EN: 1
; COMPUTE_PGM_RSRC2:TGID_Y_EN: 0
; COMPUTE_PGM_RSRC2:TGID_Z_EN: 0
; COMPUTE_PGM_RSRC2:TIDIG_COMP_CNT: 0
	.section	.text._ZN2at6native16triu_tril_kernelIN3c107complexIfEElLb1ELi2ELb0EEEvNS_4cuda6detail10TensorInfoIT_T0_EENS7_IKS8_S9_EEllS9_,"axG",@progbits,_ZN2at6native16triu_tril_kernelIN3c107complexIfEElLb1ELi2ELb0EEEvNS_4cuda6detail10TensorInfoIT_T0_EENS7_IKS8_S9_EEllS9_,comdat
	.protected	_ZN2at6native16triu_tril_kernelIN3c107complexIfEElLb1ELi2ELb0EEEvNS_4cuda6detail10TensorInfoIT_T0_EENS7_IKS8_S9_EEllS9_ ; -- Begin function _ZN2at6native16triu_tril_kernelIN3c107complexIfEElLb1ELi2ELb0EEEvNS_4cuda6detail10TensorInfoIT_T0_EENS7_IKS8_S9_EEllS9_
	.globl	_ZN2at6native16triu_tril_kernelIN3c107complexIfEElLb1ELi2ELb0EEEvNS_4cuda6detail10TensorInfoIT_T0_EENS7_IKS8_S9_EEllS9_
	.p2align	8
	.type	_ZN2at6native16triu_tril_kernelIN3c107complexIfEElLb1ELi2ELb0EEEvNS_4cuda6detail10TensorInfoIT_T0_EENS7_IKS8_S9_EEllS9_,@function
_ZN2at6native16triu_tril_kernelIN3c107complexIfEElLb1ELi2ELb0EEEvNS_4cuda6detail10TensorInfoIT_T0_EENS7_IKS8_S9_EEllS9_: ; @_ZN2at6native16triu_tril_kernelIN3c107complexIfEElLb1ELi2ELb0EEEvNS_4cuda6detail10TensorInfoIT_T0_EENS7_IKS8_S9_EEllS9_
; %bb.0:
	s_clause 0x1
	s_load_b32 s2, s[0:1], 0x364
	s_load_b128 s[4:7], s[0:1], 0x340
	v_mov_b32_e32 v2, 0
	s_delay_alu instid0(VALU_DEP_1) | instskip(SKIP_3) | instid1(VALU_DEP_1)
	v_mov_b32_e32 v1, v2
	s_wait_kmcnt 0x0
	s_and_b32 s16, s2, 0xffff
	s_mov_b32 s2, exec_lo
	v_mad_co_u64_u32 v[0:1], null, s16, ttmp9, v[0:1]
	s_delay_alu instid0(VALU_DEP_1) | instskip(NEXT) | instid1(VALU_DEP_1)
	v_lshlrev_b64_e32 v[0:1], 1, v[0:1]
	v_cmpx_gt_i64_e64 s[6:7], v[0:1]
	s_cbranch_execz .LBB87_38
; %bb.1:
	s_clause 0x1
	s_load_b32 s38, s[0:1], 0x338
	s_load_b64 s[2:3], s[0:1], 0x1a0
	s_add_nc_u64 s[20:21], s[0:1], 0x1a0
	s_load_b64 s[22:23], s[0:1], 0x350
	s_add_nc_u64 s[14:15], s[0:1], 0x358
	s_mov_b32 s27, 0
	s_mov_b32 s63, 0
	s_wait_kmcnt 0x0
	s_ashr_i32 s39, s38, 31
	s_add_co_i32 s28, s38, -3
	s_lshl_b64 s[18:19], s[38:39], 3
	s_ashr_i32 s29, s28, 31
	s_add_nc_u64 s[12:13], s[20:21], s[18:19]
	v_cmp_gt_i64_e64 s62, s[38:39], 2
	s_add_nc_u64 s[8:9], s[12:13], -8
	s_add_nc_u64 s[30:31], s[28:29], -1
	s_load_b128 s[8:11], s[8:9], 0x0
	s_load_b32 s17, s[14:15], 0x0
	s_clause 0x1
	s_load_b64 s[24:25], s[0:1], 0x0
	s_load_b128 s[12:15], s[12:13], 0xc0
	v_cvt_f32_u32_e32 v3, s22
	s_add_nc_u64 s[38:39], s[0:1], 0xc8
	s_delay_alu instid0(VALU_DEP_1)
	v_rcp_iflag_f32_e32 v3, v3
	s_wait_kmcnt 0x0
	v_cvt_f32_u32_e32 v4, s8
	s_mul_i32 s26, s17, s16
	s_add_nc_u64 s[16:17], s[0:1], s[18:19]
	s_lshl_b32 s33, s26, 1
	s_load_b128 s[16:19], s[16:17], 0xc0
	v_rcp_iflag_f32_e32 v4, v4
	s_delay_alu instid0(TRANS32_DEP_2)
	v_mul_f32_e32 v3, 0x4f7ffffe, v3
	s_bitcmp0_b32 s28, 0
	s_cselect_b32 s60, -1, 0
	s_lshl_b64 s[36:37], s[28:29], 3
	s_cmp_lg_u32 s28, 0
	s_add_nc_u64 s[34:35], s[20:21], s[36:37]
	s_add_nc_u64 s[36:37], s[0:1], s[36:37]
	s_cselect_b32 s61, -1, 0
	s_delay_alu instid0(TRANS32_DEP_1) | instskip(SKIP_2) | instid1(VALU_DEP_2)
	v_mul_f32_e32 v4, 0x4f7ffffe, v4
	v_cvt_u32_f32_e32 v18, v3
	s_ashr_i32 s40, s23, 31
	v_cvt_u32_f32_e32 v19, v4
	s_branch .LBB87_3
.LBB87_2:                               ;   in Loop: Header=BB87_3 Depth=1
	s_wait_alu 0xfffe
	s_or_b32 exec_lo, exec_lo, s0
	v_add_co_u32 v0, vcc_lo, v0, s33
	s_wait_alu 0xfffd
	v_add_co_ci_u32_e64 v1, null, 0, v1, vcc_lo
	s_delay_alu instid0(VALU_DEP_1) | instskip(SKIP_1) | instid1(SALU_CYCLE_1)
	v_cmp_le_i64_e32 vcc_lo, s[6:7], v[0:1]
	s_or_b32 s63, vcc_lo, s63
	s_and_not1_b32 exec_lo, exec_lo, s63
	s_cbranch_execz .LBB87_38
.LBB87_3:                               ; =>This Loop Header: Depth=1
                                        ;     Child Loop BB87_21 Depth 2
	v_or_b32_e32 v3, s23, v1
                                        ; implicit-def: $vgpr6_vgpr7
	s_mov_b32 s0, exec_lo
	s_delay_alu instid0(VALU_DEP_1)
	v_cmpx_ne_u64_e32 0, v[2:3]
	s_wait_alu 0xfffe
	s_xor_b32 s1, exec_lo, s0
	s_cbranch_execz .LBB87_5
; %bb.4:                                ;   in Loop: Header=BB87_3 Depth=1
	s_mov_b32 s41, s40
	v_ashrrev_i32_e32 v9, 31, v1
	s_wait_alu 0xfffe
	s_add_nc_u64 s[42:43], s[22:23], s[40:41]
	s_wait_alu 0xfffe
	s_xor_b64 s[42:43], s[42:43], s[40:41]
	v_add_co_u32 v3, vcc_lo, v0, v9
	s_wait_alu 0xfffe
	s_cvt_f32_u32 s0, s42
	s_cvt_f32_u32 s26, s43
	s_sub_nc_u64 s[46:47], 0, s[42:43]
	s_wait_alu 0xfffd
	v_add_co_ci_u32_e64 v4, null, v1, v9, vcc_lo
	s_wait_alu 0xfffe
	s_fmamk_f32 s0, s26, 0x4f800000, s0
	v_xor_b32_e32 v10, v3, v9
	s_delay_alu instid0(VALU_DEP_2) | instskip(SKIP_2) | instid1(TRANS32_DEP_1)
	v_xor_b32_e32 v11, v4, v9
	s_wait_alu 0xfffe
	v_s_rcp_f32 s0, s0
	s_mul_f32 s0, s0, 0x5f7ffffc
	s_wait_alu 0xfffe
	s_delay_alu instid0(SALU_CYCLE_2) | instskip(SKIP_1) | instid1(SALU_CYCLE_2)
	s_mul_f32 s26, s0, 0x2f800000
	s_wait_alu 0xfffe
	s_trunc_f32 s26, s26
	s_wait_alu 0xfffe
	s_delay_alu instid0(SALU_CYCLE_2) | instskip(SKIP_2) | instid1(SALU_CYCLE_1)
	s_fmamk_f32 s0, s26, 0xcf800000, s0
	s_cvt_u32_f32 s45, s26
	s_wait_alu 0xfffe
	s_cvt_u32_f32 s44, s0
	s_wait_alu 0xfffe
	s_delay_alu instid0(SALU_CYCLE_2)
	s_mul_u64 s[48:49], s[46:47], s[44:45]
	s_wait_alu 0xfffe
	s_mul_hi_u32 s51, s44, s49
	s_mul_i32 s50, s44, s49
	s_mul_hi_u32 s26, s44, s48
	s_mul_i32 s41, s45, s48
	s_wait_alu 0xfffe
	s_add_nc_u64 s[50:51], s[26:27], s[50:51]
	s_mul_hi_u32 s0, s45, s48
	s_mul_hi_u32 s52, s45, s49
	s_wait_alu 0xfffe
	s_add_co_u32 s26, s50, s41
	s_add_co_ci_u32 s26, s51, s0
	s_mul_i32 s48, s45, s49
	s_add_co_ci_u32 s49, s52, 0
	s_wait_alu 0xfffe
	s_add_nc_u64 s[48:49], s[26:27], s[48:49]
	s_wait_alu 0xfffe
	s_add_co_u32 s44, s44, s48
	s_cselect_b32 s0, -1, 0
	s_wait_alu 0xfffe
	s_cmp_lg_u32 s0, 0
	s_add_co_ci_u32 s45, s45, s49
	s_wait_alu 0xfffe
	s_mul_u64 s[46:47], s[46:47], s[44:45]
	s_wait_alu 0xfffe
	s_mul_hi_u32 s49, s44, s47
	s_mul_i32 s48, s44, s47
	s_mul_hi_u32 s26, s44, s46
	s_mul_i32 s41, s45, s46
	s_wait_alu 0xfffe
	s_add_nc_u64 s[48:49], s[26:27], s[48:49]
	s_mul_hi_u32 s0, s45, s46
	s_mul_hi_u32 s50, s45, s47
	s_wait_alu 0xfffe
	s_add_co_u32 s26, s48, s41
	s_add_co_ci_u32 s26, s49, s0
	s_mul_i32 s46, s45, s47
	s_add_co_ci_u32 s47, s50, 0
	s_wait_alu 0xfffe
	s_add_nc_u64 s[46:47], s[26:27], s[46:47]
	s_wait_alu 0xfffe
	s_add_co_u32 s0, s44, s46
	s_cselect_b32 s26, -1, 0
	s_wait_alu 0xfffe
	v_mul_hi_u32 v12, v10, s0
	s_cmp_lg_u32 s26, 0
	v_mad_co_u64_u32 v[5:6], null, v11, s0, 0
	s_add_co_ci_u32 s26, s45, s47
	s_wait_alu 0xfffe
	v_mad_co_u64_u32 v[3:4], null, v10, s26, 0
	v_mad_co_u64_u32 v[7:8], null, v11, s26, 0
	s_delay_alu instid0(VALU_DEP_2) | instskip(SKIP_1) | instid1(VALU_DEP_3)
	v_add_co_u32 v3, vcc_lo, v12, v3
	s_wait_alu 0xfffd
	v_add_co_ci_u32_e64 v4, null, 0, v4, vcc_lo
	s_delay_alu instid0(VALU_DEP_2) | instskip(SKIP_1) | instid1(VALU_DEP_2)
	v_add_co_u32 v3, vcc_lo, v3, v5
	s_wait_alu 0xfffd
	v_add_co_ci_u32_e32 v3, vcc_lo, v4, v6, vcc_lo
	s_wait_alu 0xfffd
	v_add_co_ci_u32_e32 v4, vcc_lo, 0, v8, vcc_lo
	s_delay_alu instid0(VALU_DEP_2) | instskip(SKIP_1) | instid1(VALU_DEP_2)
	v_add_co_u32 v5, vcc_lo, v3, v7
	s_wait_alu 0xfffd
	v_add_co_ci_u32_e64 v6, null, 0, v4, vcc_lo
	s_delay_alu instid0(VALU_DEP_2) | instskip(SKIP_1) | instid1(VALU_DEP_3)
	v_mul_lo_u32 v7, s43, v5
	v_mad_co_u64_u32 v[3:4], null, s42, v5, 0
	v_mul_lo_u32 v8, s42, v6
	s_delay_alu instid0(VALU_DEP_2) | instskip(NEXT) | instid1(VALU_DEP_2)
	v_sub_co_u32 v3, vcc_lo, v10, v3
	v_add3_u32 v4, v4, v8, v7
	v_add_co_u32 v8, s0, v5, 2
	s_wait_alu 0xf1ff
	v_add_co_ci_u32_e64 v10, null, 0, v6, s0
	s_delay_alu instid0(VALU_DEP_3) | instskip(SKIP_3) | instid1(VALU_DEP_3)
	v_sub_nc_u32_e32 v7, v11, v4
	v_sub_co_u32 v12, s0, v3, s42
	s_wait_alu 0xfffd
	v_sub_co_ci_u32_e64 v4, null, v11, v4, vcc_lo
	v_subrev_co_ci_u32_e64 v7, null, s43, v7, vcc_lo
	s_delay_alu instid0(VALU_DEP_3) | instskip(SKIP_1) | instid1(VALU_DEP_2)
	v_cmp_le_u32_e32 vcc_lo, s42, v12
	s_wait_alu 0xf1ff
	v_subrev_co_ci_u32_e64 v7, null, 0, v7, s0
	s_wait_alu 0xfffd
	v_cndmask_b32_e64 v11, 0, -1, vcc_lo
	s_delay_alu instid0(VALU_DEP_2)
	v_cmp_le_u32_e32 vcc_lo, s43, v7
	s_wait_alu 0xfffd
	v_cndmask_b32_e64 v12, 0, -1, vcc_lo
	v_cmp_le_u32_e32 vcc_lo, s42, v3
	s_wait_alu 0xfffd
	v_cndmask_b32_e64 v3, 0, -1, vcc_lo
	v_cmp_le_u32_e32 vcc_lo, s43, v4
	s_wait_alu 0xfffd
	v_cndmask_b32_e64 v13, 0, -1, vcc_lo
	v_cmp_eq_u32_e32 vcc_lo, s43, v7
	s_wait_alu 0xfffd
	v_cndmask_b32_e32 v7, v12, v11, vcc_lo
	v_add_co_u32 v11, vcc_lo, v5, 1
	s_wait_alu 0xfffd
	v_add_co_ci_u32_e64 v12, null, 0, v6, vcc_lo
	v_cmp_eq_u32_e32 vcc_lo, s43, v4
	s_wait_alu 0xfffd
	v_cndmask_b32_e32 v3, v13, v3, vcc_lo
	v_cmp_ne_u32_e32 vcc_lo, 0, v7
	v_xor_b32_e32 v7, s40, v9
	s_wait_alu 0xfffd
	v_cndmask_b32_e32 v4, v12, v10, vcc_lo
	v_cmp_ne_u32_e64 s0, 0, v3
	v_cndmask_b32_e32 v3, v11, v8, vcc_lo
	s_wait_alu 0xf1ff
	s_delay_alu instid0(VALU_DEP_2) | instskip(NEXT) | instid1(VALU_DEP_2)
	v_cndmask_b32_e64 v4, v6, v4, s0
	v_cndmask_b32_e64 v3, v5, v3, s0
	s_delay_alu instid0(VALU_DEP_2) | instskip(NEXT) | instid1(VALU_DEP_2)
	v_xor_b32_e32 v4, v4, v7
	v_xor_b32_e32 v3, v3, v7
	s_delay_alu instid0(VALU_DEP_1) | instskip(SKIP_1) | instid1(VALU_DEP_3)
	v_sub_co_u32 v6, vcc_lo, v3, v7
	s_wait_alu 0xfffd
	v_sub_co_ci_u32_e64 v7, null, v4, v7, vcc_lo
.LBB87_5:                               ;   in Loop: Header=BB87_3 Depth=1
	s_wait_alu 0xfffe
	s_and_not1_saveexec_b32 s0, s1
	s_cbranch_execz .LBB87_7
; %bb.6:                                ;   in Loop: Header=BB87_3 Depth=1
	s_sub_co_i32 s1, 0, s22
	v_mov_b32_e32 v7, v2
	s_wait_alu 0xfffe
	v_mul_lo_u32 v3, s1, v18
	s_delay_alu instid0(VALU_DEP_1) | instskip(NEXT) | instid1(VALU_DEP_1)
	v_mul_hi_u32 v3, v18, v3
	v_add_nc_u32_e32 v3, v18, v3
	s_delay_alu instid0(VALU_DEP_1) | instskip(NEXT) | instid1(VALU_DEP_1)
	v_mul_hi_u32 v3, v0, v3
	v_mul_lo_u32 v4, v3, s22
	v_add_nc_u32_e32 v5, 1, v3
	s_delay_alu instid0(VALU_DEP_2) | instskip(NEXT) | instid1(VALU_DEP_1)
	v_sub_nc_u32_e32 v4, v0, v4
	v_subrev_nc_u32_e32 v6, s22, v4
	v_cmp_le_u32_e32 vcc_lo, s22, v4
	s_wait_alu 0xfffd
	s_delay_alu instid0(VALU_DEP_2) | instskip(NEXT) | instid1(VALU_DEP_1)
	v_dual_cndmask_b32 v4, v4, v6 :: v_dual_cndmask_b32 v3, v3, v5
	v_cmp_le_u32_e32 vcc_lo, s22, v4
	s_delay_alu instid0(VALU_DEP_2) | instskip(SKIP_1) | instid1(VALU_DEP_1)
	v_add_nc_u32_e32 v5, 1, v3
	s_wait_alu 0xfffd
	v_cndmask_b32_e32 v6, v3, v5, vcc_lo
.LBB87_7:                               ;   in Loop: Header=BB87_3 Depth=1
	s_wait_alu 0xfffe
	s_or_b32 exec_lo, exec_lo, s0
	v_or_b32_e32 v3, s9, v7
                                        ; implicit-def: $vgpr10_vgpr11
	s_mov_b32 s0, exec_lo
	s_delay_alu instid0(VALU_DEP_1)
	v_cmpx_ne_u64_e32 0, v[2:3]
	s_wait_alu 0xfffe
	s_xor_b32 s1, exec_lo, s0
	s_cbranch_execz .LBB87_9
; %bb.8:                                ;   in Loop: Header=BB87_3 Depth=1
	s_ashr_i32 s42, s9, 31
	v_ashrrev_i32_e32 v5, 31, v7
	s_wait_alu 0xfffe
	s_mov_b32 s43, s42
	s_wait_alu 0xfffe
	s_add_nc_u64 s[44:45], s[8:9], s[42:43]
	v_add_co_u32 v3, vcc_lo, v6, v5
	s_wait_alu 0xfffe
	s_xor_b64 s[44:45], s[44:45], s[42:43]
	s_wait_alu 0xfffd
	v_add_co_ci_u32_e64 v4, null, v7, v5, vcc_lo
	s_wait_alu 0xfffe
	s_cvt_f32_u32 s0, s44
	s_cvt_f32_u32 s26, s45
	s_sub_nc_u64 s[48:49], 0, s[44:45]
	v_xor_b32_e32 v12, v3, v5
	v_xor_b32_e32 v13, v4, v5
	s_wait_alu 0xfffe
	s_fmamk_f32 s0, s26, 0x4f800000, s0
	v_xor_b32_e32 v5, s42, v5
	s_wait_alu 0xfffe
	s_delay_alu instid0(SALU_CYCLE_1) | instskip(NEXT) | instid1(TRANS32_DEP_1)
	v_s_rcp_f32 s0, s0
	s_mul_f32 s0, s0, 0x5f7ffffc
	s_wait_alu 0xfffe
	s_delay_alu instid0(SALU_CYCLE_2) | instskip(SKIP_1) | instid1(SALU_CYCLE_2)
	s_mul_f32 s26, s0, 0x2f800000
	s_wait_alu 0xfffe
	s_trunc_f32 s26, s26
	s_wait_alu 0xfffe
	s_delay_alu instid0(SALU_CYCLE_2) | instskip(SKIP_2) | instid1(SALU_CYCLE_1)
	s_fmamk_f32 s0, s26, 0xcf800000, s0
	s_cvt_u32_f32 s47, s26
	s_wait_alu 0xfffe
	s_cvt_u32_f32 s46, s0
	s_wait_alu 0xfffe
	s_delay_alu instid0(SALU_CYCLE_2)
	s_mul_u64 s[50:51], s[48:49], s[46:47]
	s_wait_alu 0xfffe
	s_mul_hi_u32 s53, s46, s51
	s_mul_i32 s52, s46, s51
	s_mul_hi_u32 s26, s46, s50
	s_mul_i32 s41, s47, s50
	s_wait_alu 0xfffe
	s_add_nc_u64 s[52:53], s[26:27], s[52:53]
	s_mul_hi_u32 s0, s47, s50
	s_mul_hi_u32 s43, s47, s51
	s_wait_alu 0xfffe
	s_add_co_u32 s26, s52, s41
	s_add_co_ci_u32 s26, s53, s0
	s_mul_i32 s50, s47, s51
	s_add_co_ci_u32 s51, s43, 0
	s_wait_alu 0xfffe
	s_add_nc_u64 s[50:51], s[26:27], s[50:51]
	s_wait_alu 0xfffe
	s_add_co_u32 s46, s46, s50
	s_cselect_b32 s0, -1, 0
	s_wait_alu 0xfffe
	s_cmp_lg_u32 s0, 0
	s_add_co_ci_u32 s47, s47, s51
	s_wait_alu 0xfffe
	s_mul_u64 s[48:49], s[48:49], s[46:47]
	s_wait_alu 0xfffe
	s_mul_hi_u32 s51, s46, s49
	s_mul_i32 s50, s46, s49
	s_mul_hi_u32 s26, s46, s48
	s_mul_i32 s41, s47, s48
	s_wait_alu 0xfffe
	s_add_nc_u64 s[50:51], s[26:27], s[50:51]
	s_mul_hi_u32 s0, s47, s48
	s_mul_hi_u32 s43, s47, s49
	s_wait_alu 0xfffe
	s_add_co_u32 s26, s50, s41
	s_add_co_ci_u32 s26, s51, s0
	s_mul_i32 s48, s47, s49
	s_add_co_ci_u32 s49, s43, 0
	s_wait_alu 0xfffe
	s_add_nc_u64 s[48:49], s[26:27], s[48:49]
	s_wait_alu 0xfffe
	s_add_co_u32 s0, s46, s48
	s_cselect_b32 s26, -1, 0
	s_wait_alu 0xfffe
	v_mul_hi_u32 v14, v12, s0
	s_cmp_lg_u32 s26, 0
	v_mad_co_u64_u32 v[8:9], null, v13, s0, 0
	s_add_co_ci_u32 s26, s47, s49
	s_wait_alu 0xfffe
	v_mad_co_u64_u32 v[3:4], null, v12, s26, 0
	v_mad_co_u64_u32 v[10:11], null, v13, s26, 0
	s_delay_alu instid0(VALU_DEP_2) | instskip(SKIP_1) | instid1(VALU_DEP_3)
	v_add_co_u32 v3, vcc_lo, v14, v3
	s_wait_alu 0xfffd
	v_add_co_ci_u32_e64 v4, null, 0, v4, vcc_lo
	s_delay_alu instid0(VALU_DEP_2) | instskip(SKIP_1) | instid1(VALU_DEP_2)
	v_add_co_u32 v3, vcc_lo, v3, v8
	s_wait_alu 0xfffd
	v_add_co_ci_u32_e32 v3, vcc_lo, v4, v9, vcc_lo
	s_wait_alu 0xfffd
	v_add_co_ci_u32_e32 v4, vcc_lo, 0, v11, vcc_lo
	s_delay_alu instid0(VALU_DEP_2) | instskip(SKIP_1) | instid1(VALU_DEP_2)
	v_add_co_u32 v8, vcc_lo, v3, v10
	s_wait_alu 0xfffd
	v_add_co_ci_u32_e64 v9, null, 0, v4, vcc_lo
	s_delay_alu instid0(VALU_DEP_2) | instskip(SKIP_1) | instid1(VALU_DEP_3)
	v_mul_lo_u32 v10, s45, v8
	v_mad_co_u64_u32 v[3:4], null, s44, v8, 0
	v_mul_lo_u32 v11, s44, v9
	s_delay_alu instid0(VALU_DEP_2) | instskip(NEXT) | instid1(VALU_DEP_2)
	v_sub_co_u32 v3, vcc_lo, v12, v3
	v_add3_u32 v4, v4, v11, v10
	v_add_co_u32 v11, s0, v8, 2
	s_wait_alu 0xf1ff
	v_add_co_ci_u32_e64 v12, null, 0, v9, s0
	s_delay_alu instid0(VALU_DEP_3) | instskip(SKIP_3) | instid1(VALU_DEP_3)
	v_sub_nc_u32_e32 v10, v13, v4
	v_sub_co_u32 v14, s0, v3, s44
	s_wait_alu 0xfffd
	v_sub_co_ci_u32_e64 v4, null, v13, v4, vcc_lo
	v_subrev_co_ci_u32_e64 v10, null, s45, v10, vcc_lo
	s_delay_alu instid0(VALU_DEP_3) | instskip(SKIP_1) | instid1(VALU_DEP_2)
	v_cmp_le_u32_e32 vcc_lo, s44, v14
	s_wait_alu 0xf1ff
	v_subrev_co_ci_u32_e64 v10, null, 0, v10, s0
	s_wait_alu 0xfffd
	v_cndmask_b32_e64 v13, 0, -1, vcc_lo
	s_delay_alu instid0(VALU_DEP_2)
	v_cmp_le_u32_e32 vcc_lo, s45, v10
	s_wait_alu 0xfffd
	v_cndmask_b32_e64 v14, 0, -1, vcc_lo
	v_cmp_le_u32_e32 vcc_lo, s44, v3
	s_wait_alu 0xfffd
	v_cndmask_b32_e64 v3, 0, -1, vcc_lo
	;; [unrolled: 3-line block ×3, first 2 shown]
	v_cmp_eq_u32_e32 vcc_lo, s45, v10
	s_wait_alu 0xfffd
	v_cndmask_b32_e32 v10, v14, v13, vcc_lo
	v_add_co_u32 v13, vcc_lo, v8, 1
	s_wait_alu 0xfffd
	v_add_co_ci_u32_e64 v14, null, 0, v9, vcc_lo
	v_cmp_eq_u32_e32 vcc_lo, s45, v4
	s_wait_alu 0xfffd
	v_cndmask_b32_e32 v3, v15, v3, vcc_lo
	v_cmp_ne_u32_e32 vcc_lo, 0, v10
	s_delay_alu instid0(VALU_DEP_2) | instskip(SKIP_3) | instid1(VALU_DEP_1)
	v_cmp_ne_u32_e64 s0, 0, v3
	s_wait_alu 0xfffd
	v_dual_cndmask_b32 v4, v14, v12 :: v_dual_cndmask_b32 v3, v13, v11
	s_wait_alu 0xf1ff
	v_cndmask_b32_e64 v4, v9, v4, s0
	s_delay_alu instid0(VALU_DEP_2) | instskip(NEXT) | instid1(VALU_DEP_2)
	v_cndmask_b32_e64 v3, v8, v3, s0
	v_xor_b32_e32 v4, v4, v5
	s_delay_alu instid0(VALU_DEP_2) | instskip(NEXT) | instid1(VALU_DEP_1)
	v_xor_b32_e32 v3, v3, v5
	v_sub_co_u32 v10, vcc_lo, v3, v5
	s_wait_alu 0xfffd
	s_delay_alu instid0(VALU_DEP_3)
	v_sub_co_ci_u32_e64 v11, null, v4, v5, vcc_lo
.LBB87_9:                               ;   in Loop: Header=BB87_3 Depth=1
	s_wait_alu 0xfffe
	s_and_not1_saveexec_b32 s0, s1
	s_cbranch_execz .LBB87_11
; %bb.10:                               ;   in Loop: Header=BB87_3 Depth=1
	s_sub_co_i32 s1, 0, s8
	v_mov_b32_e32 v11, v2
	s_wait_alu 0xfffe
	v_mul_lo_u32 v3, s1, v19
	s_delay_alu instid0(VALU_DEP_1) | instskip(NEXT) | instid1(VALU_DEP_1)
	v_mul_hi_u32 v3, v19, v3
	v_add_nc_u32_e32 v3, v19, v3
	s_delay_alu instid0(VALU_DEP_1) | instskip(NEXT) | instid1(VALU_DEP_1)
	v_mul_hi_u32 v3, v6, v3
	v_mul_lo_u32 v4, v3, s8
	v_add_nc_u32_e32 v5, 1, v3
	s_delay_alu instid0(VALU_DEP_2) | instskip(NEXT) | instid1(VALU_DEP_1)
	v_sub_nc_u32_e32 v4, v6, v4
	v_subrev_nc_u32_e32 v8, s8, v4
	v_cmp_le_u32_e32 vcc_lo, s8, v4
	s_wait_alu 0xfffd
	s_delay_alu instid0(VALU_DEP_2) | instskip(NEXT) | instid1(VALU_DEP_1)
	v_dual_cndmask_b32 v4, v4, v8 :: v_dual_cndmask_b32 v3, v3, v5
	v_cmp_le_u32_e32 vcc_lo, s8, v4
	s_delay_alu instid0(VALU_DEP_2) | instskip(SKIP_1) | instid1(VALU_DEP_1)
	v_add_nc_u32_e32 v5, 1, v3
	s_wait_alu 0xfffd
	v_cndmask_b32_e32 v10, v3, v5, vcc_lo
.LBB87_11:                              ;   in Loop: Header=BB87_3 Depth=1
	s_wait_alu 0xfffe
	s_or_b32 exec_lo, exec_lo, s0
	v_mul_lo_u32 v5, v7, s22
	v_mul_lo_u32 v12, v6, s23
	v_mad_co_u64_u32 v[3:4], null, v6, s22, 0
	v_mul_lo_u32 v13, v11, s8
	v_mul_lo_u32 v14, v10, s9
	v_mad_co_u64_u32 v[8:9], null, v10, s8, 0
	s_delay_alu instid0(VALU_DEP_4) | instskip(SKIP_1) | instid1(VALU_DEP_3)
	v_add3_u32 v5, v4, v12, v5
	v_sub_co_u32 v4, vcc_lo, v0, v3
	v_add3_u32 v3, v9, v14, v13
	s_wait_alu 0xfffd
	s_delay_alu instid0(VALU_DEP_3) | instskip(NEXT) | instid1(VALU_DEP_3)
	v_sub_co_ci_u32_e64 v5, null, v1, v5, vcc_lo
	v_mul_lo_u32 v9, s15, v4
	v_mad_co_u64_u32 v[12:13], null, s14, v4, 0
	s_wait_kmcnt 0x0
	v_mul_lo_u32 v20, s19, v4
	v_mul_lo_u32 v21, s14, v5
	;; [unrolled: 1-line block ×3, first 2 shown]
	v_mad_co_u64_u32 v[14:15], null, s18, v4, 0
	v_sub_co_u32 v16, vcc_lo, v6, v8
	s_wait_alu 0xfffd
	v_sub_co_ci_u32_e64 v17, null, v7, v3, vcc_lo
	v_add3_u32 v13, v13, v21, v9
	s_delay_alu instid0(VALU_DEP_3) | instskip(SKIP_1) | instid1(VALU_DEP_4)
	v_mul_lo_u32 v3, s13, v16
	v_add3_u32 v15, v15, v22, v20
	v_mul_lo_u32 v21, s12, v17
	s_and_not1_b32 vcc_lo, exec_lo, s62
	v_mad_co_u64_u32 v[8:9], null, s12, v16, v[12:13]
	v_mul_lo_u32 v12, s16, v17
	v_mul_lo_u32 v13, s17, v16
	v_mad_co_u64_u32 v[6:7], null, s16, v16, v[14:15]
	s_delay_alu instid0(VALU_DEP_4) | instskip(NEXT) | instid1(VALU_DEP_2)
	v_add3_u32 v9, v3, v9, v21
	v_add3_u32 v7, v13, v7, v12
	s_wait_alu 0xfffe
	s_cbranch_vccnz .LBB87_29
; %bb.12:                               ;   in Loop: Header=BB87_3 Depth=1
	s_and_not1_b32 vcc_lo, exec_lo, s60
	s_wait_alu 0xfffe
	s_cbranch_vccnz .LBB87_18
; %bb.13:                               ;   in Loop: Header=BB87_3 Depth=1
	s_load_b64 s[42:43], s[34:35], 0x8
                                        ; implicit-def: $vgpr12_vgpr13
	s_mov_b32 s0, exec_lo
	s_wait_kmcnt 0x0
	v_or_b32_e32 v3, s43, v11
	s_delay_alu instid0(VALU_DEP_1)
	v_cmpx_ne_u64_e32 0, v[2:3]
	s_wait_alu 0xfffe
	s_xor_b32 s1, exec_lo, s0
	s_cbranch_execz .LBB87_15
; %bb.14:                               ;   in Loop: Header=BB87_3 Depth=1
	s_ashr_i32 s44, s43, 31
	v_ashrrev_i32_e32 v3, 31, v11
	s_wait_alu 0xfffe
	s_mov_b32 s45, s44
	s_wait_alu 0xfffe
	s_add_nc_u64 s[46:47], s[42:43], s[44:45]
	v_add_co_u32 v12, vcc_lo, v10, v3
	s_wait_alu 0xfffe
	s_xor_b64 s[46:47], s[46:47], s[44:45]
	s_wait_alu 0xfffd
	v_add_co_ci_u32_e64 v13, null, v11, v3, vcc_lo
	s_wait_alu 0xfffe
	s_cvt_f32_u32 s0, s46
	s_cvt_f32_u32 s26, s47
	s_sub_nc_u64 s[50:51], 0, s[46:47]
	v_xor_b32_e32 v22, v12, v3
	v_xor_b32_e32 v23, v13, v3
	s_wait_alu 0xfffe
	s_fmamk_f32 s0, s26, 0x4f800000, s0
	v_xor_b32_e32 v3, s44, v3
	s_wait_alu 0xfffe
	s_delay_alu instid0(SALU_CYCLE_1) | instskip(NEXT) | instid1(TRANS32_DEP_1)
	v_s_rcp_f32 s0, s0
	s_mul_f32 s0, s0, 0x5f7ffffc
	s_wait_alu 0xfffe
	s_delay_alu instid0(SALU_CYCLE_2) | instskip(SKIP_1) | instid1(SALU_CYCLE_2)
	s_mul_f32 s26, s0, 0x2f800000
	s_wait_alu 0xfffe
	s_trunc_f32 s26, s26
	s_wait_alu 0xfffe
	s_delay_alu instid0(SALU_CYCLE_2) | instskip(SKIP_2) | instid1(SALU_CYCLE_1)
	s_fmamk_f32 s0, s26, 0xcf800000, s0
	s_cvt_u32_f32 s49, s26
	s_wait_alu 0xfffe
	s_cvt_u32_f32 s48, s0
	s_wait_alu 0xfffe
	s_delay_alu instid0(SALU_CYCLE_2)
	s_mul_u64 s[52:53], s[50:51], s[48:49]
	s_wait_alu 0xfffe
	s_mul_hi_u32 s55, s48, s53
	s_mul_i32 s54, s48, s53
	s_mul_hi_u32 s26, s48, s52
	s_mul_i32 s41, s49, s52
	s_wait_alu 0xfffe
	s_add_nc_u64 s[54:55], s[26:27], s[54:55]
	s_mul_hi_u32 s0, s49, s52
	s_mul_hi_u32 s45, s49, s53
	s_wait_alu 0xfffe
	s_add_co_u32 s26, s54, s41
	s_add_co_ci_u32 s26, s55, s0
	s_mul_i32 s52, s49, s53
	s_add_co_ci_u32 s53, s45, 0
	s_wait_alu 0xfffe
	s_add_nc_u64 s[52:53], s[26:27], s[52:53]
	s_wait_alu 0xfffe
	s_add_co_u32 s48, s48, s52
	s_cselect_b32 s0, -1, 0
	s_wait_alu 0xfffe
	s_cmp_lg_u32 s0, 0
	s_add_co_ci_u32 s49, s49, s53
	s_wait_alu 0xfffe
	s_mul_u64 s[50:51], s[50:51], s[48:49]
	s_wait_alu 0xfffe
	s_mul_hi_u32 s53, s48, s51
	s_mul_i32 s52, s48, s51
	s_mul_hi_u32 s26, s48, s50
	s_mul_i32 s41, s49, s50
	s_wait_alu 0xfffe
	s_add_nc_u64 s[52:53], s[26:27], s[52:53]
	s_mul_hi_u32 s0, s49, s50
	s_mul_hi_u32 s45, s49, s51
	s_wait_alu 0xfffe
	s_add_co_u32 s26, s52, s41
	s_add_co_ci_u32 s26, s53, s0
	s_mul_i32 s50, s49, s51
	s_add_co_ci_u32 s51, s45, 0
	s_wait_alu 0xfffe
	s_add_nc_u64 s[50:51], s[26:27], s[50:51]
	s_wait_alu 0xfffe
	s_add_co_u32 s0, s48, s50
	s_cselect_b32 s26, -1, 0
	s_wait_alu 0xfffe
	v_mul_hi_u32 v24, v22, s0
	s_cmp_lg_u32 s26, 0
	v_mad_co_u64_u32 v[14:15], null, v23, s0, 0
	s_add_co_ci_u32 s26, s49, s51
	s_wait_alu 0xfffe
	v_mad_co_u64_u32 v[12:13], null, v22, s26, 0
	v_mad_co_u64_u32 v[20:21], null, v23, s26, 0
	s_delay_alu instid0(VALU_DEP_2) | instskip(SKIP_1) | instid1(VALU_DEP_3)
	v_add_co_u32 v12, vcc_lo, v24, v12
	s_wait_alu 0xfffd
	v_add_co_ci_u32_e64 v13, null, 0, v13, vcc_lo
	s_delay_alu instid0(VALU_DEP_2) | instskip(SKIP_1) | instid1(VALU_DEP_2)
	v_add_co_u32 v12, vcc_lo, v12, v14
	s_wait_alu 0xfffd
	v_add_co_ci_u32_e32 v12, vcc_lo, v13, v15, vcc_lo
	s_wait_alu 0xfffd
	v_add_co_ci_u32_e32 v13, vcc_lo, 0, v21, vcc_lo
	s_delay_alu instid0(VALU_DEP_2) | instskip(SKIP_1) | instid1(VALU_DEP_2)
	v_add_co_u32 v14, vcc_lo, v12, v20
	s_wait_alu 0xfffd
	v_add_co_ci_u32_e64 v15, null, 0, v13, vcc_lo
	s_delay_alu instid0(VALU_DEP_2) | instskip(SKIP_1) | instid1(VALU_DEP_3)
	v_mul_lo_u32 v20, s47, v14
	v_mad_co_u64_u32 v[12:13], null, s46, v14, 0
	v_mul_lo_u32 v21, s46, v15
	s_delay_alu instid0(VALU_DEP_2) | instskip(NEXT) | instid1(VALU_DEP_2)
	v_sub_co_u32 v12, vcc_lo, v22, v12
	v_add3_u32 v13, v13, v21, v20
	v_add_co_u32 v21, s0, v14, 2
	s_wait_alu 0xf1ff
	v_add_co_ci_u32_e64 v22, null, 0, v15, s0
	s_delay_alu instid0(VALU_DEP_3) | instskip(SKIP_3) | instid1(VALU_DEP_3)
	v_sub_nc_u32_e32 v20, v23, v13
	v_sub_co_u32 v24, s0, v12, s46
	s_wait_alu 0xfffd
	v_sub_co_ci_u32_e64 v13, null, v23, v13, vcc_lo
	v_subrev_co_ci_u32_e64 v20, null, s47, v20, vcc_lo
	s_delay_alu instid0(VALU_DEP_3) | instskip(SKIP_1) | instid1(VALU_DEP_2)
	v_cmp_le_u32_e32 vcc_lo, s46, v24
	s_wait_alu 0xf1ff
	v_subrev_co_ci_u32_e64 v20, null, 0, v20, s0
	s_wait_alu 0xfffd
	v_cndmask_b32_e64 v23, 0, -1, vcc_lo
	s_delay_alu instid0(VALU_DEP_2)
	v_cmp_le_u32_e32 vcc_lo, s47, v20
	s_wait_alu 0xfffd
	v_cndmask_b32_e64 v24, 0, -1, vcc_lo
	v_cmp_le_u32_e32 vcc_lo, s46, v12
	s_wait_alu 0xfffd
	v_cndmask_b32_e64 v12, 0, -1, vcc_lo
	;; [unrolled: 3-line block ×3, first 2 shown]
	v_cmp_eq_u32_e32 vcc_lo, s47, v20
	s_wait_alu 0xfffd
	v_cndmask_b32_e32 v20, v24, v23, vcc_lo
	v_add_co_u32 v23, vcc_lo, v14, 1
	s_wait_alu 0xfffd
	v_add_co_ci_u32_e64 v24, null, 0, v15, vcc_lo
	v_cmp_eq_u32_e32 vcc_lo, s47, v13
	s_wait_alu 0xfffd
	v_cndmask_b32_e32 v12, v25, v12, vcc_lo
	v_cmp_ne_u32_e32 vcc_lo, 0, v20
	s_wait_alu 0xfffd
	v_cndmask_b32_e32 v13, v24, v22, vcc_lo
	s_delay_alu instid0(VALU_DEP_3) | instskip(SKIP_2) | instid1(VALU_DEP_2)
	v_cmp_ne_u32_e64 s0, 0, v12
	v_cndmask_b32_e32 v12, v23, v21, vcc_lo
	s_wait_alu 0xf1ff
	v_cndmask_b32_e64 v13, v15, v13, s0
	s_delay_alu instid0(VALU_DEP_2) | instskip(NEXT) | instid1(VALU_DEP_2)
	v_cndmask_b32_e64 v12, v14, v12, s0
	v_xor_b32_e32 v13, v13, v3
	s_delay_alu instid0(VALU_DEP_2) | instskip(NEXT) | instid1(VALU_DEP_1)
	v_xor_b32_e32 v12, v12, v3
	v_sub_co_u32 v12, vcc_lo, v12, v3
	s_wait_alu 0xfffd
	s_delay_alu instid0(VALU_DEP_3)
	v_sub_co_ci_u32_e64 v13, null, v13, v3, vcc_lo
.LBB87_15:                              ;   in Loop: Header=BB87_3 Depth=1
	s_wait_alu 0xfffe
	s_and_not1_saveexec_b32 s0, s1
	s_cbranch_execz .LBB87_17
; %bb.16:                               ;   in Loop: Header=BB87_3 Depth=1
	v_cvt_f32_u32_e32 v3, s42
	s_sub_co_i32 s1, 0, s42
	s_delay_alu instid0(VALU_DEP_1) | instskip(NEXT) | instid1(TRANS32_DEP_1)
	v_rcp_iflag_f32_e32 v3, v3
	v_mul_f32_e32 v3, 0x4f7ffffe, v3
	s_delay_alu instid0(VALU_DEP_1) | instskip(SKIP_1) | instid1(VALU_DEP_1)
	v_cvt_u32_f32_e32 v3, v3
	s_wait_alu 0xfffe
	v_mul_lo_u32 v12, s1, v3
	s_delay_alu instid0(VALU_DEP_1) | instskip(NEXT) | instid1(VALU_DEP_1)
	v_mul_hi_u32 v12, v3, v12
	v_add_nc_u32_e32 v3, v3, v12
	s_delay_alu instid0(VALU_DEP_1) | instskip(NEXT) | instid1(VALU_DEP_1)
	v_mul_hi_u32 v3, v10, v3
	v_mul_lo_u32 v12, v3, s42
	v_add_nc_u32_e32 v13, 1, v3
	s_delay_alu instid0(VALU_DEP_2) | instskip(NEXT) | instid1(VALU_DEP_1)
	v_sub_nc_u32_e32 v12, v10, v12
	v_subrev_nc_u32_e32 v14, s42, v12
	v_cmp_le_u32_e32 vcc_lo, s42, v12
	s_wait_alu 0xfffd
	s_delay_alu instid0(VALU_DEP_2) | instskip(NEXT) | instid1(VALU_DEP_1)
	v_dual_cndmask_b32 v12, v12, v14 :: v_dual_cndmask_b32 v3, v3, v13
	v_cmp_le_u32_e32 vcc_lo, s42, v12
	s_delay_alu instid0(VALU_DEP_2) | instskip(SKIP_1) | instid1(VALU_DEP_1)
	v_add_nc_u32_e32 v13, 1, v3
	s_wait_alu 0xfffd
	v_dual_cndmask_b32 v12, v3, v13 :: v_dual_mov_b32 v13, v2
.LBB87_17:                              ;   in Loop: Header=BB87_3 Depth=1
	s_wait_alu 0xfffe
	s_or_b32 exec_lo, exec_lo, s0
	s_delay_alu instid0(VALU_DEP_1) | instskip(NEXT) | instid1(VALU_DEP_2)
	v_mul_lo_u32 v3, v13, s42
	v_mul_lo_u32 v20, v12, s43
	s_load_b64 s[0:1], s[34:35], 0xd0
	v_mad_co_u64_u32 v[14:15], null, v12, s42, 0
	s_load_b64 s[42:43], s[36:37], 0xd0
	v_add3_u32 v3, v15, v20, v3
	v_sub_co_u32 v10, vcc_lo, v10, v14
	s_wait_alu 0xfffd
	s_delay_alu instid0(VALU_DEP_2) | instskip(SKIP_1) | instid1(VALU_DEP_1)
	v_sub_co_ci_u32_e64 v3, null, v11, v3, vcc_lo
	s_wait_kmcnt 0x0
	v_mul_lo_u32 v11, s0, v3
	v_mul_lo_u32 v14, s1, v10
	v_mad_co_u64_u32 v[8:9], null, s0, v10, v[8:9]
	v_mul_lo_u32 v3, s42, v3
	v_mul_lo_u32 v15, s43, v10
	v_mad_co_u64_u32 v[6:7], null, s42, v10, v[6:7]
	s_mov_b64 s[0:1], s[30:31]
	v_add3_u32 v9, v14, v9, v11
	v_dual_mov_b32 v10, v12 :: v_dual_mov_b32 v11, v13
	v_add3_u32 v7, v15, v7, v3
	s_and_not1_b32 vcc_lo, exec_lo, s61
	s_wait_alu 0xfffe
	s_cbranch_vccz .LBB87_19
	s_branch .LBB87_29
.LBB87_18:                              ;   in Loop: Header=BB87_3 Depth=1
	s_mov_b64 s[0:1], s[28:29]
	s_and_not1_b32 vcc_lo, exec_lo, s61
	s_wait_alu 0xfffe
	s_cbranch_vccnz .LBB87_29
.LBB87_19:                              ;   in Loop: Header=BB87_3 Depth=1
	s_lshl_b64 s[44:45], s[0:1], 3
	s_add_nc_u64 s[46:47], s[0:1], 1
	s_wait_alu 0xfffe
	s_add_nc_u64 s[42:43], s[38:39], s[44:45]
	s_add_nc_u64 s[44:45], s[20:21], s[44:45]
	s_branch .LBB87_21
.LBB87_20:                              ;   in Loop: Header=BB87_21 Depth=2
	s_wait_alu 0xfffe
	s_or_b32 exec_lo, exec_lo, s0
	v_mul_lo_u32 v3, v13, s48
	v_mul_lo_u32 v24, v12, s49
	v_mad_co_u64_u32 v[20:21], null, v12, s48, 0
	s_load_b64 s[0:1], s[44:45], 0xc8
	s_load_b64 s[48:49], s[42:43], 0x0
	v_mul_lo_u32 v25, v15, s54
	v_mul_lo_u32 v26, v14, s55
	v_mad_co_u64_u32 v[22:23], null, v14, s54, 0
	v_add3_u32 v3, v21, v24, v3
	v_sub_co_u32 v10, vcc_lo, v10, v20
	s_add_nc_u64 s[46:47], s[46:47], -2
	s_add_nc_u64 s[42:43], s[42:43], -16
	s_wait_alu 0xfffd
	v_sub_co_ci_u32_e64 v3, null, v11, v3, vcc_lo
	v_mul_lo_u32 v11, s53, v10
	v_mad_co_u64_u32 v[8:9], null, s52, v10, v[8:9]
	s_delay_alu instid0(VALU_DEP_3)
	v_mul_lo_u32 v20, s52, v3
	v_mul_lo_u32 v21, s51, v10
	v_mad_co_u64_u32 v[6:7], null, s50, v10, v[6:7]
	v_mul_lo_u32 v3, s50, v3
	v_add3_u32 v10, v23, v26, v25
	s_wait_alu 0xfffe
	s_cmp_eq_u64 s[46:47], 0
	s_add_nc_u64 s[44:45], s[44:45], -16
	v_add3_u32 v9, v11, v9, v20
	v_sub_co_u32 v11, vcc_lo, v12, v22
	s_wait_alu 0xfffd
	v_sub_co_ci_u32_e64 v10, null, v13, v10, vcc_lo
	v_add3_u32 v7, v21, v7, v3
	s_wait_kmcnt 0x0
	v_mad_co_u64_u32 v[8:9], null, s0, v11, v[8:9]
	s_delay_alu instid0(VALU_DEP_3) | instskip(SKIP_4) | instid1(VALU_DEP_4)
	v_mul_lo_u32 v3, s0, v10
	v_mul_lo_u32 v12, s1, v11
	;; [unrolled: 1-line block ×4, first 2 shown]
	v_mad_co_u64_u32 v[6:7], null, s48, v11, v[6:7]
	v_add3_u32 v9, v12, v9, v3
	s_delay_alu instid0(VALU_DEP_2)
	v_add3_u32 v7, v13, v7, v10
	v_dual_mov_b32 v10, v14 :: v_dual_mov_b32 v11, v15
	s_cbranch_scc1 .LBB87_29
.LBB87_21:                              ;   Parent Loop BB87_3 Depth=1
                                        ; =>  This Inner Loop Header: Depth=2
	s_load_b64 s[48:49], s[44:45], 0x8
                                        ; implicit-def: $vgpr12_vgpr13
	s_mov_b32 s0, exec_lo
	s_wait_kmcnt 0x0
	v_or_b32_e32 v3, s49, v11
	s_delay_alu instid0(VALU_DEP_1)
	v_cmpx_ne_u64_e32 0, v[2:3]
	s_wait_alu 0xfffe
	s_xor_b32 s1, exec_lo, s0
	s_cbranch_execz .LBB87_23
; %bb.22:                               ;   in Loop: Header=BB87_21 Depth=2
	s_ashr_i32 s50, s49, 31
	v_ashrrev_i32_e32 v3, 31, v11
	s_wait_alu 0xfffe
	s_mov_b32 s51, s50
	s_wait_alu 0xfffe
	s_add_nc_u64 s[52:53], s[48:49], s[50:51]
	v_add_co_u32 v12, vcc_lo, v10, v3
	s_wait_alu 0xfffe
	s_xor_b64 s[52:53], s[52:53], s[50:51]
	s_wait_alu 0xfffd
	v_add_co_ci_u32_e64 v13, null, v11, v3, vcc_lo
	s_wait_alu 0xfffe
	s_cvt_f32_u32 s0, s52
	s_cvt_f32_u32 s26, s53
	s_sub_nc_u64 s[56:57], 0, s[52:53]
	v_xor_b32_e32 v22, v12, v3
	v_xor_b32_e32 v23, v13, v3
	s_wait_alu 0xfffe
	s_fmamk_f32 s0, s26, 0x4f800000, s0
	v_xor_b32_e32 v3, s50, v3
	s_wait_alu 0xfffe
	s_delay_alu instid0(SALU_CYCLE_1) | instskip(NEXT) | instid1(TRANS32_DEP_1)
	v_s_rcp_f32 s0, s0
	s_mul_f32 s0, s0, 0x5f7ffffc
	s_wait_alu 0xfffe
	s_delay_alu instid0(SALU_CYCLE_2) | instskip(SKIP_1) | instid1(SALU_CYCLE_2)
	s_mul_f32 s26, s0, 0x2f800000
	s_wait_alu 0xfffe
	s_trunc_f32 s26, s26
	s_wait_alu 0xfffe
	s_delay_alu instid0(SALU_CYCLE_2) | instskip(SKIP_2) | instid1(SALU_CYCLE_1)
	s_fmamk_f32 s0, s26, 0xcf800000, s0
	s_cvt_u32_f32 s55, s26
	s_wait_alu 0xfffe
	s_cvt_u32_f32 s54, s0
	s_wait_alu 0xfffe
	s_delay_alu instid0(SALU_CYCLE_2)
	s_mul_u64 s[58:59], s[56:57], s[54:55]
	s_wait_alu 0xfffe
	s_mul_hi_u32 s65, s54, s59
	s_mul_i32 s64, s54, s59
	s_mul_hi_u32 s26, s54, s58
	s_mul_i32 s41, s55, s58
	s_wait_alu 0xfffe
	s_add_nc_u64 s[64:65], s[26:27], s[64:65]
	s_mul_hi_u32 s0, s55, s58
	s_mul_hi_u32 s51, s55, s59
	s_add_co_u32 s26, s64, s41
	s_wait_alu 0xfffe
	s_add_co_ci_u32 s26, s65, s0
	s_mul_i32 s58, s55, s59
	s_add_co_ci_u32 s59, s51, 0
	s_wait_alu 0xfffe
	s_add_nc_u64 s[58:59], s[26:27], s[58:59]
	s_wait_alu 0xfffe
	s_add_co_u32 s54, s54, s58
	s_cselect_b32 s0, -1, 0
	s_wait_alu 0xfffe
	s_cmp_lg_u32 s0, 0
	s_add_co_ci_u32 s55, s55, s59
	s_wait_alu 0xfffe
	s_mul_u64 s[56:57], s[56:57], s[54:55]
	s_wait_alu 0xfffe
	s_mul_hi_u32 s59, s54, s57
	s_mul_i32 s58, s54, s57
	s_mul_hi_u32 s26, s54, s56
	s_mul_i32 s41, s55, s56
	s_wait_alu 0xfffe
	s_add_nc_u64 s[58:59], s[26:27], s[58:59]
	s_mul_hi_u32 s0, s55, s56
	s_mul_hi_u32 s51, s55, s57
	s_wait_alu 0xfffe
	s_add_co_u32 s26, s58, s41
	s_add_co_ci_u32 s26, s59, s0
	s_mul_i32 s56, s55, s57
	s_add_co_ci_u32 s57, s51, 0
	s_wait_alu 0xfffe
	s_add_nc_u64 s[56:57], s[26:27], s[56:57]
	s_wait_alu 0xfffe
	s_add_co_u32 s0, s54, s56
	s_cselect_b32 s26, -1, 0
	s_wait_alu 0xfffe
	v_mul_hi_u32 v24, v22, s0
	s_cmp_lg_u32 s26, 0
	v_mad_co_u64_u32 v[14:15], null, v23, s0, 0
	s_add_co_ci_u32 s26, s55, s57
	s_wait_alu 0xfffe
	v_mad_co_u64_u32 v[12:13], null, v22, s26, 0
	v_mad_co_u64_u32 v[20:21], null, v23, s26, 0
	s_delay_alu instid0(VALU_DEP_2) | instskip(SKIP_1) | instid1(VALU_DEP_3)
	v_add_co_u32 v12, vcc_lo, v24, v12
	s_wait_alu 0xfffd
	v_add_co_ci_u32_e64 v13, null, 0, v13, vcc_lo
	s_delay_alu instid0(VALU_DEP_2) | instskip(SKIP_1) | instid1(VALU_DEP_2)
	v_add_co_u32 v12, vcc_lo, v12, v14
	s_wait_alu 0xfffd
	v_add_co_ci_u32_e32 v12, vcc_lo, v13, v15, vcc_lo
	s_wait_alu 0xfffd
	v_add_co_ci_u32_e32 v13, vcc_lo, 0, v21, vcc_lo
	s_delay_alu instid0(VALU_DEP_2) | instskip(SKIP_1) | instid1(VALU_DEP_2)
	v_add_co_u32 v14, vcc_lo, v12, v20
	s_wait_alu 0xfffd
	v_add_co_ci_u32_e64 v15, null, 0, v13, vcc_lo
	s_delay_alu instid0(VALU_DEP_2) | instskip(SKIP_1) | instid1(VALU_DEP_3)
	v_mul_lo_u32 v20, s53, v14
	v_mad_co_u64_u32 v[12:13], null, s52, v14, 0
	v_mul_lo_u32 v21, s52, v15
	s_delay_alu instid0(VALU_DEP_2) | instskip(NEXT) | instid1(VALU_DEP_2)
	v_sub_co_u32 v12, vcc_lo, v22, v12
	v_add3_u32 v13, v13, v21, v20
	v_add_co_u32 v21, s0, v14, 2
	s_wait_alu 0xf1ff
	v_add_co_ci_u32_e64 v22, null, 0, v15, s0
	s_delay_alu instid0(VALU_DEP_3) | instskip(SKIP_3) | instid1(VALU_DEP_3)
	v_sub_nc_u32_e32 v20, v23, v13
	v_sub_co_u32 v24, s0, v12, s52
	s_wait_alu 0xfffd
	v_sub_co_ci_u32_e64 v13, null, v23, v13, vcc_lo
	v_subrev_co_ci_u32_e64 v20, null, s53, v20, vcc_lo
	s_delay_alu instid0(VALU_DEP_3) | instskip(SKIP_1) | instid1(VALU_DEP_2)
	v_cmp_le_u32_e32 vcc_lo, s52, v24
	s_wait_alu 0xf1ff
	v_subrev_co_ci_u32_e64 v20, null, 0, v20, s0
	s_wait_alu 0xfffd
	v_cndmask_b32_e64 v23, 0, -1, vcc_lo
	s_delay_alu instid0(VALU_DEP_2)
	v_cmp_le_u32_e32 vcc_lo, s53, v20
	s_wait_alu 0xfffd
	v_cndmask_b32_e64 v24, 0, -1, vcc_lo
	v_cmp_le_u32_e32 vcc_lo, s52, v12
	s_wait_alu 0xfffd
	v_cndmask_b32_e64 v12, 0, -1, vcc_lo
	;; [unrolled: 3-line block ×3, first 2 shown]
	v_cmp_eq_u32_e32 vcc_lo, s53, v20
	s_wait_alu 0xfffd
	v_cndmask_b32_e32 v20, v24, v23, vcc_lo
	v_add_co_u32 v23, vcc_lo, v14, 1
	s_wait_alu 0xfffd
	v_add_co_ci_u32_e64 v24, null, 0, v15, vcc_lo
	v_cmp_eq_u32_e32 vcc_lo, s53, v13
	s_wait_alu 0xfffd
	v_cndmask_b32_e32 v12, v25, v12, vcc_lo
	v_cmp_ne_u32_e32 vcc_lo, 0, v20
	s_wait_alu 0xfffd
	v_cndmask_b32_e32 v13, v24, v22, vcc_lo
	s_delay_alu instid0(VALU_DEP_3) | instskip(SKIP_2) | instid1(VALU_DEP_2)
	v_cmp_ne_u32_e64 s0, 0, v12
	v_cndmask_b32_e32 v12, v23, v21, vcc_lo
	s_wait_alu 0xf1ff
	v_cndmask_b32_e64 v13, v15, v13, s0
	s_delay_alu instid0(VALU_DEP_2) | instskip(NEXT) | instid1(VALU_DEP_2)
	v_cndmask_b32_e64 v12, v14, v12, s0
	v_xor_b32_e32 v13, v13, v3
	s_delay_alu instid0(VALU_DEP_2) | instskip(NEXT) | instid1(VALU_DEP_1)
	v_xor_b32_e32 v12, v12, v3
	v_sub_co_u32 v12, vcc_lo, v12, v3
	s_wait_alu 0xfffd
	s_delay_alu instid0(VALU_DEP_3)
	v_sub_co_ci_u32_e64 v13, null, v13, v3, vcc_lo
.LBB87_23:                              ;   in Loop: Header=BB87_21 Depth=2
	s_wait_alu 0xfffe
	s_and_not1_saveexec_b32 s0, s1
	s_cbranch_execz .LBB87_25
; %bb.24:                               ;   in Loop: Header=BB87_21 Depth=2
	v_cvt_f32_u32_e32 v3, s48
	s_sub_co_i32 s1, 0, s48
	s_delay_alu instid0(VALU_DEP_1) | instskip(NEXT) | instid1(TRANS32_DEP_1)
	v_rcp_iflag_f32_e32 v3, v3
	v_mul_f32_e32 v3, 0x4f7ffffe, v3
	s_delay_alu instid0(VALU_DEP_1) | instskip(SKIP_1) | instid1(VALU_DEP_1)
	v_cvt_u32_f32_e32 v3, v3
	s_wait_alu 0xfffe
	v_mul_lo_u32 v12, s1, v3
	s_delay_alu instid0(VALU_DEP_1) | instskip(NEXT) | instid1(VALU_DEP_1)
	v_mul_hi_u32 v12, v3, v12
	v_add_nc_u32_e32 v3, v3, v12
	s_delay_alu instid0(VALU_DEP_1) | instskip(NEXT) | instid1(VALU_DEP_1)
	v_mul_hi_u32 v3, v10, v3
	v_mul_lo_u32 v12, v3, s48
	v_add_nc_u32_e32 v13, 1, v3
	s_delay_alu instid0(VALU_DEP_2) | instskip(NEXT) | instid1(VALU_DEP_1)
	v_sub_nc_u32_e32 v12, v10, v12
	v_subrev_nc_u32_e32 v14, s48, v12
	v_cmp_le_u32_e32 vcc_lo, s48, v12
	s_wait_alu 0xfffd
	s_delay_alu instid0(VALU_DEP_2) | instskip(NEXT) | instid1(VALU_DEP_1)
	v_dual_cndmask_b32 v12, v12, v14 :: v_dual_cndmask_b32 v3, v3, v13
	v_cmp_le_u32_e32 vcc_lo, s48, v12
	s_delay_alu instid0(VALU_DEP_2) | instskip(SKIP_1) | instid1(VALU_DEP_1)
	v_add_nc_u32_e32 v13, 1, v3
	s_wait_alu 0xfffd
	v_dual_cndmask_b32 v12, v3, v13 :: v_dual_mov_b32 v13, v2
.LBB87_25:                              ;   in Loop: Header=BB87_21 Depth=2
	s_wait_alu 0xfffe
	s_or_b32 exec_lo, exec_lo, s0
	s_clause 0x1
	s_load_b64 s[54:55], s[44:45], 0x0
	s_load_b64 s[52:53], s[44:45], 0xd0
	;; [unrolled: 1-line block ×3, first 2 shown]
                                        ; implicit-def: $vgpr14_vgpr15
	s_mov_b32 s0, exec_lo
	s_wait_kmcnt 0x0
	v_or_b32_e32 v3, s55, v13
	s_delay_alu instid0(VALU_DEP_1)
	v_cmpx_ne_u64_e32 0, v[2:3]
	s_wait_alu 0xfffe
	s_xor_b32 s1, exec_lo, s0
	s_cbranch_execz .LBB87_27
; %bb.26:                               ;   in Loop: Header=BB87_21 Depth=2
	s_ashr_i32 s56, s55, 31
	v_ashrrev_i32_e32 v3, 31, v13
	s_wait_alu 0xfffe
	s_mov_b32 s57, s56
	s_wait_alu 0xfffe
	s_add_nc_u64 s[58:59], s[54:55], s[56:57]
	v_add_co_u32 v14, vcc_lo, v12, v3
	s_wait_alu 0xfffe
	s_xor_b64 s[58:59], s[58:59], s[56:57]
	s_wait_alu 0xfffd
	v_add_co_ci_u32_e64 v15, null, v13, v3, vcc_lo
	s_wait_alu 0xfffe
	s_cvt_f32_u32 s0, s58
	s_cvt_f32_u32 s26, s59
	s_sub_nc_u64 s[66:67], 0, s[58:59]
	v_xor_b32_e32 v24, v14, v3
	v_xor_b32_e32 v25, v15, v3
	s_wait_alu 0xfffe
	s_fmamk_f32 s0, s26, 0x4f800000, s0
	v_xor_b32_e32 v3, s56, v3
	s_wait_alu 0xfffe
	s_delay_alu instid0(SALU_CYCLE_1) | instskip(NEXT) | instid1(TRANS32_DEP_1)
	v_s_rcp_f32 s0, s0
	s_mul_f32 s0, s0, 0x5f7ffffc
	s_wait_alu 0xfffe
	s_delay_alu instid0(SALU_CYCLE_2) | instskip(SKIP_1) | instid1(SALU_CYCLE_2)
	s_mul_f32 s26, s0, 0x2f800000
	s_wait_alu 0xfffe
	s_trunc_f32 s26, s26
	s_wait_alu 0xfffe
	s_delay_alu instid0(SALU_CYCLE_2) | instskip(SKIP_2) | instid1(SALU_CYCLE_1)
	s_fmamk_f32 s0, s26, 0xcf800000, s0
	s_cvt_u32_f32 s65, s26
	s_wait_alu 0xfffe
	s_cvt_u32_f32 s64, s0
	s_delay_alu instid0(SALU_CYCLE_3) | instskip(NEXT) | instid1(SALU_CYCLE_1)
	s_mul_u64 s[68:69], s[66:67], s[64:65]
	s_mul_hi_u32 s71, s64, s69
	s_mul_i32 s70, s64, s69
	s_mul_hi_u32 s26, s64, s68
	s_mul_i32 s41, s65, s68
	s_wait_alu 0xfffe
	s_add_nc_u64 s[70:71], s[26:27], s[70:71]
	s_mul_hi_u32 s0, s65, s68
	s_mul_hi_u32 s57, s65, s69
	s_add_co_u32 s26, s70, s41
	s_wait_alu 0xfffe
	s_add_co_ci_u32 s26, s71, s0
	s_mul_i32 s68, s65, s69
	s_add_co_ci_u32 s69, s57, 0
	s_wait_alu 0xfffe
	s_add_nc_u64 s[68:69], s[26:27], s[68:69]
	s_delay_alu instid0(SALU_CYCLE_1) | instskip(SKIP_4) | instid1(SALU_CYCLE_1)
	s_add_co_u32 s64, s64, s68
	s_cselect_b32 s0, -1, 0
	s_wait_alu 0xfffe
	s_cmp_lg_u32 s0, 0
	s_add_co_ci_u32 s65, s65, s69
	s_mul_u64 s[66:67], s[66:67], s[64:65]
	s_delay_alu instid0(SALU_CYCLE_1)
	s_mul_hi_u32 s69, s64, s67
	s_mul_i32 s68, s64, s67
	s_mul_hi_u32 s26, s64, s66
	s_mul_i32 s41, s65, s66
	s_wait_alu 0xfffe
	s_add_nc_u64 s[68:69], s[26:27], s[68:69]
	s_mul_hi_u32 s0, s65, s66
	s_mul_hi_u32 s57, s65, s67
	s_add_co_u32 s26, s68, s41
	s_wait_alu 0xfffe
	s_add_co_ci_u32 s26, s69, s0
	s_mul_i32 s66, s65, s67
	s_add_co_ci_u32 s67, s57, 0
	s_wait_alu 0xfffe
	s_add_nc_u64 s[66:67], s[26:27], s[66:67]
	s_delay_alu instid0(SALU_CYCLE_1)
	s_add_co_u32 s0, s64, s66
	s_cselect_b32 s26, -1, 0
	s_wait_alu 0xfffe
	v_mul_hi_u32 v26, v24, s0
	s_cmp_lg_u32 s26, 0
	v_mad_co_u64_u32 v[20:21], null, v25, s0, 0
	s_add_co_ci_u32 s26, s65, s67
	s_wait_alu 0xfffe
	v_mad_co_u64_u32 v[14:15], null, v24, s26, 0
	v_mad_co_u64_u32 v[22:23], null, v25, s26, 0
	s_delay_alu instid0(VALU_DEP_2) | instskip(SKIP_1) | instid1(VALU_DEP_3)
	v_add_co_u32 v14, vcc_lo, v26, v14
	s_wait_alu 0xfffd
	v_add_co_ci_u32_e64 v15, null, 0, v15, vcc_lo
	s_delay_alu instid0(VALU_DEP_2) | instskip(SKIP_1) | instid1(VALU_DEP_2)
	v_add_co_u32 v14, vcc_lo, v14, v20
	s_wait_alu 0xfffd
	v_add_co_ci_u32_e32 v14, vcc_lo, v15, v21, vcc_lo
	s_wait_alu 0xfffd
	v_add_co_ci_u32_e32 v15, vcc_lo, 0, v23, vcc_lo
	s_delay_alu instid0(VALU_DEP_2) | instskip(SKIP_1) | instid1(VALU_DEP_2)
	v_add_co_u32 v20, vcc_lo, v14, v22
	s_wait_alu 0xfffd
	v_add_co_ci_u32_e64 v21, null, 0, v15, vcc_lo
	s_delay_alu instid0(VALU_DEP_2) | instskip(SKIP_1) | instid1(VALU_DEP_3)
	v_mul_lo_u32 v22, s59, v20
	v_mad_co_u64_u32 v[14:15], null, s58, v20, 0
	v_mul_lo_u32 v23, s58, v21
	s_delay_alu instid0(VALU_DEP_2) | instskip(NEXT) | instid1(VALU_DEP_2)
	v_sub_co_u32 v14, vcc_lo, v24, v14
	v_add3_u32 v15, v15, v23, v22
	v_add_co_u32 v23, s0, v20, 2
	s_wait_alu 0xf1ff
	v_add_co_ci_u32_e64 v24, null, 0, v21, s0
	s_delay_alu instid0(VALU_DEP_3) | instskip(SKIP_3) | instid1(VALU_DEP_3)
	v_sub_nc_u32_e32 v22, v25, v15
	v_sub_co_u32 v26, s0, v14, s58
	s_wait_alu 0xfffd
	v_sub_co_ci_u32_e64 v15, null, v25, v15, vcc_lo
	v_subrev_co_ci_u32_e64 v22, null, s59, v22, vcc_lo
	s_delay_alu instid0(VALU_DEP_3) | instskip(SKIP_1) | instid1(VALU_DEP_2)
	v_cmp_le_u32_e32 vcc_lo, s58, v26
	s_wait_alu 0xf1ff
	v_subrev_co_ci_u32_e64 v22, null, 0, v22, s0
	s_wait_alu 0xfffd
	v_cndmask_b32_e64 v25, 0, -1, vcc_lo
	s_delay_alu instid0(VALU_DEP_2)
	v_cmp_le_u32_e32 vcc_lo, s59, v22
	s_wait_alu 0xfffd
	v_cndmask_b32_e64 v26, 0, -1, vcc_lo
	v_cmp_le_u32_e32 vcc_lo, s58, v14
	s_wait_alu 0xfffd
	v_cndmask_b32_e64 v14, 0, -1, vcc_lo
	;; [unrolled: 3-line block ×3, first 2 shown]
	v_cmp_eq_u32_e32 vcc_lo, s59, v22
	s_wait_alu 0xfffd
	v_cndmask_b32_e32 v22, v26, v25, vcc_lo
	v_add_co_u32 v25, vcc_lo, v20, 1
	s_wait_alu 0xfffd
	v_add_co_ci_u32_e64 v26, null, 0, v21, vcc_lo
	v_cmp_eq_u32_e32 vcc_lo, s59, v15
	s_wait_alu 0xfffd
	v_cndmask_b32_e32 v14, v27, v14, vcc_lo
	v_cmp_ne_u32_e32 vcc_lo, 0, v22
	s_wait_alu 0xfffd
	v_cndmask_b32_e32 v15, v26, v24, vcc_lo
	s_delay_alu instid0(VALU_DEP_3) | instskip(SKIP_2) | instid1(VALU_DEP_2)
	v_cmp_ne_u32_e64 s0, 0, v14
	v_cndmask_b32_e32 v14, v25, v23, vcc_lo
	s_wait_alu 0xf1ff
	v_cndmask_b32_e64 v15, v21, v15, s0
	s_delay_alu instid0(VALU_DEP_2) | instskip(NEXT) | instid1(VALU_DEP_2)
	v_cndmask_b32_e64 v14, v20, v14, s0
	v_xor_b32_e32 v15, v15, v3
	s_delay_alu instid0(VALU_DEP_2) | instskip(NEXT) | instid1(VALU_DEP_1)
	v_xor_b32_e32 v14, v14, v3
	v_sub_co_u32 v14, vcc_lo, v14, v3
	s_wait_alu 0xfffd
	s_delay_alu instid0(VALU_DEP_3)
	v_sub_co_ci_u32_e64 v15, null, v15, v3, vcc_lo
.LBB87_27:                              ;   in Loop: Header=BB87_21 Depth=2
	s_wait_alu 0xfffe
	s_and_not1_saveexec_b32 s0, s1
	s_cbranch_execz .LBB87_20
; %bb.28:                               ;   in Loop: Header=BB87_21 Depth=2
	v_cvt_f32_u32_e32 v3, s54
	s_sub_co_i32 s1, 0, s54
	s_delay_alu instid0(VALU_DEP_1) | instskip(NEXT) | instid1(TRANS32_DEP_1)
	v_rcp_iflag_f32_e32 v3, v3
	v_mul_f32_e32 v3, 0x4f7ffffe, v3
	s_delay_alu instid0(VALU_DEP_1) | instskip(SKIP_1) | instid1(VALU_DEP_1)
	v_cvt_u32_f32_e32 v3, v3
	s_wait_alu 0xfffe
	v_mul_lo_u32 v14, s1, v3
	s_delay_alu instid0(VALU_DEP_1) | instskip(NEXT) | instid1(VALU_DEP_1)
	v_mul_hi_u32 v14, v3, v14
	v_add_nc_u32_e32 v3, v3, v14
	s_delay_alu instid0(VALU_DEP_1) | instskip(NEXT) | instid1(VALU_DEP_1)
	v_mul_hi_u32 v3, v12, v3
	v_mul_lo_u32 v14, v3, s54
	v_add_nc_u32_e32 v15, 1, v3
	s_delay_alu instid0(VALU_DEP_2) | instskip(NEXT) | instid1(VALU_DEP_1)
	v_sub_nc_u32_e32 v14, v12, v14
	v_subrev_nc_u32_e32 v20, s54, v14
	v_cmp_le_u32_e32 vcc_lo, s54, v14
	s_wait_alu 0xfffd
	s_delay_alu instid0(VALU_DEP_2) | instskip(NEXT) | instid1(VALU_DEP_1)
	v_dual_cndmask_b32 v14, v14, v20 :: v_dual_cndmask_b32 v3, v3, v15
	v_cmp_le_u32_e32 vcc_lo, s54, v14
	s_delay_alu instid0(VALU_DEP_2) | instskip(SKIP_1) | instid1(VALU_DEP_1)
	v_add_nc_u32_e32 v15, 1, v3
	s_wait_alu 0xfffd
	v_dual_cndmask_b32 v14, v3, v15 :: v_dual_mov_b32 v15, v2
	s_branch .LBB87_20
.LBB87_29:                              ;   in Loop: Header=BB87_3 Depth=1
	v_sub_co_u32 v10, vcc_lo, v4, v16
	s_wait_alu 0xfffd
	v_sub_co_ci_u32_e64 v11, null, v5, v17, vcc_lo
	v_dual_mov_b32 v12, 0 :: v_dual_mov_b32 v13, 0
	s_delay_alu instid0(VALU_DEP_3) | instskip(SKIP_1) | instid1(VALU_DEP_3)
	v_add_co_u32 v14, vcc_lo, v10, 2
	s_wait_alu 0xfffd
	v_add_co_ci_u32_e64 v15, null, 0, v11, vcc_lo
	v_dual_mov_b32 v16, 0 :: v_dual_mov_b32 v17, 0
	s_mov_b32 s1, exec_lo
	s_delay_alu instid0(VALU_DEP_2)
	v_cmpx_le_i64_e64 s[4:5], v[14:15]
	s_cbranch_execz .LBB87_35
; %bb.30:                               ;   in Loop: Header=BB87_3 Depth=1
	v_dual_mov_b32 v13, 0 :: v_dual_mov_b32 v12, 0
	v_dual_mov_b32 v15, 0 :: v_dual_mov_b32 v14, 0
	s_mov_b32 s0, exec_lo
	v_cmpx_gt_i64_e64 s[10:11], v[4:5]
	s_cbranch_execz .LBB87_34
; %bb.31:                               ;   in Loop: Header=BB87_3 Depth=1
	v_lshlrev_b64_e32 v[8:9], 3, v[8:9]
	s_delay_alu instid0(VALU_DEP_1) | instskip(SKIP_1) | instid1(VALU_DEP_2)
	v_add_co_u32 v8, vcc_lo, s2, v8
	s_wait_alu 0xfffd
	v_add_co_ci_u32_e64 v9, null, s3, v9, vcc_lo
	v_add_co_u32 v14, vcc_lo, v4, 1
	s_wait_alu 0xfffd
	v_add_co_ci_u32_e64 v15, null, 0, v5, vcc_lo
	global_load_b64 v[12:13], v[8:9], off
	v_cmp_gt_i64_e32 vcc_lo, s[10:11], v[14:15]
	v_dual_mov_b32 v14, 0 :: v_dual_mov_b32 v15, 0
	s_and_saveexec_b32 s26, vcc_lo
	s_wait_alu 0xfffe
	s_xor_b32 s26, exec_lo, s26
	s_cbranch_execz .LBB87_33
; %bb.32:                               ;   in Loop: Header=BB87_3 Depth=1
	s_lshl_b64 s[42:43], s[14:15], 3
	s_wait_alu 0xfffe
	v_add_co_u32 v8, vcc_lo, v8, s42
	s_wait_alu 0xfffd
	v_add_co_ci_u32_e64 v9, null, s43, v9, vcc_lo
	global_load_b64 v[14:15], v[8:9], off
.LBB87_33:                              ;   in Loop: Header=BB87_3 Depth=1
	s_wait_alu 0xfffe
	s_or_b32 exec_lo, exec_lo, s26
.LBB87_34:                              ;   in Loop: Header=BB87_3 Depth=1
	s_wait_alu 0xfffe
	s_or_b32 exec_lo, exec_lo, s0
	v_add_co_u32 v8, vcc_lo, v10, 1
	s_wait_alu 0xfffd
	v_add_co_ci_u32_e64 v9, null, 0, v11, vcc_lo
	v_cmp_gt_i64_e32 vcc_lo, s[4:5], v[10:11]
	s_delay_alu instid0(VALU_DEP_2)
	v_cmp_gt_i64_e64 s0, s[4:5], v[8:9]
	s_wait_loadcnt 0x0
	s_wait_alu 0xfffd
	v_cndmask_b32_e64 v16, v12, 0, vcc_lo
	v_cndmask_b32_e64 v17, v13, 0, vcc_lo
	s_wait_alu 0xf1ff
	v_cndmask_b32_e64 v12, v14, 0, s0
	v_cndmask_b32_e64 v13, v15, 0, s0
.LBB87_35:                              ;   in Loop: Header=BB87_3 Depth=1
	s_wait_alu 0xfffe
	s_or_b32 exec_lo, exec_lo, s1
	s_delay_alu instid0(SALU_CYCLE_1)
	s_mov_b32 s0, exec_lo
	v_cmpx_gt_i64_e64 s[10:11], v[4:5]
	s_cbranch_execz .LBB87_2
; %bb.36:                               ;   in Loop: Header=BB87_3 Depth=1
	v_lshlrev_b64_e32 v[6:7], 3, v[6:7]
	v_add_co_u32 v8, vcc_lo, v4, 1
	s_wait_alu 0xfffd
	v_add_co_ci_u32_e64 v9, null, 0, v5, vcc_lo
	s_mov_b32 s1, exec_lo
	v_add_co_u32 v3, vcc_lo, s24, v6
	s_wait_alu 0xfffd
	v_add_co_ci_u32_e64 v4, null, s25, v7, vcc_lo
	global_store_b64 v[3:4], v[16:17], off
	v_cmpx_gt_i64_e64 s[10:11], v[8:9]
	s_wait_alu 0xfffe
	s_xor_b32 s1, exec_lo, s1
	s_cbranch_execz .LBB87_2
; %bb.37:                               ;   in Loop: Header=BB87_3 Depth=1
	s_lshl_b64 s[42:43], s[18:19], 3
	s_wait_alu 0xfffe
	v_add_co_u32 v3, vcc_lo, v3, s42
	s_wait_alu 0xfffd
	v_add_co_ci_u32_e64 v4, null, s43, v4, vcc_lo
	global_store_b64 v[3:4], v[12:13], off
	s_branch .LBB87_2
.LBB87_38:
	s_endpgm
	.section	.rodata,"a",@progbits
	.p2align	6, 0x0
	.amdhsa_kernel _ZN2at6native16triu_tril_kernelIN3c107complexIfEElLb1ELi2ELb0EEEvNS_4cuda6detail10TensorInfoIT_T0_EENS7_IKS8_S9_EEllS9_
		.amdhsa_group_segment_fixed_size 0
		.amdhsa_private_segment_fixed_size 0
		.amdhsa_kernarg_size 1112
		.amdhsa_user_sgpr_count 2
		.amdhsa_user_sgpr_dispatch_ptr 0
		.amdhsa_user_sgpr_queue_ptr 0
		.amdhsa_user_sgpr_kernarg_segment_ptr 1
		.amdhsa_user_sgpr_dispatch_id 0
		.amdhsa_user_sgpr_private_segment_size 0
		.amdhsa_wavefront_size32 1
		.amdhsa_uses_dynamic_stack 0
		.amdhsa_enable_private_segment 0
		.amdhsa_system_sgpr_workgroup_id_x 1
		.amdhsa_system_sgpr_workgroup_id_y 0
		.amdhsa_system_sgpr_workgroup_id_z 0
		.amdhsa_system_sgpr_workgroup_info 0
		.amdhsa_system_vgpr_workitem_id 0
		.amdhsa_next_free_vgpr 28
		.amdhsa_next_free_sgpr 72
		.amdhsa_reserve_vcc 1
		.amdhsa_float_round_mode_32 0
		.amdhsa_float_round_mode_16_64 0
		.amdhsa_float_denorm_mode_32 3
		.amdhsa_float_denorm_mode_16_64 3
		.amdhsa_fp16_overflow 0
		.amdhsa_workgroup_processor_mode 1
		.amdhsa_memory_ordered 1
		.amdhsa_forward_progress 1
		.amdhsa_inst_pref_size 52
		.amdhsa_round_robin_scheduling 0
		.amdhsa_exception_fp_ieee_invalid_op 0
		.amdhsa_exception_fp_denorm_src 0
		.amdhsa_exception_fp_ieee_div_zero 0
		.amdhsa_exception_fp_ieee_overflow 0
		.amdhsa_exception_fp_ieee_underflow 0
		.amdhsa_exception_fp_ieee_inexact 0
		.amdhsa_exception_int_div_zero 0
	.end_amdhsa_kernel
	.section	.text._ZN2at6native16triu_tril_kernelIN3c107complexIfEElLb1ELi2ELb0EEEvNS_4cuda6detail10TensorInfoIT_T0_EENS7_IKS8_S9_EEllS9_,"axG",@progbits,_ZN2at6native16triu_tril_kernelIN3c107complexIfEElLb1ELi2ELb0EEEvNS_4cuda6detail10TensorInfoIT_T0_EENS7_IKS8_S9_EEllS9_,comdat
.Lfunc_end87:
	.size	_ZN2at6native16triu_tril_kernelIN3c107complexIfEElLb1ELi2ELb0EEEvNS_4cuda6detail10TensorInfoIT_T0_EENS7_IKS8_S9_EEllS9_, .Lfunc_end87-_ZN2at6native16triu_tril_kernelIN3c107complexIfEElLb1ELi2ELb0EEEvNS_4cuda6detail10TensorInfoIT_T0_EENS7_IKS8_S9_EEllS9_
                                        ; -- End function
	.set _ZN2at6native16triu_tril_kernelIN3c107complexIfEElLb1ELi2ELb0EEEvNS_4cuda6detail10TensorInfoIT_T0_EENS7_IKS8_S9_EEllS9_.num_vgpr, 28
	.set _ZN2at6native16triu_tril_kernelIN3c107complexIfEElLb1ELi2ELb0EEEvNS_4cuda6detail10TensorInfoIT_T0_EENS7_IKS8_S9_EEllS9_.num_agpr, 0
	.set _ZN2at6native16triu_tril_kernelIN3c107complexIfEElLb1ELi2ELb0EEEvNS_4cuda6detail10TensorInfoIT_T0_EENS7_IKS8_S9_EEllS9_.numbered_sgpr, 72
	.set _ZN2at6native16triu_tril_kernelIN3c107complexIfEElLb1ELi2ELb0EEEvNS_4cuda6detail10TensorInfoIT_T0_EENS7_IKS8_S9_EEllS9_.num_named_barrier, 0
	.set _ZN2at6native16triu_tril_kernelIN3c107complexIfEElLb1ELi2ELb0EEEvNS_4cuda6detail10TensorInfoIT_T0_EENS7_IKS8_S9_EEllS9_.private_seg_size, 0
	.set _ZN2at6native16triu_tril_kernelIN3c107complexIfEElLb1ELi2ELb0EEEvNS_4cuda6detail10TensorInfoIT_T0_EENS7_IKS8_S9_EEllS9_.uses_vcc, 1
	.set _ZN2at6native16triu_tril_kernelIN3c107complexIfEElLb1ELi2ELb0EEEvNS_4cuda6detail10TensorInfoIT_T0_EENS7_IKS8_S9_EEllS9_.uses_flat_scratch, 0
	.set _ZN2at6native16triu_tril_kernelIN3c107complexIfEElLb1ELi2ELb0EEEvNS_4cuda6detail10TensorInfoIT_T0_EENS7_IKS8_S9_EEllS9_.has_dyn_sized_stack, 0
	.set _ZN2at6native16triu_tril_kernelIN3c107complexIfEElLb1ELi2ELb0EEEvNS_4cuda6detail10TensorInfoIT_T0_EENS7_IKS8_S9_EEllS9_.has_recursion, 0
	.set _ZN2at6native16triu_tril_kernelIN3c107complexIfEElLb1ELi2ELb0EEEvNS_4cuda6detail10TensorInfoIT_T0_EENS7_IKS8_S9_EEllS9_.has_indirect_call, 0
	.section	.AMDGPU.csdata,"",@progbits
; Kernel info:
; codeLenInByte = 6548
; TotalNumSgprs: 74
; NumVgprs: 28
; ScratchSize: 0
; MemoryBound: 0
; FloatMode: 240
; IeeeMode: 1
; LDSByteSize: 0 bytes/workgroup (compile time only)
; SGPRBlocks: 0
; VGPRBlocks: 3
; NumSGPRsForWavesPerEU: 74
; NumVGPRsForWavesPerEU: 28
; Occupancy: 16
; WaveLimiterHint : 0
; COMPUTE_PGM_RSRC2:SCRATCH_EN: 0
; COMPUTE_PGM_RSRC2:USER_SGPR: 2
; COMPUTE_PGM_RSRC2:TRAP_HANDLER: 0
; COMPUTE_PGM_RSRC2:TGID_X_EN: 1
; COMPUTE_PGM_RSRC2:TGID_Y_EN: 0
; COMPUTE_PGM_RSRC2:TGID_Z_EN: 0
; COMPUTE_PGM_RSRC2:TIDIG_COMP_CNT: 0
	.section	.text._ZN2at6native16triu_tril_kernelIN3c107complexINS2_4HalfEEEiLb1ELi2ELb1EEEvNS_4cuda6detail10TensorInfoIT_T0_EENS8_IKS9_SA_EEllSA_,"axG",@progbits,_ZN2at6native16triu_tril_kernelIN3c107complexINS2_4HalfEEEiLb1ELi2ELb1EEEvNS_4cuda6detail10TensorInfoIT_T0_EENS8_IKS9_SA_EEllSA_,comdat
	.protected	_ZN2at6native16triu_tril_kernelIN3c107complexINS2_4HalfEEEiLb1ELi2ELb1EEEvNS_4cuda6detail10TensorInfoIT_T0_EENS8_IKS9_SA_EEllSA_ ; -- Begin function _ZN2at6native16triu_tril_kernelIN3c107complexINS2_4HalfEEEiLb1ELi2ELb1EEEvNS_4cuda6detail10TensorInfoIT_T0_EENS8_IKS9_SA_EEllSA_
	.globl	_ZN2at6native16triu_tril_kernelIN3c107complexINS2_4HalfEEEiLb1ELi2ELb1EEEvNS_4cuda6detail10TensorInfoIT_T0_EENS8_IKS9_SA_EEllSA_
	.p2align	8
	.type	_ZN2at6native16triu_tril_kernelIN3c107complexINS2_4HalfEEEiLb1ELi2ELb1EEEvNS_4cuda6detail10TensorInfoIT_T0_EENS8_IKS9_SA_EEllSA_,@function
_ZN2at6native16triu_tril_kernelIN3c107complexINS2_4HalfEEEiLb1ELi2ELb1EEEvNS_4cuda6detail10TensorInfoIT_T0_EENS8_IKS9_SA_EEllSA_: ; @_ZN2at6native16triu_tril_kernelIN3c107complexINS2_4HalfEEEiLb1ELi2ELb1EEEvNS_4cuda6detail10TensorInfoIT_T0_EENS8_IKS9_SA_EEllSA_
; %bb.0:
	s_clause 0x1
	s_load_b32 s2, s[0:1], 0x1d4
	s_load_b128 s[4:7], s[0:1], 0x1b0
	v_mov_b32_e32 v2, 0
	s_mov_b32 s3, exec_lo
	s_delay_alu instid0(VALU_DEP_1)
	v_mov_b32_e32 v1, v2
	s_wait_kmcnt 0x0
	s_and_b32 s2, s2, 0xffff
	s_delay_alu instid0(VALU_DEP_1) | instid1(SALU_CYCLE_1)
	v_mad_co_u64_u32 v[0:1], null, s2, ttmp9, v[0:1]
	s_delay_alu instid0(VALU_DEP_1) | instskip(NEXT) | instid1(VALU_DEP_1)
	v_lshlrev_b64_e32 v[0:1], 1, v[0:1]
	v_cmpx_gt_i64_e64 s[6:7], v[0:1]
	s_cbranch_execz .LBB88_60
; %bb.1:
	s_clause 0x1
	s_load_b32 s20, s[0:1], 0x1a8
	s_load_b32 s8, s[0:1], 0x1c0
	s_add_nc_u64 s[12:13], s[0:1], 0x1c8
	s_add_nc_u64 s[10:11], s[0:1], 0xd8
	s_load_b32 s3, s[12:13], 0x0
	s_mov_b32 s19, 0
	s_mov_b32 s57, 0
	s_wait_kmcnt 0x0
	s_ashr_i32 s21, s20, 31
	v_cvt_f32_u32_e32 v3, s8
	s_lshl_b64 s[22:23], s[20:21], 2
	s_add_co_i32 s9, s20, 6
	s_add_nc_u64 s[12:13], s[10:11], s[22:23]
	s_mul_i32 s3, s3, s2
	s_clause 0x1
	s_load_b32 s14, s[12:13], 0x0
	s_load_b64 s[16:17], s[0:1], 0x0
	v_rcp_iflag_f32_e32 v3, v3
	s_and_b32 s18, s20, 7
	s_add_co_i32 s33, s20, -3
	s_and_b32 s52, s9, 7
	s_lshl_b32 s53, s3, 1
	s_ashr_i32 s9, s8, 31
	v_cmp_gt_i64_e64 s56, s[20:21], 2
	s_add_nc_u64 s[20:21], s[0:1], s[22:23]
	s_wait_kmcnt 0x0
	v_cvt_f32_u32_e32 v4, s14
	s_ashr_i32 s15, s14, 31
	s_cmp_lg_u32 s18, 2
	s_cselect_b32 s54, -1, 0
	s_delay_alu instid0(VALU_DEP_1)
	v_rcp_iflag_f32_e32 v4, v4
	v_mul_f32_e32 v3, 0x4f7ffffe, v3
	s_cmp_gt_u32 s33, 6
	s_cselect_b32 s55, -1, 0
	s_sub_co_i32 s2, 0, s8
	s_wait_alu 0xfffe
	s_ashr_i32 s22, s9, 31
	s_ashr_i32 s24, s15, 31
	s_delay_alu instid0(TRANS32_DEP_1) | instskip(SKIP_1) | instid1(VALU_DEP_2)
	v_mul_f32_e32 v4, 0x4f7ffffe, v4
	v_cvt_u32_f32_e32 v3, v3
	v_cvt_u32_f32_e32 v24, v4
	s_delay_alu instid0(VALU_DEP_2) | instskip(NEXT) | instid1(VALU_DEP_1)
	v_mul_lo_u32 v5, s2, v3
	v_mul_hi_u32 v5, v3, v5
	s_delay_alu instid0(VALU_DEP_1)
	v_add_nc_u32_e32 v25, v3, v5
	s_branch .LBB88_3
.LBB88_2:                               ;   in Loop: Header=BB88_3 Depth=1
	s_wait_alu 0xfffe
	s_or_b32 exec_lo, exec_lo, s23
	v_add_co_u32 v0, vcc_lo, v0, s53
	s_wait_alu 0xfffd
	v_add_co_ci_u32_e64 v1, null, 0, v1, vcc_lo
	s_delay_alu instid0(VALU_DEP_1) | instskip(SKIP_1) | instid1(SALU_CYCLE_1)
	v_cmp_le_i64_e32 vcc_lo, s[6:7], v[0:1]
	s_or_b32 s57, vcc_lo, s57
	s_and_not1_b32 exec_lo, exec_lo, s57
	s_cbranch_execz .LBB88_60
.LBB88_3:                               ; =>This Loop Header: Depth=1
                                        ;     Child Loop BB88_16 Depth 2
                                        ;     Child Loop BB88_22 Depth 2
	v_or_b32_e32 v3, s9, v1
                                        ; implicit-def: $vgpr4_vgpr5
	s_mov_b32 s2, exec_lo
	s_delay_alu instid0(VALU_DEP_1)
	v_cmpx_ne_u64_e32 0, v[2:3]
	s_wait_alu 0xfffe
	s_xor_b32 s3, exec_lo, s2
	s_cbranch_execz .LBB88_5
; %bb.4:                                ;   in Loop: Header=BB88_3 Depth=1
	s_mov_b32 s23, s22
	v_ashrrev_i32_e32 v9, 31, v1
	s_wait_alu 0xfffe
	s_add_nc_u64 s[26:27], s[8:9], s[22:23]
	s_wait_alu 0xfffe
	s_xor_b64 s[26:27], s[26:27], s[22:23]
	v_add_co_u32 v3, vcc_lo, v0, v9
	s_wait_alu 0xfffe
	s_cvt_f32_u32 s2, s26
	s_cvt_f32_u32 s18, s27
	s_sub_nc_u64 s[30:31], 0, s[26:27]
	s_wait_alu 0xfffd
	v_add_co_ci_u32_e64 v4, null, v1, v9, vcc_lo
	s_wait_alu 0xfffe
	s_fmamk_f32 s2, s18, 0x4f800000, s2
	v_xor_b32_e32 v10, v3, v9
	s_delay_alu instid0(VALU_DEP_2) | instskip(SKIP_2) | instid1(TRANS32_DEP_1)
	v_xor_b32_e32 v11, v4, v9
	s_wait_alu 0xfffe
	v_s_rcp_f32 s2, s2
	s_mul_f32 s2, s2, 0x5f7ffffc
	s_wait_alu 0xfffe
	s_delay_alu instid0(SALU_CYCLE_2) | instskip(SKIP_1) | instid1(SALU_CYCLE_2)
	s_mul_f32 s18, s2, 0x2f800000
	s_wait_alu 0xfffe
	s_trunc_f32 s18, s18
	s_wait_alu 0xfffe
	s_delay_alu instid0(SALU_CYCLE_2) | instskip(SKIP_2) | instid1(SALU_CYCLE_1)
	s_fmamk_f32 s2, s18, 0xcf800000, s2
	s_cvt_u32_f32 s29, s18
	s_wait_alu 0xfffe
	s_cvt_u32_f32 s28, s2
	s_wait_alu 0xfffe
	s_delay_alu instid0(SALU_CYCLE_2)
	s_mul_u64 s[34:35], s[30:31], s[28:29]
	s_wait_alu 0xfffe
	s_mul_hi_u32 s37, s28, s35
	s_mul_i32 s36, s28, s35
	s_mul_hi_u32 s18, s28, s34
	s_mul_i32 s23, s29, s34
	s_wait_alu 0xfffe
	s_add_nc_u64 s[36:37], s[18:19], s[36:37]
	s_mul_hi_u32 s2, s29, s34
	s_mul_hi_u32 s25, s29, s35
	s_wait_alu 0xfffe
	s_add_co_u32 s18, s36, s23
	s_add_co_ci_u32 s18, s37, s2
	s_mul_i32 s34, s29, s35
	s_add_co_ci_u32 s35, s25, 0
	s_wait_alu 0xfffe
	s_add_nc_u64 s[34:35], s[18:19], s[34:35]
	s_wait_alu 0xfffe
	s_add_co_u32 s28, s28, s34
	s_cselect_b32 s2, -1, 0
	s_wait_alu 0xfffe
	s_cmp_lg_u32 s2, 0
	s_add_co_ci_u32 s29, s29, s35
	s_wait_alu 0xfffe
	s_mul_u64 s[30:31], s[30:31], s[28:29]
	s_wait_alu 0xfffe
	s_mul_hi_u32 s35, s28, s31
	s_mul_i32 s34, s28, s31
	s_mul_hi_u32 s18, s28, s30
	s_mul_i32 s23, s29, s30
	s_wait_alu 0xfffe
	s_add_nc_u64 s[34:35], s[18:19], s[34:35]
	s_mul_hi_u32 s2, s29, s30
	s_mul_hi_u32 s25, s29, s31
	s_wait_alu 0xfffe
	s_add_co_u32 s18, s34, s23
	s_add_co_ci_u32 s18, s35, s2
	s_mul_i32 s30, s29, s31
	s_add_co_ci_u32 s31, s25, 0
	s_wait_alu 0xfffe
	s_add_nc_u64 s[30:31], s[18:19], s[30:31]
	s_wait_alu 0xfffe
	s_add_co_u32 s2, s28, s30
	s_cselect_b32 s18, -1, 0
	s_wait_alu 0xfffe
	v_mul_hi_u32 v12, v10, s2
	s_cmp_lg_u32 s18, 0
	v_mad_co_u64_u32 v[5:6], null, v11, s2, 0
	s_add_co_ci_u32 s18, s29, s31
	s_wait_alu 0xfffe
	v_mad_co_u64_u32 v[3:4], null, v10, s18, 0
	v_mad_co_u64_u32 v[7:8], null, v11, s18, 0
	s_delay_alu instid0(VALU_DEP_2) | instskip(SKIP_1) | instid1(VALU_DEP_3)
	v_add_co_u32 v3, vcc_lo, v12, v3
	s_wait_alu 0xfffd
	v_add_co_ci_u32_e64 v4, null, 0, v4, vcc_lo
	s_delay_alu instid0(VALU_DEP_2) | instskip(SKIP_1) | instid1(VALU_DEP_2)
	v_add_co_u32 v3, vcc_lo, v3, v5
	s_wait_alu 0xfffd
	v_add_co_ci_u32_e32 v3, vcc_lo, v4, v6, vcc_lo
	s_wait_alu 0xfffd
	v_add_co_ci_u32_e32 v4, vcc_lo, 0, v8, vcc_lo
	s_delay_alu instid0(VALU_DEP_2) | instskip(SKIP_1) | instid1(VALU_DEP_2)
	v_add_co_u32 v5, vcc_lo, v3, v7
	s_wait_alu 0xfffd
	v_add_co_ci_u32_e64 v6, null, 0, v4, vcc_lo
	s_delay_alu instid0(VALU_DEP_2) | instskip(SKIP_1) | instid1(VALU_DEP_3)
	v_mul_lo_u32 v7, s27, v5
	v_mad_co_u64_u32 v[3:4], null, s26, v5, 0
	v_mul_lo_u32 v8, s26, v6
	s_delay_alu instid0(VALU_DEP_2) | instskip(NEXT) | instid1(VALU_DEP_2)
	v_sub_co_u32 v3, vcc_lo, v10, v3
	v_add3_u32 v4, v4, v8, v7
	v_add_co_u32 v8, s2, v5, 2
	s_wait_alu 0xf1ff
	v_add_co_ci_u32_e64 v10, null, 0, v6, s2
	s_delay_alu instid0(VALU_DEP_3) | instskip(SKIP_3) | instid1(VALU_DEP_3)
	v_sub_nc_u32_e32 v7, v11, v4
	v_sub_co_u32 v12, s2, v3, s26
	s_wait_alu 0xfffd
	v_sub_co_ci_u32_e64 v4, null, v11, v4, vcc_lo
	v_subrev_co_ci_u32_e64 v7, null, s27, v7, vcc_lo
	s_delay_alu instid0(VALU_DEP_3) | instskip(SKIP_1) | instid1(VALU_DEP_2)
	v_cmp_le_u32_e32 vcc_lo, s26, v12
	s_wait_alu 0xf1ff
	v_subrev_co_ci_u32_e64 v7, null, 0, v7, s2
	s_wait_alu 0xfffd
	v_cndmask_b32_e64 v11, 0, -1, vcc_lo
	s_delay_alu instid0(VALU_DEP_2)
	v_cmp_le_u32_e32 vcc_lo, s27, v7
	s_wait_alu 0xfffd
	v_cndmask_b32_e64 v12, 0, -1, vcc_lo
	v_cmp_le_u32_e32 vcc_lo, s26, v3
	s_wait_alu 0xfffd
	v_cndmask_b32_e64 v3, 0, -1, vcc_lo
	;; [unrolled: 3-line block ×3, first 2 shown]
	v_cmp_eq_u32_e32 vcc_lo, s27, v7
	s_wait_alu 0xfffd
	v_cndmask_b32_e32 v7, v12, v11, vcc_lo
	v_add_co_u32 v11, vcc_lo, v5, 1
	s_wait_alu 0xfffd
	v_add_co_ci_u32_e64 v12, null, 0, v6, vcc_lo
	v_cmp_eq_u32_e32 vcc_lo, s27, v4
	s_wait_alu 0xfffd
	v_cndmask_b32_e32 v3, v13, v3, vcc_lo
	v_cmp_ne_u32_e32 vcc_lo, 0, v7
	v_xor_b32_e32 v7, s22, v9
	s_wait_alu 0xfffd
	v_cndmask_b32_e32 v4, v12, v10, vcc_lo
	v_cmp_ne_u32_e64 s2, 0, v3
	v_cndmask_b32_e32 v3, v11, v8, vcc_lo
	s_wait_alu 0xf1ff
	s_delay_alu instid0(VALU_DEP_2) | instskip(NEXT) | instid1(VALU_DEP_2)
	v_cndmask_b32_e64 v4, v6, v4, s2
	v_cndmask_b32_e64 v3, v5, v3, s2
	s_delay_alu instid0(VALU_DEP_2) | instskip(NEXT) | instid1(VALU_DEP_2)
	v_xor_b32_e32 v5, v4, v7
	v_xor_b32_e32 v3, v3, v7
	s_delay_alu instid0(VALU_DEP_1) | instskip(SKIP_1) | instid1(VALU_DEP_3)
	v_sub_co_u32 v4, vcc_lo, v3, v7
	s_wait_alu 0xfffd
	v_sub_co_ci_u32_e64 v5, null, v5, v7, vcc_lo
.LBB88_5:                               ;   in Loop: Header=BB88_3 Depth=1
	s_wait_alu 0xfffe
	s_and_not1_saveexec_b32 s2, s3
	s_cbranch_execz .LBB88_7
; %bb.6:                                ;   in Loop: Header=BB88_3 Depth=1
	v_mul_hi_u32 v3, v0, v25
	s_delay_alu instid0(VALU_DEP_1) | instskip(NEXT) | instid1(VALU_DEP_1)
	v_mul_lo_u32 v4, v3, s8
	v_sub_nc_u32_e32 v4, v0, v4
	s_delay_alu instid0(VALU_DEP_1) | instskip(SKIP_2) | instid1(VALU_DEP_2)
	v_subrev_nc_u32_e32 v6, s8, v4
	v_cmp_le_u32_e32 vcc_lo, s8, v4
	s_wait_alu 0xfffd
	v_dual_cndmask_b32 v4, v4, v6 :: v_dual_add_nc_u32 v5, 1, v3
	s_delay_alu instid0(VALU_DEP_1) | instskip(NEXT) | instid1(VALU_DEP_2)
	v_cndmask_b32_e32 v3, v3, v5, vcc_lo
	v_cmp_le_u32_e32 vcc_lo, s8, v4
	s_delay_alu instid0(VALU_DEP_2) | instskip(SKIP_1) | instid1(VALU_DEP_1)
	v_add_nc_u32_e32 v5, 1, v3
	s_wait_alu 0xfffd
	v_dual_cndmask_b32 v4, v3, v5 :: v_dual_mov_b32 v5, v2
.LBB88_7:                               ;   in Loop: Header=BB88_3 Depth=1
	s_wait_alu 0xfffe
	s_or_b32 exec_lo, exec_lo, s2
	s_delay_alu instid0(VALU_DEP_1) | instskip(SKIP_1) | instid1(VALU_DEP_1)
	v_or_b32_e32 v3, s15, v5
                                        ; implicit-def: $vgpr6_vgpr7
	s_mov_b32 s2, exec_lo
	v_cmpx_ne_u64_e32 0, v[2:3]
	s_wait_alu 0xfffe
	s_xor_b32 s3, exec_lo, s2
	s_cbranch_execz .LBB88_9
; %bb.8:                                ;   in Loop: Header=BB88_3 Depth=1
	s_mov_b32 s25, s24
	v_ashrrev_i32_e32 v3, 31, v5
	s_wait_alu 0xfffe
	s_add_nc_u64 s[26:27], s[14:15], s[24:25]
	s_wait_alu 0xfffe
	s_xor_b64 s[26:27], s[26:27], s[24:25]
	v_add_co_u32 v6, vcc_lo, v4, v3
	s_wait_alu 0xfffe
	s_cvt_f32_u32 s2, s26
	s_cvt_f32_u32 s18, s27
	s_sub_nc_u64 s[30:31], 0, s[26:27]
	s_wait_alu 0xfffd
	v_add_co_ci_u32_e64 v5, null, v5, v3, vcc_lo
	s_wait_alu 0xfffe
	s_fmamk_f32 s2, s18, 0x4f800000, s2
	v_xor_b32_e32 v11, v6, v3
	s_delay_alu instid0(VALU_DEP_2) | instskip(SKIP_3) | instid1(TRANS32_DEP_1)
	v_xor_b32_e32 v12, v5, v3
	s_wait_alu 0xfffe
	v_s_rcp_f32 s2, s2
	v_xor_b32_e32 v3, s24, v3
	s_mul_f32 s2, s2, 0x5f7ffffc
	s_wait_alu 0xfffe
	s_delay_alu instid0(SALU_CYCLE_2) | instskip(SKIP_1) | instid1(SALU_CYCLE_2)
	s_mul_f32 s18, s2, 0x2f800000
	s_wait_alu 0xfffe
	s_trunc_f32 s18, s18
	s_wait_alu 0xfffe
	s_delay_alu instid0(SALU_CYCLE_2) | instskip(SKIP_2) | instid1(SALU_CYCLE_1)
	s_fmamk_f32 s2, s18, 0xcf800000, s2
	s_cvt_u32_f32 s29, s18
	s_wait_alu 0xfffe
	s_cvt_u32_f32 s28, s2
	s_wait_alu 0xfffe
	s_delay_alu instid0(SALU_CYCLE_2)
	s_mul_u64 s[34:35], s[30:31], s[28:29]
	s_wait_alu 0xfffe
	s_mul_hi_u32 s37, s28, s35
	s_mul_i32 s36, s28, s35
	s_mul_hi_u32 s18, s28, s34
	s_mul_i32 s23, s29, s34
	s_wait_alu 0xfffe
	s_add_nc_u64 s[36:37], s[18:19], s[36:37]
	s_mul_hi_u32 s2, s29, s34
	s_mul_hi_u32 s25, s29, s35
	s_wait_alu 0xfffe
	s_add_co_u32 s18, s36, s23
	s_add_co_ci_u32 s18, s37, s2
	s_mul_i32 s34, s29, s35
	s_add_co_ci_u32 s35, s25, 0
	s_wait_alu 0xfffe
	s_add_nc_u64 s[34:35], s[18:19], s[34:35]
	s_wait_alu 0xfffe
	s_add_co_u32 s28, s28, s34
	s_cselect_b32 s2, -1, 0
	s_wait_alu 0xfffe
	s_cmp_lg_u32 s2, 0
	s_add_co_ci_u32 s29, s29, s35
	s_wait_alu 0xfffe
	s_mul_u64 s[30:31], s[30:31], s[28:29]
	s_wait_alu 0xfffe
	s_mul_hi_u32 s35, s28, s31
	s_mul_i32 s34, s28, s31
	s_mul_hi_u32 s18, s28, s30
	s_mul_i32 s23, s29, s30
	s_wait_alu 0xfffe
	s_add_nc_u64 s[34:35], s[18:19], s[34:35]
	s_mul_hi_u32 s2, s29, s30
	s_mul_hi_u32 s25, s29, s31
	s_wait_alu 0xfffe
	s_add_co_u32 s18, s34, s23
	s_add_co_ci_u32 s18, s35, s2
	s_mul_i32 s30, s29, s31
	s_add_co_ci_u32 s31, s25, 0
	s_wait_alu 0xfffe
	s_add_nc_u64 s[30:31], s[18:19], s[30:31]
	s_wait_alu 0xfffe
	s_add_co_u32 s2, s28, s30
	s_cselect_b32 s18, -1, 0
	s_wait_alu 0xfffe
	v_mul_hi_u32 v13, v11, s2
	s_cmp_lg_u32 s18, 0
	v_mad_co_u64_u32 v[7:8], null, v12, s2, 0
	s_add_co_ci_u32 s18, s29, s31
	s_wait_alu 0xfffe
	v_mad_co_u64_u32 v[5:6], null, v11, s18, 0
	v_mad_co_u64_u32 v[9:10], null, v12, s18, 0
	s_delay_alu instid0(VALU_DEP_2) | instskip(SKIP_1) | instid1(VALU_DEP_3)
	v_add_co_u32 v5, vcc_lo, v13, v5
	s_wait_alu 0xfffd
	v_add_co_ci_u32_e64 v6, null, 0, v6, vcc_lo
	s_delay_alu instid0(VALU_DEP_2) | instskip(SKIP_1) | instid1(VALU_DEP_2)
	v_add_co_u32 v5, vcc_lo, v5, v7
	s_wait_alu 0xfffd
	v_add_co_ci_u32_e32 v5, vcc_lo, v6, v8, vcc_lo
	s_wait_alu 0xfffd
	v_add_co_ci_u32_e32 v6, vcc_lo, 0, v10, vcc_lo
	s_delay_alu instid0(VALU_DEP_2) | instskip(SKIP_1) | instid1(VALU_DEP_2)
	v_add_co_u32 v7, vcc_lo, v5, v9
	s_wait_alu 0xfffd
	v_add_co_ci_u32_e64 v8, null, 0, v6, vcc_lo
	s_delay_alu instid0(VALU_DEP_2) | instskip(SKIP_1) | instid1(VALU_DEP_3)
	v_mul_lo_u32 v9, s27, v7
	v_mad_co_u64_u32 v[5:6], null, s26, v7, 0
	v_mul_lo_u32 v10, s26, v8
	s_delay_alu instid0(VALU_DEP_2) | instskip(NEXT) | instid1(VALU_DEP_2)
	v_sub_co_u32 v5, vcc_lo, v11, v5
	v_add3_u32 v6, v6, v10, v9
	v_add_co_u32 v10, s2, v7, 2
	s_wait_alu 0xf1ff
	v_add_co_ci_u32_e64 v11, null, 0, v8, s2
	s_delay_alu instid0(VALU_DEP_3) | instskip(SKIP_3) | instid1(VALU_DEP_3)
	v_sub_nc_u32_e32 v9, v12, v6
	v_sub_co_u32 v13, s2, v5, s26
	s_wait_alu 0xfffd
	v_sub_co_ci_u32_e64 v6, null, v12, v6, vcc_lo
	v_subrev_co_ci_u32_e64 v9, null, s27, v9, vcc_lo
	s_delay_alu instid0(VALU_DEP_3) | instskip(SKIP_1) | instid1(VALU_DEP_2)
	v_cmp_le_u32_e32 vcc_lo, s26, v13
	s_wait_alu 0xf1ff
	v_subrev_co_ci_u32_e64 v9, null, 0, v9, s2
	s_wait_alu 0xfffd
	v_cndmask_b32_e64 v12, 0, -1, vcc_lo
	s_delay_alu instid0(VALU_DEP_2)
	v_cmp_le_u32_e32 vcc_lo, s27, v9
	s_wait_alu 0xfffd
	v_cndmask_b32_e64 v13, 0, -1, vcc_lo
	v_cmp_le_u32_e32 vcc_lo, s26, v5
	s_wait_alu 0xfffd
	v_cndmask_b32_e64 v5, 0, -1, vcc_lo
	;; [unrolled: 3-line block ×3, first 2 shown]
	v_cmp_eq_u32_e32 vcc_lo, s27, v9
	s_wait_alu 0xfffd
	v_cndmask_b32_e32 v9, v13, v12, vcc_lo
	v_add_co_u32 v12, vcc_lo, v7, 1
	s_wait_alu 0xfffd
	v_add_co_ci_u32_e64 v13, null, 0, v8, vcc_lo
	v_cmp_eq_u32_e32 vcc_lo, s27, v6
	s_wait_alu 0xfffd
	v_cndmask_b32_e32 v5, v14, v5, vcc_lo
	v_cmp_ne_u32_e32 vcc_lo, 0, v9
	s_wait_alu 0xfffd
	v_cndmask_b32_e32 v6, v13, v11, vcc_lo
	s_delay_alu instid0(VALU_DEP_3) | instskip(SKIP_2) | instid1(VALU_DEP_2)
	v_cmp_ne_u32_e64 s2, 0, v5
	v_cndmask_b32_e32 v5, v12, v10, vcc_lo
	s_wait_alu 0xf1ff
	v_cndmask_b32_e64 v6, v8, v6, s2
	s_delay_alu instid0(VALU_DEP_2) | instskip(NEXT) | instid1(VALU_DEP_2)
	v_cndmask_b32_e64 v5, v7, v5, s2
	v_xor_b32_e32 v7, v6, v3
	s_delay_alu instid0(VALU_DEP_2) | instskip(NEXT) | instid1(VALU_DEP_1)
	v_xor_b32_e32 v5, v5, v3
	v_sub_co_u32 v6, vcc_lo, v5, v3
	s_wait_alu 0xfffd
	s_delay_alu instid0(VALU_DEP_3)
	v_sub_co_ci_u32_e64 v7, null, v7, v3, vcc_lo
.LBB88_9:                               ;   in Loop: Header=BB88_3 Depth=1
	s_wait_alu 0xfffe
	s_and_not1_saveexec_b32 s2, s3
	s_cbranch_execz .LBB88_11
; %bb.10:                               ;   in Loop: Header=BB88_3 Depth=1
	s_sub_co_i32 s3, 0, s14
	s_wait_alu 0xfffe
	v_mul_lo_u32 v3, s3, v24
	s_delay_alu instid0(VALU_DEP_1) | instskip(NEXT) | instid1(VALU_DEP_1)
	v_mul_hi_u32 v3, v24, v3
	v_add_nc_u32_e32 v3, v24, v3
	s_delay_alu instid0(VALU_DEP_1) | instskip(NEXT) | instid1(VALU_DEP_1)
	v_mul_hi_u32 v3, v4, v3
	v_mul_lo_u32 v5, v3, s14
	v_add_nc_u32_e32 v6, 1, v3
	s_delay_alu instid0(VALU_DEP_2) | instskip(NEXT) | instid1(VALU_DEP_1)
	v_sub_nc_u32_e32 v5, v4, v5
	v_subrev_nc_u32_e32 v7, s14, v5
	v_cmp_le_u32_e32 vcc_lo, s14, v5
	s_wait_alu 0xfffd
	s_delay_alu instid0(VALU_DEP_2) | instskip(SKIP_2) | instid1(VALU_DEP_3)
	v_cndmask_b32_e32 v5, v5, v7, vcc_lo
	v_mov_b32_e32 v7, v2
	v_cndmask_b32_e32 v3, v3, v6, vcc_lo
	v_cmp_le_u32_e32 vcc_lo, s14, v5
	s_delay_alu instid0(VALU_DEP_2) | instskip(SKIP_1) | instid1(VALU_DEP_1)
	v_add_nc_u32_e32 v6, 1, v3
	s_wait_alu 0xfffd
	v_cndmask_b32_e32 v6, v3, v6, vcc_lo
.LBB88_11:                              ;   in Loop: Header=BB88_3 Depth=1
	s_wait_alu 0xfffe
	s_or_b32 exec_lo, exec_lo, s2
	v_mad_co_u64_u32 v[8:9], null, v4, s8, 0
	s_delay_alu instid0(VALU_DEP_2) | instskip(SKIP_3) | instid1(VALU_DEP_1)
	v_mad_co_u64_u32 v[9:10], null, v6, s14, 0
	s_mov_b32 s23, exec_lo
	v_sub_co_u32 v27, null, v0, v8
	v_sub_co_u32 v26, null, v4, v9
	v_sub_nc_u32_e32 v3, v27, v26
	s_delay_alu instid0(VALU_DEP_1) | instskip(NEXT) | instid1(VALU_DEP_1)
	v_ashrrev_i32_e32 v4, 31, v3
	v_cmpx_gt_i64_e64 s[4:5], v[3:4]
	s_cbranch_execz .LBB88_2
; %bb.12:                               ;   in Loop: Header=BB88_3 Depth=1
	s_load_b64 s[2:3], s[20:21], 0x64
	s_and_not1_b32 vcc_lo, exec_lo, s56
	s_wait_kmcnt 0x0
	v_mul_lo_u32 v3, s3, v27
	s_delay_alu instid0(VALU_DEP_1)
	v_mad_co_u64_u32 v[4:5], null, s2, v26, v[3:4]
	s_wait_alu 0xfffe
	s_cbranch_vccnz .LBB88_56
; %bb.13:                               ;   in Loop: Header=BB88_3 Depth=1
	s_mov_b32 s25, s52
	s_and_not1_b32 vcc_lo, exec_lo, s54
	s_mov_b32 s18, s33
	s_mov_b32 s2, s33
	s_wait_alu 0xfffe
	s_cbranch_vccz .LBB88_16
; %bb.14:                               ;   in Loop: Header=BB88_3 Depth=1
	s_and_not1_b32 vcc_lo, exec_lo, s55
	s_wait_alu 0xfffe
	s_cbranch_vccz .LBB88_21
	s_branch .LBB88_56
.LBB88_15:                              ;   in Loop: Header=BB88_16 Depth=2
	s_wait_alu 0xfffe
	s_or_b32 exec_lo, exec_lo, s2
	s_add_nc_u64 s[26:27], s[0:1], s[26:27]
	v_mul_lo_u32 v3, v8, s28
	s_load_b32 s2, s[26:27], 0x6c
	s_add_co_i32 s25, s25, -1
	s_add_co_i32 s18, s18, -1
	s_wait_alu 0xfffe
	s_cmp_lg_u32 s25, 0
	s_delay_alu instid0(VALU_DEP_1) | instskip(SKIP_2) | instid1(VALU_DEP_2)
	v_sub_nc_u32_e32 v3, v6, v3
	v_dual_mov_b32 v6, v8 :: v_dual_mov_b32 v7, v9
	s_wait_kmcnt 0x0
	v_mad_co_u64_u32 v[4:5], null, s2, v3, v[4:5]
	s_cbranch_scc0 .LBB88_20
.LBB88_16:                              ;   Parent Loop BB88_3 Depth=1
                                        ; =>  This Inner Loop Header: Depth=2
	s_lshl_b64 s[26:27], s[18:19], 2
                                        ; implicit-def: $vgpr8_vgpr9
	s_mov_b32 s2, exec_lo
	s_wait_alu 0xfffe
	s_add_nc_u64 s[28:29], s[10:11], s[26:27]
	s_load_b32 s28, s[28:29], 0x8
	s_wait_kmcnt 0x0
	s_ashr_i32 s29, s28, 31
	s_wait_alu 0xfffe
	v_or_b32_e32 v3, s29, v7
	s_delay_alu instid0(VALU_DEP_1)
	v_cmpx_ne_u64_e32 0, v[2:3]
	s_xor_b32 s36, exec_lo, s2
	s_cbranch_execz .LBB88_18
; %bb.17:                               ;   in Loop: Header=BB88_16 Depth=2
	s_ashr_i32 s30, s29, 31
	s_mov_b32 s43, s19
	s_wait_alu 0xfffe
	s_mov_b32 s31, s30
	s_mov_b32 s47, s19
	s_wait_alu 0xfffe
	s_add_nc_u64 s[34:35], s[28:29], s[30:31]
	v_ashrrev_i32_e32 v3, 31, v7
	s_wait_alu 0xfffe
	s_xor_b64 s[34:35], s[34:35], s[30:31]
	s_wait_alu 0xfffe
	s_cvt_f32_u32 s2, s34
	s_cvt_f32_u32 s29, s35
	s_sub_nc_u64 s[40:41], 0, s[34:35]
	v_add_co_u32 v5, vcc_lo, v6, v3
	s_wait_alu 0xfffe
	s_fmamk_f32 s2, s29, 0x4f800000, s2
	s_wait_alu 0xfffd
	v_add_co_ci_u32_e64 v7, null, v7, v3, vcc_lo
	v_xor_b32_e32 v5, v5, v3
	s_wait_alu 0xfffe
	v_s_rcp_f32 s2, s2
	s_delay_alu instid0(VALU_DEP_2) | instskip(SKIP_1) | instid1(TRANS32_DEP_1)
	v_xor_b32_e32 v13, v7, v3
	v_xor_b32_e32 v3, s30, v3
	s_mul_f32 s2, s2, 0x5f7ffffc
	s_wait_alu 0xfffe
	s_delay_alu instid0(SALU_CYCLE_2) | instskip(SKIP_1) | instid1(SALU_CYCLE_2)
	s_mul_f32 s29, s2, 0x2f800000
	s_wait_alu 0xfffe
	s_trunc_f32 s29, s29
	s_wait_alu 0xfffe
	s_delay_alu instid0(SALU_CYCLE_2) | instskip(SKIP_2) | instid1(SALU_CYCLE_1)
	s_fmamk_f32 s2, s29, 0xcf800000, s2
	s_cvt_u32_f32 s39, s29
	s_wait_alu 0xfffe
	s_cvt_u32_f32 s38, s2
	s_wait_alu 0xfffe
	s_delay_alu instid0(SALU_CYCLE_2)
	s_mul_u64 s[44:45], s[40:41], s[38:39]
	s_wait_alu 0xfffe
	s_mul_hi_u32 s49, s38, s45
	s_mul_i32 s48, s38, s45
	s_mul_hi_u32 s42, s38, s44
	s_mul_i32 s29, s39, s44
	s_wait_alu 0xfffe
	s_add_nc_u64 s[42:43], s[42:43], s[48:49]
	s_mul_hi_u32 s2, s39, s44
	s_mul_hi_u32 s31, s39, s45
	s_wait_alu 0xfffe
	s_add_co_u32 s29, s42, s29
	s_add_co_ci_u32 s46, s43, s2
	s_mul_i32 s44, s39, s45
	s_add_co_ci_u32 s45, s31, 0
	s_wait_alu 0xfffe
	s_add_nc_u64 s[42:43], s[46:47], s[44:45]
	s_mov_b32 s45, s19
	s_wait_alu 0xfffe
	s_add_co_u32 s38, s38, s42
	s_cselect_b32 s2, -1, 0
	s_wait_alu 0xfffe
	s_cmp_lg_u32 s2, 0
	s_add_co_ci_u32 s39, s39, s43
	s_mov_b32 s43, s19
	s_wait_alu 0xfffe
	s_mul_u64 s[40:41], s[40:41], s[38:39]
	s_wait_alu 0xfffe
	s_mul_hi_u32 s47, s38, s41
	s_mul_i32 s46, s38, s41
	s_mul_hi_u32 s44, s38, s40
	s_mul_i32 s29, s39, s40
	s_wait_alu 0xfffe
	s_add_nc_u64 s[44:45], s[44:45], s[46:47]
	s_mul_hi_u32 s2, s39, s40
	s_mul_hi_u32 s31, s39, s41
	s_wait_alu 0xfffe
	s_add_co_u32 s29, s44, s29
	s_add_co_ci_u32 s42, s45, s2
	s_mul_i32 s40, s39, s41
	s_add_co_ci_u32 s41, s31, 0
	s_wait_alu 0xfffe
	s_add_nc_u64 s[40:41], s[42:43], s[40:41]
	s_wait_alu 0xfffe
	s_add_co_u32 s2, s38, s40
	s_cselect_b32 s29, -1, 0
	s_wait_alu 0xfffe
	v_mul_hi_u32 v14, v5, s2
	s_cmp_lg_u32 s29, 0
	v_mad_co_u64_u32 v[9:10], null, v13, s2, 0
	s_add_co_ci_u32 s29, s39, s41
	s_wait_alu 0xfffe
	v_mad_co_u64_u32 v[7:8], null, v5, s29, 0
	v_mad_co_u64_u32 v[11:12], null, v13, s29, 0
	s_delay_alu instid0(VALU_DEP_2) | instskip(SKIP_1) | instid1(VALU_DEP_3)
	v_add_co_u32 v7, vcc_lo, v14, v7
	s_wait_alu 0xfffd
	v_add_co_ci_u32_e64 v8, null, 0, v8, vcc_lo
	s_delay_alu instid0(VALU_DEP_2) | instskip(SKIP_1) | instid1(VALU_DEP_2)
	v_add_co_u32 v7, vcc_lo, v7, v9
	s_wait_alu 0xfffd
	v_add_co_ci_u32_e32 v7, vcc_lo, v8, v10, vcc_lo
	s_wait_alu 0xfffd
	v_add_co_ci_u32_e32 v8, vcc_lo, 0, v12, vcc_lo
	s_delay_alu instid0(VALU_DEP_2) | instskip(SKIP_1) | instid1(VALU_DEP_2)
	v_add_co_u32 v9, vcc_lo, v7, v11
	s_wait_alu 0xfffd
	v_add_co_ci_u32_e64 v10, null, 0, v8, vcc_lo
	s_delay_alu instid0(VALU_DEP_2) | instskip(SKIP_1) | instid1(VALU_DEP_3)
	v_mul_lo_u32 v11, s35, v9
	v_mad_co_u64_u32 v[7:8], null, s34, v9, 0
	v_mul_lo_u32 v12, s34, v10
	s_delay_alu instid0(VALU_DEP_2) | instskip(NEXT) | instid1(VALU_DEP_2)
	v_sub_co_u32 v5, vcc_lo, v5, v7
	v_add3_u32 v8, v8, v12, v11
	s_delay_alu instid0(VALU_DEP_1) | instskip(SKIP_2) | instid1(VALU_DEP_2)
	v_sub_nc_u32_e32 v11, v13, v8
	s_wait_alu 0xfffd
	v_sub_co_ci_u32_e64 v8, null, v13, v8, vcc_lo
	v_subrev_co_ci_u32_e64 v7, null, s35, v11, vcc_lo
	v_add_co_u32 v11, s2, v9, 2
	s_wait_alu 0xf1ff
	v_add_co_ci_u32_e64 v12, null, 0, v10, s2
	v_sub_co_u32 v14, s2, v5, s34
	s_wait_alu 0xf1ff
	v_subrev_co_ci_u32_e64 v7, null, 0, v7, s2
	s_delay_alu instid0(VALU_DEP_2) | instskip(SKIP_2) | instid1(VALU_DEP_3)
	v_cmp_le_u32_e32 vcc_lo, s34, v14
	s_wait_alu 0xfffd
	v_cndmask_b32_e64 v13, 0, -1, vcc_lo
	v_cmp_le_u32_e32 vcc_lo, s35, v7
	s_wait_alu 0xfffd
	v_cndmask_b32_e64 v14, 0, -1, vcc_lo
	;; [unrolled: 3-line block ×4, first 2 shown]
	v_cmp_eq_u32_e32 vcc_lo, s35, v7
	s_wait_alu 0xfffd
	v_cndmask_b32_e32 v7, v14, v13, vcc_lo
	v_add_co_u32 v13, vcc_lo, v9, 1
	s_wait_alu 0xfffd
	v_add_co_ci_u32_e64 v14, null, 0, v10, vcc_lo
	v_cmp_eq_u32_e32 vcc_lo, s35, v8
	s_wait_alu 0xfffd
	v_cndmask_b32_e32 v5, v15, v5, vcc_lo
	v_cmp_ne_u32_e32 vcc_lo, 0, v7
	s_delay_alu instid0(VALU_DEP_2) | instskip(SKIP_4) | instid1(VALU_DEP_2)
	v_cmp_ne_u32_e64 s2, 0, v5
	s_wait_alu 0xfffd
	v_cndmask_b32_e32 v5, v13, v11, vcc_lo
	v_cndmask_b32_e32 v7, v14, v12, vcc_lo
	s_wait_alu 0xf1ff
	v_cndmask_b32_e64 v5, v9, v5, s2
	s_delay_alu instid0(VALU_DEP_2) | instskip(NEXT) | instid1(VALU_DEP_2)
	v_cndmask_b32_e64 v7, v10, v7, s2
	v_xor_b32_e32 v5, v5, v3
	s_delay_alu instid0(VALU_DEP_2) | instskip(NEXT) | instid1(VALU_DEP_2)
	v_xor_b32_e32 v7, v7, v3
	v_sub_co_u32 v8, vcc_lo, v5, v3
	s_wait_alu 0xfffd
	s_delay_alu instid0(VALU_DEP_2)
	v_sub_co_ci_u32_e64 v9, null, v7, v3, vcc_lo
.LBB88_18:                              ;   in Loop: Header=BB88_16 Depth=2
	s_wait_alu 0xfffe
	s_and_not1_saveexec_b32 s2, s36
	s_cbranch_execz .LBB88_15
; %bb.19:                               ;   in Loop: Header=BB88_16 Depth=2
	v_cvt_f32_u32_e32 v3, s28
	s_sub_co_i32 s29, 0, s28
	v_mov_b32_e32 v9, v2
	s_delay_alu instid0(VALU_DEP_2) | instskip(NEXT) | instid1(TRANS32_DEP_1)
	v_rcp_iflag_f32_e32 v3, v3
	v_mul_f32_e32 v3, 0x4f7ffffe, v3
	s_delay_alu instid0(VALU_DEP_1) | instskip(SKIP_1) | instid1(VALU_DEP_1)
	v_cvt_u32_f32_e32 v3, v3
	s_wait_alu 0xfffe
	v_mul_lo_u32 v5, s29, v3
	s_delay_alu instid0(VALU_DEP_1) | instskip(NEXT) | instid1(VALU_DEP_1)
	v_mul_hi_u32 v5, v3, v5
	v_add_nc_u32_e32 v3, v3, v5
	s_delay_alu instid0(VALU_DEP_1) | instskip(NEXT) | instid1(VALU_DEP_1)
	v_mul_hi_u32 v3, v6, v3
	v_mul_lo_u32 v5, v3, s28
	v_add_nc_u32_e32 v7, 1, v3
	s_delay_alu instid0(VALU_DEP_2) | instskip(NEXT) | instid1(VALU_DEP_1)
	v_sub_nc_u32_e32 v5, v6, v5
	v_cmp_le_u32_e32 vcc_lo, s28, v5
	v_subrev_nc_u32_e32 v8, s28, v5
	s_wait_alu 0xfffd
	v_cndmask_b32_e32 v3, v3, v7, vcc_lo
	s_delay_alu instid0(VALU_DEP_1) | instskip(NEXT) | instid1(VALU_DEP_3)
	v_add_nc_u32_e32 v7, 1, v3
	v_cndmask_b32_e32 v5, v5, v8, vcc_lo
	s_delay_alu instid0(VALU_DEP_1) | instskip(SKIP_1) | instid1(VALU_DEP_3)
	v_cmp_le_u32_e32 vcc_lo, s28, v5
	s_wait_alu 0xfffd
	v_cndmask_b32_e32 v8, v3, v7, vcc_lo
	s_branch .LBB88_15
.LBB88_20:                              ;   in Loop: Header=BB88_3 Depth=1
	s_mov_b32 s2, s18
	s_and_not1_b32 vcc_lo, exec_lo, s55
	s_wait_alu 0xfffe
	s_cbranch_vccnz .LBB88_56
.LBB88_21:                              ;   in Loop: Header=BB88_3 Depth=1
	s_add_co_i32 s26, s2, -7
.LBB88_22:                              ;   Parent Loop BB88_3 Depth=1
                                        ; =>  This Inner Loop Header: Depth=2
	s_wait_alu 0xfffe
	s_add_co_i32 s18, s26, 7
                                        ; implicit-def: $vgpr8_vgpr9
	s_mov_b32 s2, exec_lo
	s_wait_alu 0xfffe
	s_lshl_b64 s[34:35], s[18:19], 2
	s_wait_alu 0xfffe
	s_add_nc_u64 s[28:29], s[10:11], s[34:35]
	s_load_b32 s28, s[28:29], 0x8
	s_wait_kmcnt 0x0
	s_ashr_i32 s29, s28, 31
	s_wait_alu 0xfffe
	v_or_b32_e32 v3, s29, v7
	s_delay_alu instid0(VALU_DEP_1)
	v_cmpx_ne_u64_e32 0, v[2:3]
	s_xor_b32 s25, exec_lo, s2
	s_cbranch_execz .LBB88_24
; %bb.23:                               ;   in Loop: Header=BB88_22 Depth=2
	s_ashr_i32 s30, s29, 31
	v_ashrrev_i32_e32 v3, 31, v7
	s_wait_alu 0xfffe
	s_mov_b32 s31, s30
	s_wait_alu 0xfffe
	s_add_nc_u64 s[36:37], s[28:29], s[30:31]
	v_add_co_u32 v5, vcc_lo, v6, v3
	s_wait_alu 0xfffe
	s_xor_b64 s[36:37], s[36:37], s[30:31]
	s_wait_alu 0xfffd
	v_add_co_ci_u32_e64 v7, null, v7, v3, vcc_lo
	s_wait_alu 0xfffe
	s_cvt_f32_u32 s2, s36
	s_cvt_f32_u32 s18, s37
	s_sub_nc_u64 s[40:41], 0, s[36:37]
	v_xor_b32_e32 v5, v5, v3
	v_xor_b32_e32 v13, v7, v3
	s_wait_alu 0xfffe
	s_fmamk_f32 s2, s18, 0x4f800000, s2
	v_xor_b32_e32 v3, s30, v3
	s_wait_alu 0xfffe
	s_delay_alu instid0(SALU_CYCLE_1) | instskip(NEXT) | instid1(TRANS32_DEP_1)
	v_s_rcp_f32 s2, s2
	s_mul_f32 s2, s2, 0x5f7ffffc
	s_wait_alu 0xfffe
	s_delay_alu instid0(SALU_CYCLE_2) | instskip(SKIP_1) | instid1(SALU_CYCLE_2)
	s_mul_f32 s18, s2, 0x2f800000
	s_wait_alu 0xfffe
	s_trunc_f32 s18, s18
	s_wait_alu 0xfffe
	s_delay_alu instid0(SALU_CYCLE_2) | instskip(SKIP_2) | instid1(SALU_CYCLE_1)
	s_fmamk_f32 s2, s18, 0xcf800000, s2
	s_cvt_u32_f32 s39, s18
	s_wait_alu 0xfffe
	s_cvt_u32_f32 s38, s2
	s_wait_alu 0xfffe
	s_delay_alu instid0(SALU_CYCLE_2)
	s_mul_u64 s[42:43], s[40:41], s[38:39]
	s_wait_alu 0xfffe
	s_mul_hi_u32 s45, s38, s43
	s_mul_i32 s44, s38, s43
	s_mul_hi_u32 s18, s38, s42
	s_mul_i32 s27, s39, s42
	s_wait_alu 0xfffe
	s_add_nc_u64 s[44:45], s[18:19], s[44:45]
	s_mul_hi_u32 s2, s39, s42
	s_mul_hi_u32 s29, s39, s43
	s_wait_alu 0xfffe
	s_add_co_u32 s18, s44, s27
	s_add_co_ci_u32 s18, s45, s2
	s_mul_i32 s42, s39, s43
	s_add_co_ci_u32 s43, s29, 0
	s_wait_alu 0xfffe
	s_add_nc_u64 s[42:43], s[18:19], s[42:43]
	s_wait_alu 0xfffe
	s_add_co_u32 s38, s38, s42
	s_cselect_b32 s2, -1, 0
	s_wait_alu 0xfffe
	s_cmp_lg_u32 s2, 0
	s_add_co_ci_u32 s39, s39, s43
	s_wait_alu 0xfffe
	s_mul_u64 s[40:41], s[40:41], s[38:39]
	s_wait_alu 0xfffe
	s_mul_hi_u32 s43, s38, s41
	s_mul_i32 s42, s38, s41
	s_mul_hi_u32 s18, s38, s40
	s_mul_i32 s27, s39, s40
	s_wait_alu 0xfffe
	s_add_nc_u64 s[42:43], s[18:19], s[42:43]
	s_mul_hi_u32 s2, s39, s40
	s_mul_hi_u32 s29, s39, s41
	s_wait_alu 0xfffe
	s_add_co_u32 s18, s42, s27
	s_add_co_ci_u32 s18, s43, s2
	s_mul_i32 s40, s39, s41
	s_add_co_ci_u32 s41, s29, 0
	s_wait_alu 0xfffe
	s_add_nc_u64 s[40:41], s[18:19], s[40:41]
	s_wait_alu 0xfffe
	s_add_co_u32 s2, s38, s40
	s_cselect_b32 s18, -1, 0
	s_wait_alu 0xfffe
	v_mul_hi_u32 v14, v5, s2
	s_cmp_lg_u32 s18, 0
	v_mad_co_u64_u32 v[9:10], null, v13, s2, 0
	s_add_co_ci_u32 s18, s39, s41
	s_wait_alu 0xfffe
	v_mad_co_u64_u32 v[7:8], null, v5, s18, 0
	v_mad_co_u64_u32 v[11:12], null, v13, s18, 0
	s_delay_alu instid0(VALU_DEP_2) | instskip(SKIP_1) | instid1(VALU_DEP_3)
	v_add_co_u32 v7, vcc_lo, v14, v7
	s_wait_alu 0xfffd
	v_add_co_ci_u32_e64 v8, null, 0, v8, vcc_lo
	s_delay_alu instid0(VALU_DEP_2) | instskip(SKIP_1) | instid1(VALU_DEP_2)
	v_add_co_u32 v7, vcc_lo, v7, v9
	s_wait_alu 0xfffd
	v_add_co_ci_u32_e32 v7, vcc_lo, v8, v10, vcc_lo
	s_wait_alu 0xfffd
	v_add_co_ci_u32_e32 v8, vcc_lo, 0, v12, vcc_lo
	s_delay_alu instid0(VALU_DEP_2) | instskip(SKIP_1) | instid1(VALU_DEP_2)
	v_add_co_u32 v9, vcc_lo, v7, v11
	s_wait_alu 0xfffd
	v_add_co_ci_u32_e64 v10, null, 0, v8, vcc_lo
	s_delay_alu instid0(VALU_DEP_2) | instskip(SKIP_1) | instid1(VALU_DEP_3)
	v_mul_lo_u32 v11, s37, v9
	v_mad_co_u64_u32 v[7:8], null, s36, v9, 0
	v_mul_lo_u32 v12, s36, v10
	s_delay_alu instid0(VALU_DEP_2) | instskip(NEXT) | instid1(VALU_DEP_2)
	v_sub_co_u32 v5, vcc_lo, v5, v7
	v_add3_u32 v8, v8, v12, v11
	s_delay_alu instid0(VALU_DEP_1) | instskip(SKIP_2) | instid1(VALU_DEP_2)
	v_sub_nc_u32_e32 v11, v13, v8
	s_wait_alu 0xfffd
	v_sub_co_ci_u32_e64 v8, null, v13, v8, vcc_lo
	v_subrev_co_ci_u32_e64 v7, null, s37, v11, vcc_lo
	v_add_co_u32 v11, s2, v9, 2
	s_wait_alu 0xf1ff
	v_add_co_ci_u32_e64 v12, null, 0, v10, s2
	v_sub_co_u32 v14, s2, v5, s36
	s_wait_alu 0xf1ff
	v_subrev_co_ci_u32_e64 v7, null, 0, v7, s2
	s_delay_alu instid0(VALU_DEP_2) | instskip(SKIP_2) | instid1(VALU_DEP_3)
	v_cmp_le_u32_e32 vcc_lo, s36, v14
	s_wait_alu 0xfffd
	v_cndmask_b32_e64 v13, 0, -1, vcc_lo
	v_cmp_le_u32_e32 vcc_lo, s37, v7
	s_wait_alu 0xfffd
	v_cndmask_b32_e64 v14, 0, -1, vcc_lo
	v_cmp_le_u32_e32 vcc_lo, s36, v5
	s_wait_alu 0xfffd
	v_cndmask_b32_e64 v5, 0, -1, vcc_lo
	v_cmp_le_u32_e32 vcc_lo, s37, v8
	s_wait_alu 0xfffd
	v_cndmask_b32_e64 v15, 0, -1, vcc_lo
	v_cmp_eq_u32_e32 vcc_lo, s37, v7
	s_wait_alu 0xfffd
	v_cndmask_b32_e32 v7, v14, v13, vcc_lo
	v_add_co_u32 v13, vcc_lo, v9, 1
	s_wait_alu 0xfffd
	v_add_co_ci_u32_e64 v14, null, 0, v10, vcc_lo
	v_cmp_eq_u32_e32 vcc_lo, s37, v8
	s_wait_alu 0xfffd
	v_cndmask_b32_e32 v5, v15, v5, vcc_lo
	v_cmp_ne_u32_e32 vcc_lo, 0, v7
	s_delay_alu instid0(VALU_DEP_2) | instskip(SKIP_4) | instid1(VALU_DEP_2)
	v_cmp_ne_u32_e64 s2, 0, v5
	s_wait_alu 0xfffd
	v_cndmask_b32_e32 v5, v13, v11, vcc_lo
	v_cndmask_b32_e32 v7, v14, v12, vcc_lo
	s_wait_alu 0xf1ff
	v_cndmask_b32_e64 v5, v9, v5, s2
	s_delay_alu instid0(VALU_DEP_2) | instskip(NEXT) | instid1(VALU_DEP_2)
	v_cndmask_b32_e64 v7, v10, v7, s2
	v_xor_b32_e32 v5, v5, v3
	s_delay_alu instid0(VALU_DEP_2) | instskip(NEXT) | instid1(VALU_DEP_2)
	v_xor_b32_e32 v7, v7, v3
	v_sub_co_u32 v8, vcc_lo, v5, v3
	s_wait_alu 0xfffd
	s_delay_alu instid0(VALU_DEP_2)
	v_sub_co_ci_u32_e64 v9, null, v7, v3, vcc_lo
.LBB88_24:                              ;   in Loop: Header=BB88_22 Depth=2
	s_wait_alu 0xfffe
	s_and_not1_saveexec_b32 s2, s25
	s_cbranch_execz .LBB88_26
; %bb.25:                               ;   in Loop: Header=BB88_22 Depth=2
	v_cvt_f32_u32_e32 v3, s28
	s_sub_co_i32 s18, 0, s28
	v_mov_b32_e32 v9, v2
	s_delay_alu instid0(VALU_DEP_2) | instskip(NEXT) | instid1(TRANS32_DEP_1)
	v_rcp_iflag_f32_e32 v3, v3
	v_mul_f32_e32 v3, 0x4f7ffffe, v3
	s_delay_alu instid0(VALU_DEP_1) | instskip(SKIP_1) | instid1(VALU_DEP_1)
	v_cvt_u32_f32_e32 v3, v3
	s_wait_alu 0xfffe
	v_mul_lo_u32 v5, s18, v3
	s_delay_alu instid0(VALU_DEP_1) | instskip(NEXT) | instid1(VALU_DEP_1)
	v_mul_hi_u32 v5, v3, v5
	v_add_nc_u32_e32 v3, v3, v5
	s_delay_alu instid0(VALU_DEP_1) | instskip(NEXT) | instid1(VALU_DEP_1)
	v_mul_hi_u32 v3, v6, v3
	v_mul_lo_u32 v5, v3, s28
	v_add_nc_u32_e32 v7, 1, v3
	s_delay_alu instid0(VALU_DEP_2) | instskip(NEXT) | instid1(VALU_DEP_1)
	v_sub_nc_u32_e32 v5, v6, v5
	v_cmp_le_u32_e32 vcc_lo, s28, v5
	v_subrev_nc_u32_e32 v8, s28, v5
	s_wait_alu 0xfffd
	v_cndmask_b32_e32 v3, v3, v7, vcc_lo
	s_delay_alu instid0(VALU_DEP_1) | instskip(NEXT) | instid1(VALU_DEP_3)
	v_add_nc_u32_e32 v7, 1, v3
	v_cndmask_b32_e32 v5, v5, v8, vcc_lo
	s_delay_alu instid0(VALU_DEP_1) | instskip(SKIP_1) | instid1(VALU_DEP_3)
	v_cmp_le_u32_e32 vcc_lo, s28, v5
	s_wait_alu 0xfffd
	v_cndmask_b32_e32 v8, v3, v7, vcc_lo
.LBB88_26:                              ;   in Loop: Header=BB88_22 Depth=2
	s_wait_alu 0xfffe
	s_or_b32 exec_lo, exec_lo, s2
	s_add_co_i32 s18, s26, 6
	s_add_nc_u64 s[34:35], s[0:1], s[34:35]
	s_wait_alu 0xfffe
	s_lshl_b64 s[36:37], s[18:19], 2
                                        ; implicit-def: $vgpr10_vgpr11
	s_mov_b32 s2, exec_lo
	s_wait_alu 0xfffe
	s_add_nc_u64 s[30:31], s[10:11], s[36:37]
	s_clause 0x1
	s_load_b32 s25, s[34:35], 0x6c
	s_load_b32 s30, s[30:31], 0x8
	s_wait_kmcnt 0x0
	s_ashr_i32 s31, s30, 31
	s_wait_alu 0xfffe
	v_or_b32_e32 v3, s31, v9
	s_delay_alu instid0(VALU_DEP_1)
	v_cmpx_ne_u64_e32 0, v[2:3]
	s_xor_b32 s27, exec_lo, s2
	s_cbranch_execz .LBB88_28
; %bb.27:                               ;   in Loop: Header=BB88_22 Depth=2
	s_ashr_i32 s34, s31, 31
	v_ashrrev_i32_e32 v3, 31, v9
	s_wait_alu 0xfffe
	s_mov_b32 s35, s34
	s_wait_alu 0xfffe
	s_add_nc_u64 s[38:39], s[30:31], s[34:35]
	v_add_co_u32 v5, vcc_lo, v8, v3
	s_wait_alu 0xfffe
	s_xor_b64 s[38:39], s[38:39], s[34:35]
	s_wait_alu 0xfffd
	v_add_co_ci_u32_e64 v7, null, v9, v3, vcc_lo
	s_wait_alu 0xfffe
	s_cvt_f32_u32 s2, s38
	s_cvt_f32_u32 s18, s39
	s_sub_nc_u64 s[42:43], 0, s[38:39]
	v_xor_b32_e32 v5, v5, v3
	v_xor_b32_e32 v7, v7, v3
	s_wait_alu 0xfffe
	s_fmamk_f32 s2, s18, 0x4f800000, s2
	v_xor_b32_e32 v3, s34, v3
	s_wait_alu 0xfffe
	s_delay_alu instid0(SALU_CYCLE_1) | instskip(NEXT) | instid1(TRANS32_DEP_1)
	v_s_rcp_f32 s2, s2
	s_mul_f32 s2, s2, 0x5f7ffffc
	s_wait_alu 0xfffe
	s_delay_alu instid0(SALU_CYCLE_2) | instskip(SKIP_1) | instid1(SALU_CYCLE_2)
	s_mul_f32 s18, s2, 0x2f800000
	s_wait_alu 0xfffe
	s_trunc_f32 s18, s18
	s_wait_alu 0xfffe
	s_delay_alu instid0(SALU_CYCLE_2) | instskip(SKIP_2) | instid1(SALU_CYCLE_1)
	s_fmamk_f32 s2, s18, 0xcf800000, s2
	s_cvt_u32_f32 s41, s18
	s_wait_alu 0xfffe
	s_cvt_u32_f32 s40, s2
	s_wait_alu 0xfffe
	s_delay_alu instid0(SALU_CYCLE_2)
	s_mul_u64 s[44:45], s[42:43], s[40:41]
	s_wait_alu 0xfffe
	s_mul_hi_u32 s47, s40, s45
	s_mul_i32 s46, s40, s45
	s_mul_hi_u32 s18, s40, s44
	s_mul_i32 s29, s41, s44
	s_wait_alu 0xfffe
	s_add_nc_u64 s[46:47], s[18:19], s[46:47]
	s_mul_hi_u32 s2, s41, s44
	s_mul_hi_u32 s31, s41, s45
	s_wait_alu 0xfffe
	s_add_co_u32 s18, s46, s29
	s_add_co_ci_u32 s18, s47, s2
	s_mul_i32 s44, s41, s45
	s_add_co_ci_u32 s45, s31, 0
	s_wait_alu 0xfffe
	s_add_nc_u64 s[44:45], s[18:19], s[44:45]
	s_wait_alu 0xfffe
	s_add_co_u32 s40, s40, s44
	s_cselect_b32 s2, -1, 0
	s_wait_alu 0xfffe
	s_cmp_lg_u32 s2, 0
	s_add_co_ci_u32 s41, s41, s45
	s_wait_alu 0xfffe
	s_mul_u64 s[42:43], s[42:43], s[40:41]
	s_wait_alu 0xfffe
	s_mul_hi_u32 s45, s40, s43
	s_mul_i32 s44, s40, s43
	s_mul_hi_u32 s18, s40, s42
	s_mul_i32 s29, s41, s42
	s_wait_alu 0xfffe
	s_add_nc_u64 s[44:45], s[18:19], s[44:45]
	s_mul_hi_u32 s2, s41, s42
	s_mul_hi_u32 s31, s41, s43
	s_wait_alu 0xfffe
	s_add_co_u32 s18, s44, s29
	s_add_co_ci_u32 s18, s45, s2
	s_mul_i32 s42, s41, s43
	s_add_co_ci_u32 s43, s31, 0
	s_wait_alu 0xfffe
	s_add_nc_u64 s[42:43], s[18:19], s[42:43]
	s_wait_alu 0xfffe
	s_add_co_u32 s2, s40, s42
	s_cselect_b32 s18, -1, 0
	s_wait_alu 0xfffe
	v_mul_hi_u32 v15, v5, s2
	s_cmp_lg_u32 s18, 0
	v_mad_co_u64_u32 v[11:12], null, v7, s2, 0
	s_add_co_ci_u32 s18, s41, s43
	s_wait_alu 0xfffe
	v_mad_co_u64_u32 v[9:10], null, v5, s18, 0
	v_mad_co_u64_u32 v[13:14], null, v7, s18, 0
	s_delay_alu instid0(VALU_DEP_2) | instskip(SKIP_1) | instid1(VALU_DEP_3)
	v_add_co_u32 v9, vcc_lo, v15, v9
	s_wait_alu 0xfffd
	v_add_co_ci_u32_e64 v10, null, 0, v10, vcc_lo
	s_delay_alu instid0(VALU_DEP_2) | instskip(SKIP_1) | instid1(VALU_DEP_2)
	v_add_co_u32 v9, vcc_lo, v9, v11
	s_wait_alu 0xfffd
	v_add_co_ci_u32_e32 v9, vcc_lo, v10, v12, vcc_lo
	s_wait_alu 0xfffd
	v_add_co_ci_u32_e32 v10, vcc_lo, 0, v14, vcc_lo
	s_delay_alu instid0(VALU_DEP_2) | instskip(SKIP_1) | instid1(VALU_DEP_2)
	v_add_co_u32 v11, vcc_lo, v9, v13
	s_wait_alu 0xfffd
	v_add_co_ci_u32_e64 v12, null, 0, v10, vcc_lo
	s_delay_alu instid0(VALU_DEP_2) | instskip(SKIP_1) | instid1(VALU_DEP_3)
	v_mul_lo_u32 v13, s39, v11
	v_mad_co_u64_u32 v[9:10], null, s38, v11, 0
	v_mul_lo_u32 v14, s38, v12
	s_delay_alu instid0(VALU_DEP_2) | instskip(NEXT) | instid1(VALU_DEP_2)
	v_sub_co_u32 v5, vcc_lo, v5, v9
	v_add3_u32 v10, v10, v14, v13
	s_delay_alu instid0(VALU_DEP_1) | instskip(SKIP_2) | instid1(VALU_DEP_2)
	v_sub_nc_u32_e32 v13, v7, v10
	s_wait_alu 0xfffd
	v_sub_co_ci_u32_e64 v7, null, v7, v10, vcc_lo
	v_subrev_co_ci_u32_e64 v9, null, s39, v13, vcc_lo
	v_add_co_u32 v13, s2, v11, 2
	s_wait_alu 0xf1ff
	v_add_co_ci_u32_e64 v14, null, 0, v12, s2
	v_sub_co_u32 v15, s2, v5, s38
	s_wait_alu 0xf1ff
	v_subrev_co_ci_u32_e64 v9, null, 0, v9, s2
	s_delay_alu instid0(VALU_DEP_2) | instskip(SKIP_2) | instid1(VALU_DEP_3)
	v_cmp_le_u32_e32 vcc_lo, s38, v15
	s_wait_alu 0xfffd
	v_cndmask_b32_e64 v10, 0, -1, vcc_lo
	v_cmp_le_u32_e32 vcc_lo, s39, v9
	s_wait_alu 0xfffd
	v_cndmask_b32_e64 v15, 0, -1, vcc_lo
	v_cmp_le_u32_e32 vcc_lo, s38, v5
	s_wait_alu 0xfffd
	v_cndmask_b32_e64 v5, 0, -1, vcc_lo
	v_cmp_le_u32_e32 vcc_lo, s39, v7
	s_wait_alu 0xfffd
	v_cndmask_b32_e64 v16, 0, -1, vcc_lo
	v_cmp_eq_u32_e32 vcc_lo, s39, v9
	s_wait_alu 0xfffd
	v_cndmask_b32_e32 v9, v15, v10, vcc_lo
	v_add_co_u32 v10, vcc_lo, v11, 1
	s_wait_alu 0xfffd
	v_add_co_ci_u32_e64 v15, null, 0, v12, vcc_lo
	v_cmp_eq_u32_e32 vcc_lo, s39, v7
	s_wait_alu 0xfffd
	v_cndmask_b32_e32 v5, v16, v5, vcc_lo
	v_cmp_ne_u32_e32 vcc_lo, 0, v9
	s_delay_alu instid0(VALU_DEP_2) | instskip(SKIP_4) | instid1(VALU_DEP_2)
	v_cmp_ne_u32_e64 s2, 0, v5
	s_wait_alu 0xfffd
	v_cndmask_b32_e32 v5, v10, v13, vcc_lo
	v_cndmask_b32_e32 v7, v15, v14, vcc_lo
	s_wait_alu 0xf1ff
	v_cndmask_b32_e64 v5, v11, v5, s2
	s_delay_alu instid0(VALU_DEP_2) | instskip(NEXT) | instid1(VALU_DEP_2)
	v_cndmask_b32_e64 v7, v12, v7, s2
	v_xor_b32_e32 v5, v5, v3
	s_delay_alu instid0(VALU_DEP_2) | instskip(NEXT) | instid1(VALU_DEP_2)
	v_xor_b32_e32 v7, v7, v3
	v_sub_co_u32 v10, vcc_lo, v5, v3
	s_wait_alu 0xfffd
	s_delay_alu instid0(VALU_DEP_2)
	v_sub_co_ci_u32_e64 v11, null, v7, v3, vcc_lo
.LBB88_28:                              ;   in Loop: Header=BB88_22 Depth=2
	s_wait_alu 0xfffe
	s_and_not1_saveexec_b32 s2, s27
	s_cbranch_execz .LBB88_30
; %bb.29:                               ;   in Loop: Header=BB88_22 Depth=2
	v_cvt_f32_u32_e32 v3, s30
	s_sub_co_i32 s18, 0, s30
	v_mov_b32_e32 v11, v2
	s_delay_alu instid0(VALU_DEP_2) | instskip(NEXT) | instid1(TRANS32_DEP_1)
	v_rcp_iflag_f32_e32 v3, v3
	v_mul_f32_e32 v3, 0x4f7ffffe, v3
	s_delay_alu instid0(VALU_DEP_1) | instskip(SKIP_1) | instid1(VALU_DEP_1)
	v_cvt_u32_f32_e32 v3, v3
	s_wait_alu 0xfffe
	v_mul_lo_u32 v5, s18, v3
	s_delay_alu instid0(VALU_DEP_1) | instskip(NEXT) | instid1(VALU_DEP_1)
	v_mul_hi_u32 v5, v3, v5
	v_add_nc_u32_e32 v3, v3, v5
	s_delay_alu instid0(VALU_DEP_1) | instskip(NEXT) | instid1(VALU_DEP_1)
	v_mul_hi_u32 v3, v8, v3
	v_mul_lo_u32 v5, v3, s30
	v_add_nc_u32_e32 v7, 1, v3
	s_delay_alu instid0(VALU_DEP_2) | instskip(NEXT) | instid1(VALU_DEP_1)
	v_sub_nc_u32_e32 v5, v8, v5
	v_cmp_le_u32_e32 vcc_lo, s30, v5
	v_subrev_nc_u32_e32 v9, s30, v5
	s_wait_alu 0xfffd
	v_cndmask_b32_e32 v3, v3, v7, vcc_lo
	s_delay_alu instid0(VALU_DEP_1) | instskip(NEXT) | instid1(VALU_DEP_3)
	v_add_nc_u32_e32 v7, 1, v3
	v_cndmask_b32_e32 v5, v5, v9, vcc_lo
	s_delay_alu instid0(VALU_DEP_1) | instskip(SKIP_1) | instid1(VALU_DEP_3)
	v_cmp_le_u32_e32 vcc_lo, s30, v5
	s_wait_alu 0xfffd
	v_cndmask_b32_e32 v10, v3, v7, vcc_lo
.LBB88_30:                              ;   in Loop: Header=BB88_22 Depth=2
	s_wait_alu 0xfffe
	s_or_b32 exec_lo, exec_lo, s2
	s_add_co_i32 s18, s26, 5
	s_add_nc_u64 s[36:37], s[0:1], s[36:37]
	s_wait_alu 0xfffe
	s_lshl_b64 s[38:39], s[18:19], 2
                                        ; implicit-def: $vgpr12_vgpr13
	s_mov_b32 s2, exec_lo
	s_wait_alu 0xfffe
	s_add_nc_u64 s[34:35], s[10:11], s[38:39]
	s_clause 0x1
	s_load_b32 s29, s[36:37], 0x6c
	s_load_b32 s34, s[34:35], 0x8
	s_wait_kmcnt 0x0
	s_ashr_i32 s35, s34, 31
	s_wait_alu 0xfffe
	v_or_b32_e32 v3, s35, v11
	s_delay_alu instid0(VALU_DEP_1)
	v_cmpx_ne_u64_e32 0, v[2:3]
	s_xor_b32 s27, exec_lo, s2
	s_cbranch_execz .LBB88_32
; %bb.31:                               ;   in Loop: Header=BB88_22 Depth=2
	s_ashr_i32 s36, s35, 31
	v_ashrrev_i32_e32 v3, 31, v11
	s_wait_alu 0xfffe
	s_mov_b32 s37, s36
	s_wait_alu 0xfffe
	s_add_nc_u64 s[40:41], s[34:35], s[36:37]
	v_add_co_u32 v5, vcc_lo, v10, v3
	s_wait_alu 0xfffe
	s_xor_b64 s[40:41], s[40:41], s[36:37]
	s_wait_alu 0xfffd
	v_add_co_ci_u32_e64 v7, null, v11, v3, vcc_lo
	s_wait_alu 0xfffe
	s_cvt_f32_u32 s2, s40
	s_cvt_f32_u32 s18, s41
	s_sub_nc_u64 s[44:45], 0, s[40:41]
	v_xor_b32_e32 v5, v5, v3
	v_xor_b32_e32 v7, v7, v3
	s_wait_alu 0xfffe
	s_fmamk_f32 s2, s18, 0x4f800000, s2
	v_xor_b32_e32 v3, s36, v3
	s_wait_alu 0xfffe
	s_delay_alu instid0(SALU_CYCLE_1) | instskip(NEXT) | instid1(TRANS32_DEP_1)
	v_s_rcp_f32 s2, s2
	s_mul_f32 s2, s2, 0x5f7ffffc
	s_wait_alu 0xfffe
	s_delay_alu instid0(SALU_CYCLE_2) | instskip(SKIP_1) | instid1(SALU_CYCLE_2)
	s_mul_f32 s18, s2, 0x2f800000
	s_wait_alu 0xfffe
	s_trunc_f32 s18, s18
	s_wait_alu 0xfffe
	s_delay_alu instid0(SALU_CYCLE_2) | instskip(SKIP_2) | instid1(SALU_CYCLE_1)
	s_fmamk_f32 s2, s18, 0xcf800000, s2
	s_cvt_u32_f32 s43, s18
	s_wait_alu 0xfffe
	s_cvt_u32_f32 s42, s2
	s_wait_alu 0xfffe
	s_delay_alu instid0(SALU_CYCLE_2)
	s_mul_u64 s[46:47], s[44:45], s[42:43]
	s_wait_alu 0xfffe
	s_mul_hi_u32 s49, s42, s47
	s_mul_i32 s48, s42, s47
	s_mul_hi_u32 s18, s42, s46
	s_mul_i32 s31, s43, s46
	s_wait_alu 0xfffe
	s_add_nc_u64 s[48:49], s[18:19], s[48:49]
	s_mul_hi_u32 s2, s43, s46
	s_mul_hi_u32 s35, s43, s47
	s_wait_alu 0xfffe
	s_add_co_u32 s18, s48, s31
	s_add_co_ci_u32 s18, s49, s2
	s_mul_i32 s46, s43, s47
	s_add_co_ci_u32 s47, s35, 0
	s_wait_alu 0xfffe
	s_add_nc_u64 s[46:47], s[18:19], s[46:47]
	s_wait_alu 0xfffe
	s_add_co_u32 s42, s42, s46
	s_cselect_b32 s2, -1, 0
	s_wait_alu 0xfffe
	s_cmp_lg_u32 s2, 0
	s_add_co_ci_u32 s43, s43, s47
	s_wait_alu 0xfffe
	s_mul_u64 s[44:45], s[44:45], s[42:43]
	s_wait_alu 0xfffe
	s_mul_hi_u32 s47, s42, s45
	s_mul_i32 s46, s42, s45
	s_mul_hi_u32 s18, s42, s44
	s_mul_i32 s31, s43, s44
	s_wait_alu 0xfffe
	s_add_nc_u64 s[46:47], s[18:19], s[46:47]
	s_mul_hi_u32 s2, s43, s44
	s_mul_hi_u32 s35, s43, s45
	s_wait_alu 0xfffe
	s_add_co_u32 s18, s46, s31
	s_add_co_ci_u32 s18, s47, s2
	s_mul_i32 s44, s43, s45
	s_add_co_ci_u32 s45, s35, 0
	s_wait_alu 0xfffe
	s_add_nc_u64 s[44:45], s[18:19], s[44:45]
	s_wait_alu 0xfffe
	s_add_co_u32 s2, s42, s44
	s_cselect_b32 s18, -1, 0
	s_wait_alu 0xfffe
	v_mul_hi_u32 v9, v5, s2
	s_cmp_lg_u32 s18, 0
	v_mad_co_u64_u32 v[13:14], null, v7, s2, 0
	s_add_co_ci_u32 s18, s43, s45
	s_wait_alu 0xfffe
	v_mad_co_u64_u32 v[11:12], null, v5, s18, 0
	v_mad_co_u64_u32 v[15:16], null, v7, s18, 0
	s_delay_alu instid0(VALU_DEP_2) | instskip(SKIP_1) | instid1(VALU_DEP_3)
	v_add_co_u32 v9, vcc_lo, v9, v11
	s_wait_alu 0xfffd
	v_add_co_ci_u32_e64 v11, null, 0, v12, vcc_lo
	s_delay_alu instid0(VALU_DEP_2) | instskip(SKIP_1) | instid1(VALU_DEP_2)
	v_add_co_u32 v9, vcc_lo, v9, v13
	s_wait_alu 0xfffd
	v_add_co_ci_u32_e32 v9, vcc_lo, v11, v14, vcc_lo
	s_wait_alu 0xfffd
	v_add_co_ci_u32_e32 v11, vcc_lo, 0, v16, vcc_lo
	s_delay_alu instid0(VALU_DEP_2) | instskip(SKIP_1) | instid1(VALU_DEP_2)
	v_add_co_u32 v9, vcc_lo, v9, v15
	s_wait_alu 0xfffd
	v_add_co_ci_u32_e64 v13, null, 0, v11, vcc_lo
	s_delay_alu instid0(VALU_DEP_2) | instskip(SKIP_1) | instid1(VALU_DEP_3)
	v_mul_lo_u32 v14, s41, v9
	v_mad_co_u64_u32 v[11:12], null, s40, v9, 0
	v_mul_lo_u32 v15, s40, v13
	s_delay_alu instid0(VALU_DEP_2) | instskip(NEXT) | instid1(VALU_DEP_2)
	v_sub_co_u32 v5, vcc_lo, v5, v11
	v_add3_u32 v12, v12, v15, v14
	s_delay_alu instid0(VALU_DEP_1) | instskip(SKIP_2) | instid1(VALU_DEP_2)
	v_sub_nc_u32_e32 v14, v7, v12
	s_wait_alu 0xfffd
	v_sub_co_ci_u32_e64 v7, null, v7, v12, vcc_lo
	v_subrev_co_ci_u32_e64 v11, null, s41, v14, vcc_lo
	v_add_co_u32 v14, s2, v9, 2
	s_wait_alu 0xf1ff
	v_add_co_ci_u32_e64 v15, null, 0, v13, s2
	v_sub_co_u32 v16, s2, v5, s40
	s_wait_alu 0xf1ff
	v_subrev_co_ci_u32_e64 v11, null, 0, v11, s2
	s_delay_alu instid0(VALU_DEP_2) | instskip(SKIP_2) | instid1(VALU_DEP_3)
	v_cmp_le_u32_e32 vcc_lo, s40, v16
	s_wait_alu 0xfffd
	v_cndmask_b32_e64 v12, 0, -1, vcc_lo
	v_cmp_le_u32_e32 vcc_lo, s41, v11
	s_wait_alu 0xfffd
	v_cndmask_b32_e64 v16, 0, -1, vcc_lo
	;; [unrolled: 3-line block ×4, first 2 shown]
	v_cmp_eq_u32_e32 vcc_lo, s41, v11
	s_wait_alu 0xfffd
	v_cndmask_b32_e32 v11, v16, v12, vcc_lo
	v_add_co_u32 v12, vcc_lo, v9, 1
	s_wait_alu 0xfffd
	v_add_co_ci_u32_e64 v16, null, 0, v13, vcc_lo
	v_cmp_eq_u32_e32 vcc_lo, s41, v7
	s_wait_alu 0xfffd
	v_cndmask_b32_e32 v5, v17, v5, vcc_lo
	v_cmp_ne_u32_e32 vcc_lo, 0, v11
	s_delay_alu instid0(VALU_DEP_2) | instskip(SKIP_4) | instid1(VALU_DEP_2)
	v_cmp_ne_u32_e64 s2, 0, v5
	s_wait_alu 0xfffd
	v_cndmask_b32_e32 v5, v12, v14, vcc_lo
	v_cndmask_b32_e32 v7, v16, v15, vcc_lo
	s_wait_alu 0xf1ff
	v_cndmask_b32_e64 v5, v9, v5, s2
	s_delay_alu instid0(VALU_DEP_2) | instskip(NEXT) | instid1(VALU_DEP_2)
	v_cndmask_b32_e64 v7, v13, v7, s2
	v_xor_b32_e32 v5, v5, v3
	s_delay_alu instid0(VALU_DEP_2) | instskip(NEXT) | instid1(VALU_DEP_2)
	v_xor_b32_e32 v7, v7, v3
	v_sub_co_u32 v12, vcc_lo, v5, v3
	s_wait_alu 0xfffd
	s_delay_alu instid0(VALU_DEP_2)
	v_sub_co_ci_u32_e64 v13, null, v7, v3, vcc_lo
.LBB88_32:                              ;   in Loop: Header=BB88_22 Depth=2
	s_wait_alu 0xfffe
	s_and_not1_saveexec_b32 s2, s27
	s_cbranch_execz .LBB88_34
; %bb.33:                               ;   in Loop: Header=BB88_22 Depth=2
	v_cvt_f32_u32_e32 v3, s34
	s_sub_co_i32 s18, 0, s34
	v_mov_b32_e32 v13, v2
	s_delay_alu instid0(VALU_DEP_2) | instskip(NEXT) | instid1(TRANS32_DEP_1)
	v_rcp_iflag_f32_e32 v3, v3
	v_mul_f32_e32 v3, 0x4f7ffffe, v3
	s_delay_alu instid0(VALU_DEP_1) | instskip(SKIP_1) | instid1(VALU_DEP_1)
	v_cvt_u32_f32_e32 v3, v3
	s_wait_alu 0xfffe
	v_mul_lo_u32 v5, s18, v3
	s_delay_alu instid0(VALU_DEP_1) | instskip(NEXT) | instid1(VALU_DEP_1)
	v_mul_hi_u32 v5, v3, v5
	v_add_nc_u32_e32 v3, v3, v5
	s_delay_alu instid0(VALU_DEP_1) | instskip(NEXT) | instid1(VALU_DEP_1)
	v_mul_hi_u32 v3, v10, v3
	v_mul_lo_u32 v5, v3, s34
	v_add_nc_u32_e32 v7, 1, v3
	s_delay_alu instid0(VALU_DEP_2) | instskip(NEXT) | instid1(VALU_DEP_1)
	v_sub_nc_u32_e32 v5, v10, v5
	v_cmp_le_u32_e32 vcc_lo, s34, v5
	v_subrev_nc_u32_e32 v9, s34, v5
	s_wait_alu 0xfffd
	v_cndmask_b32_e32 v3, v3, v7, vcc_lo
	s_delay_alu instid0(VALU_DEP_1) | instskip(NEXT) | instid1(VALU_DEP_3)
	v_add_nc_u32_e32 v7, 1, v3
	v_cndmask_b32_e32 v5, v5, v9, vcc_lo
	s_delay_alu instid0(VALU_DEP_1) | instskip(SKIP_1) | instid1(VALU_DEP_3)
	v_cmp_le_u32_e32 vcc_lo, s34, v5
	s_wait_alu 0xfffd
	v_cndmask_b32_e32 v12, v3, v7, vcc_lo
.LBB88_34:                              ;   in Loop: Header=BB88_22 Depth=2
	s_wait_alu 0xfffe
	s_or_b32 exec_lo, exec_lo, s2
	s_add_co_i32 s18, s26, 4
	s_add_nc_u64 s[38:39], s[0:1], s[38:39]
	s_wait_alu 0xfffe
	s_lshl_b64 s[40:41], s[18:19], 2
                                        ; implicit-def: $vgpr14_vgpr15
	s_mov_b32 s2, exec_lo
	s_wait_alu 0xfffe
	s_add_nc_u64 s[36:37], s[10:11], s[40:41]
	s_clause 0x1
	s_load_b32 s31, s[38:39], 0x6c
	s_load_b32 s36, s[36:37], 0x8
	s_wait_kmcnt 0x0
	s_ashr_i32 s37, s36, 31
	s_wait_alu 0xfffe
	v_or_b32_e32 v3, s37, v13
	s_delay_alu instid0(VALU_DEP_1)
	v_cmpx_ne_u64_e32 0, v[2:3]
	s_xor_b32 s27, exec_lo, s2
	s_cbranch_execz .LBB88_36
; %bb.35:                               ;   in Loop: Header=BB88_22 Depth=2
	s_ashr_i32 s38, s37, 31
	v_ashrrev_i32_e32 v3, 31, v13
	s_wait_alu 0xfffe
	s_mov_b32 s39, s38
	s_wait_alu 0xfffe
	s_add_nc_u64 s[42:43], s[36:37], s[38:39]
	v_add_co_u32 v5, vcc_lo, v12, v3
	s_wait_alu 0xfffe
	s_xor_b64 s[42:43], s[42:43], s[38:39]
	s_wait_alu 0xfffd
	v_add_co_ci_u32_e64 v7, null, v13, v3, vcc_lo
	s_wait_alu 0xfffe
	s_cvt_f32_u32 s2, s42
	s_cvt_f32_u32 s18, s43
	s_sub_nc_u64 s[46:47], 0, s[42:43]
	v_xor_b32_e32 v5, v5, v3
	v_xor_b32_e32 v7, v7, v3
	s_wait_alu 0xfffe
	s_fmamk_f32 s2, s18, 0x4f800000, s2
	v_xor_b32_e32 v3, s38, v3
	s_wait_alu 0xfffe
	s_delay_alu instid0(SALU_CYCLE_1) | instskip(NEXT) | instid1(TRANS32_DEP_1)
	v_s_rcp_f32 s2, s2
	s_mul_f32 s2, s2, 0x5f7ffffc
	s_wait_alu 0xfffe
	s_delay_alu instid0(SALU_CYCLE_2) | instskip(SKIP_1) | instid1(SALU_CYCLE_2)
	s_mul_f32 s18, s2, 0x2f800000
	s_wait_alu 0xfffe
	s_trunc_f32 s18, s18
	s_wait_alu 0xfffe
	s_delay_alu instid0(SALU_CYCLE_2) | instskip(SKIP_2) | instid1(SALU_CYCLE_1)
	s_fmamk_f32 s2, s18, 0xcf800000, s2
	s_cvt_u32_f32 s45, s18
	s_wait_alu 0xfffe
	s_cvt_u32_f32 s44, s2
	s_wait_alu 0xfffe
	s_delay_alu instid0(SALU_CYCLE_2)
	s_mul_u64 s[48:49], s[46:47], s[44:45]
	s_wait_alu 0xfffe
	s_mul_hi_u32 s51, s44, s49
	s_mul_i32 s50, s44, s49
	s_mul_hi_u32 s18, s44, s48
	s_mul_i32 s35, s45, s48
	s_wait_alu 0xfffe
	s_add_nc_u64 s[50:51], s[18:19], s[50:51]
	s_mul_hi_u32 s2, s45, s48
	s_mul_hi_u32 s37, s45, s49
	s_wait_alu 0xfffe
	s_add_co_u32 s18, s50, s35
	s_add_co_ci_u32 s18, s51, s2
	s_mul_i32 s48, s45, s49
	s_add_co_ci_u32 s49, s37, 0
	s_wait_alu 0xfffe
	s_add_nc_u64 s[48:49], s[18:19], s[48:49]
	s_wait_alu 0xfffe
	s_add_co_u32 s44, s44, s48
	s_cselect_b32 s2, -1, 0
	s_wait_alu 0xfffe
	s_cmp_lg_u32 s2, 0
	s_add_co_ci_u32 s45, s45, s49
	s_wait_alu 0xfffe
	s_mul_u64 s[46:47], s[46:47], s[44:45]
	s_wait_alu 0xfffe
	s_mul_hi_u32 s49, s44, s47
	s_mul_i32 s48, s44, s47
	s_mul_hi_u32 s18, s44, s46
	s_mul_i32 s35, s45, s46
	s_wait_alu 0xfffe
	s_add_nc_u64 s[48:49], s[18:19], s[48:49]
	s_mul_hi_u32 s2, s45, s46
	s_mul_hi_u32 s37, s45, s47
	s_wait_alu 0xfffe
	s_add_co_u32 s18, s48, s35
	s_add_co_ci_u32 s18, s49, s2
	s_mul_i32 s46, s45, s47
	s_add_co_ci_u32 s47, s37, 0
	s_wait_alu 0xfffe
	s_add_nc_u64 s[46:47], s[18:19], s[46:47]
	s_wait_alu 0xfffe
	s_add_co_u32 s2, s44, s46
	s_cselect_b32 s18, -1, 0
	s_wait_alu 0xfffe
	v_mul_hi_u32 v9, v5, s2
	s_cmp_lg_u32 s18, 0
	v_mad_co_u64_u32 v[15:16], null, v7, s2, 0
	s_add_co_ci_u32 s18, s45, s47
	s_wait_alu 0xfffe
	v_mad_co_u64_u32 v[13:14], null, v5, s18, 0
	v_mad_co_u64_u32 v[17:18], null, v7, s18, 0
	s_delay_alu instid0(VALU_DEP_2) | instskip(SKIP_1) | instid1(VALU_DEP_3)
	v_add_co_u32 v9, vcc_lo, v9, v13
	s_wait_alu 0xfffd
	v_add_co_ci_u32_e64 v11, null, 0, v14, vcc_lo
	s_delay_alu instid0(VALU_DEP_2) | instskip(SKIP_1) | instid1(VALU_DEP_2)
	v_add_co_u32 v9, vcc_lo, v9, v15
	s_wait_alu 0xfffd
	v_add_co_ci_u32_e32 v9, vcc_lo, v11, v16, vcc_lo
	s_wait_alu 0xfffd
	v_add_co_ci_u32_e32 v11, vcc_lo, 0, v18, vcc_lo
	s_delay_alu instid0(VALU_DEP_2) | instskip(SKIP_1) | instid1(VALU_DEP_2)
	v_add_co_u32 v9, vcc_lo, v9, v17
	s_wait_alu 0xfffd
	v_add_co_ci_u32_e64 v11, null, 0, v11, vcc_lo
	s_delay_alu instid0(VALU_DEP_2) | instskip(SKIP_1) | instid1(VALU_DEP_3)
	v_mul_lo_u32 v15, s43, v9
	v_mad_co_u64_u32 v[13:14], null, s42, v9, 0
	v_mul_lo_u32 v16, s42, v11
	s_delay_alu instid0(VALU_DEP_2) | instskip(NEXT) | instid1(VALU_DEP_2)
	v_sub_co_u32 v5, vcc_lo, v5, v13
	v_add3_u32 v14, v14, v16, v15
	s_delay_alu instid0(VALU_DEP_1) | instskip(SKIP_2) | instid1(VALU_DEP_2)
	v_sub_nc_u32_e32 v15, v7, v14
	s_wait_alu 0xfffd
	v_sub_co_ci_u32_e64 v7, null, v7, v14, vcc_lo
	v_subrev_co_ci_u32_e64 v13, null, s43, v15, vcc_lo
	v_add_co_u32 v15, s2, v9, 2
	s_wait_alu 0xf1ff
	v_add_co_ci_u32_e64 v16, null, 0, v11, s2
	v_sub_co_u32 v17, s2, v5, s42
	s_wait_alu 0xf1ff
	v_subrev_co_ci_u32_e64 v13, null, 0, v13, s2
	s_delay_alu instid0(VALU_DEP_2) | instskip(SKIP_2) | instid1(VALU_DEP_3)
	v_cmp_le_u32_e32 vcc_lo, s42, v17
	s_wait_alu 0xfffd
	v_cndmask_b32_e64 v14, 0, -1, vcc_lo
	v_cmp_le_u32_e32 vcc_lo, s43, v13
	s_wait_alu 0xfffd
	v_cndmask_b32_e64 v17, 0, -1, vcc_lo
	;; [unrolled: 3-line block ×4, first 2 shown]
	v_cmp_eq_u32_e32 vcc_lo, s43, v13
	s_wait_alu 0xfffd
	v_cndmask_b32_e32 v13, v17, v14, vcc_lo
	v_add_co_u32 v14, vcc_lo, v9, 1
	s_wait_alu 0xfffd
	v_add_co_ci_u32_e64 v17, null, 0, v11, vcc_lo
	v_cmp_eq_u32_e32 vcc_lo, s43, v7
	s_wait_alu 0xfffd
	v_cndmask_b32_e32 v5, v18, v5, vcc_lo
	v_cmp_ne_u32_e32 vcc_lo, 0, v13
	s_delay_alu instid0(VALU_DEP_2) | instskip(SKIP_4) | instid1(VALU_DEP_2)
	v_cmp_ne_u32_e64 s2, 0, v5
	s_wait_alu 0xfffd
	v_cndmask_b32_e32 v5, v14, v15, vcc_lo
	v_cndmask_b32_e32 v7, v17, v16, vcc_lo
	s_wait_alu 0xf1ff
	v_cndmask_b32_e64 v5, v9, v5, s2
	s_delay_alu instid0(VALU_DEP_2) | instskip(NEXT) | instid1(VALU_DEP_2)
	v_cndmask_b32_e64 v7, v11, v7, s2
	v_xor_b32_e32 v5, v5, v3
	s_delay_alu instid0(VALU_DEP_2) | instskip(NEXT) | instid1(VALU_DEP_2)
	v_xor_b32_e32 v7, v7, v3
	v_sub_co_u32 v14, vcc_lo, v5, v3
	s_wait_alu 0xfffd
	s_delay_alu instid0(VALU_DEP_2)
	v_sub_co_ci_u32_e64 v15, null, v7, v3, vcc_lo
.LBB88_36:                              ;   in Loop: Header=BB88_22 Depth=2
	s_wait_alu 0xfffe
	s_and_not1_saveexec_b32 s2, s27
	s_cbranch_execz .LBB88_38
; %bb.37:                               ;   in Loop: Header=BB88_22 Depth=2
	v_cvt_f32_u32_e32 v3, s36
	s_sub_co_i32 s18, 0, s36
	v_mov_b32_e32 v15, v2
	s_delay_alu instid0(VALU_DEP_2) | instskip(NEXT) | instid1(TRANS32_DEP_1)
	v_rcp_iflag_f32_e32 v3, v3
	v_mul_f32_e32 v3, 0x4f7ffffe, v3
	s_delay_alu instid0(VALU_DEP_1) | instskip(SKIP_1) | instid1(VALU_DEP_1)
	v_cvt_u32_f32_e32 v3, v3
	s_wait_alu 0xfffe
	v_mul_lo_u32 v5, s18, v3
	s_delay_alu instid0(VALU_DEP_1) | instskip(NEXT) | instid1(VALU_DEP_1)
	v_mul_hi_u32 v5, v3, v5
	v_add_nc_u32_e32 v3, v3, v5
	s_delay_alu instid0(VALU_DEP_1) | instskip(NEXT) | instid1(VALU_DEP_1)
	v_mul_hi_u32 v3, v12, v3
	v_mul_lo_u32 v5, v3, s36
	v_add_nc_u32_e32 v7, 1, v3
	s_delay_alu instid0(VALU_DEP_2) | instskip(NEXT) | instid1(VALU_DEP_1)
	v_sub_nc_u32_e32 v5, v12, v5
	v_cmp_le_u32_e32 vcc_lo, s36, v5
	v_subrev_nc_u32_e32 v9, s36, v5
	s_wait_alu 0xfffd
	v_cndmask_b32_e32 v3, v3, v7, vcc_lo
	s_delay_alu instid0(VALU_DEP_1) | instskip(NEXT) | instid1(VALU_DEP_3)
	v_add_nc_u32_e32 v7, 1, v3
	v_cndmask_b32_e32 v5, v5, v9, vcc_lo
	s_delay_alu instid0(VALU_DEP_1) | instskip(SKIP_1) | instid1(VALU_DEP_3)
	v_cmp_le_u32_e32 vcc_lo, s36, v5
	s_wait_alu 0xfffd
	v_cndmask_b32_e32 v14, v3, v7, vcc_lo
.LBB88_38:                              ;   in Loop: Header=BB88_22 Depth=2
	s_wait_alu 0xfffe
	s_or_b32 exec_lo, exec_lo, s2
	s_add_co_i32 s18, s26, 3
	s_add_nc_u64 s[40:41], s[0:1], s[40:41]
	s_wait_alu 0xfffe
	s_lshl_b64 s[42:43], s[18:19], 2
                                        ; implicit-def: $vgpr16_vgpr17
	s_mov_b32 s2, exec_lo
	s_wait_alu 0xfffe
	s_add_nc_u64 s[38:39], s[10:11], s[42:43]
	s_clause 0x1
	s_load_b32 s35, s[40:41], 0x6c
	s_load_b32 s38, s[38:39], 0x8
	s_wait_kmcnt 0x0
	s_ashr_i32 s39, s38, 31
	s_wait_alu 0xfffe
	v_or_b32_e32 v3, s39, v15
	s_delay_alu instid0(VALU_DEP_1)
	v_cmpx_ne_u64_e32 0, v[2:3]
	s_xor_b32 s27, exec_lo, s2
	s_cbranch_execz .LBB88_40
; %bb.39:                               ;   in Loop: Header=BB88_22 Depth=2
	s_ashr_i32 s40, s39, 31
	v_ashrrev_i32_e32 v3, 31, v15
	s_wait_alu 0xfffe
	s_mov_b32 s41, s40
	s_wait_alu 0xfffe
	s_add_nc_u64 s[44:45], s[38:39], s[40:41]
	v_add_co_u32 v5, vcc_lo, v14, v3
	s_wait_alu 0xfffe
	s_xor_b64 s[44:45], s[44:45], s[40:41]
	s_wait_alu 0xfffd
	v_add_co_ci_u32_e64 v7, null, v15, v3, vcc_lo
	s_wait_alu 0xfffe
	s_cvt_f32_u32 s2, s44
	s_cvt_f32_u32 s18, s45
	s_sub_nc_u64 s[48:49], 0, s[44:45]
	v_xor_b32_e32 v5, v5, v3
	v_xor_b32_e32 v7, v7, v3
	s_wait_alu 0xfffe
	s_fmamk_f32 s2, s18, 0x4f800000, s2
	v_xor_b32_e32 v3, s40, v3
	s_wait_alu 0xfffe
	s_delay_alu instid0(SALU_CYCLE_1) | instskip(NEXT) | instid1(TRANS32_DEP_1)
	v_s_rcp_f32 s2, s2
	s_mul_f32 s2, s2, 0x5f7ffffc
	s_wait_alu 0xfffe
	s_delay_alu instid0(SALU_CYCLE_2) | instskip(SKIP_1) | instid1(SALU_CYCLE_2)
	s_mul_f32 s18, s2, 0x2f800000
	s_wait_alu 0xfffe
	s_trunc_f32 s18, s18
	s_wait_alu 0xfffe
	s_delay_alu instid0(SALU_CYCLE_2) | instskip(SKIP_2) | instid1(SALU_CYCLE_1)
	s_fmamk_f32 s2, s18, 0xcf800000, s2
	s_cvt_u32_f32 s47, s18
	s_wait_alu 0xfffe
	s_cvt_u32_f32 s46, s2
	s_wait_alu 0xfffe
	s_delay_alu instid0(SALU_CYCLE_2)
	s_mul_u64 s[50:51], s[48:49], s[46:47]
	s_wait_alu 0xfffe
	s_mul_hi_u32 s59, s46, s51
	s_mul_i32 s58, s46, s51
	s_mul_hi_u32 s18, s46, s50
	s_mul_i32 s37, s47, s50
	s_wait_alu 0xfffe
	s_add_nc_u64 s[58:59], s[18:19], s[58:59]
	s_mul_hi_u32 s2, s47, s50
	s_mul_hi_u32 s39, s47, s51
	s_add_co_u32 s18, s58, s37
	s_wait_alu 0xfffe
	s_add_co_ci_u32 s18, s59, s2
	s_mul_i32 s50, s47, s51
	s_add_co_ci_u32 s51, s39, 0
	s_wait_alu 0xfffe
	s_add_nc_u64 s[50:51], s[18:19], s[50:51]
	s_wait_alu 0xfffe
	s_add_co_u32 s46, s46, s50
	s_cselect_b32 s2, -1, 0
	s_wait_alu 0xfffe
	s_cmp_lg_u32 s2, 0
	s_add_co_ci_u32 s47, s47, s51
	s_wait_alu 0xfffe
	s_mul_u64 s[48:49], s[48:49], s[46:47]
	s_wait_alu 0xfffe
	s_mul_hi_u32 s51, s46, s49
	s_mul_i32 s50, s46, s49
	s_mul_hi_u32 s18, s46, s48
	s_mul_i32 s37, s47, s48
	s_wait_alu 0xfffe
	s_add_nc_u64 s[50:51], s[18:19], s[50:51]
	s_mul_hi_u32 s2, s47, s48
	s_mul_hi_u32 s39, s47, s49
	s_wait_alu 0xfffe
	s_add_co_u32 s18, s50, s37
	s_add_co_ci_u32 s18, s51, s2
	s_mul_i32 s48, s47, s49
	s_add_co_ci_u32 s49, s39, 0
	s_wait_alu 0xfffe
	s_add_nc_u64 s[48:49], s[18:19], s[48:49]
	s_wait_alu 0xfffe
	s_add_co_u32 s2, s46, s48
	s_cselect_b32 s18, -1, 0
	s_wait_alu 0xfffe
	v_mul_hi_u32 v9, v5, s2
	s_cmp_lg_u32 s18, 0
	v_mad_co_u64_u32 v[17:18], null, v7, s2, 0
	s_add_co_ci_u32 s18, s47, s49
	s_wait_alu 0xfffe
	v_mad_co_u64_u32 v[15:16], null, v5, s18, 0
	v_mad_co_u64_u32 v[19:20], null, v7, s18, 0
	s_delay_alu instid0(VALU_DEP_2) | instskip(SKIP_1) | instid1(VALU_DEP_3)
	v_add_co_u32 v9, vcc_lo, v9, v15
	s_wait_alu 0xfffd
	v_add_co_ci_u32_e64 v11, null, 0, v16, vcc_lo
	s_delay_alu instid0(VALU_DEP_2) | instskip(SKIP_1) | instid1(VALU_DEP_2)
	v_add_co_u32 v9, vcc_lo, v9, v17
	s_wait_alu 0xfffd
	v_add_co_ci_u32_e32 v9, vcc_lo, v11, v18, vcc_lo
	s_wait_alu 0xfffd
	v_add_co_ci_u32_e32 v11, vcc_lo, 0, v20, vcc_lo
	s_delay_alu instid0(VALU_DEP_2) | instskip(SKIP_1) | instid1(VALU_DEP_2)
	v_add_co_u32 v9, vcc_lo, v9, v19
	s_wait_alu 0xfffd
	v_add_co_ci_u32_e64 v11, null, 0, v11, vcc_lo
	s_delay_alu instid0(VALU_DEP_2) | instskip(SKIP_1) | instid1(VALU_DEP_3)
	v_mul_lo_u32 v13, s45, v9
	v_mad_co_u64_u32 v[15:16], null, s44, v9, 0
	v_mul_lo_u32 v17, s44, v11
	s_delay_alu instid0(VALU_DEP_2) | instskip(NEXT) | instid1(VALU_DEP_2)
	v_sub_co_u32 v5, vcc_lo, v5, v15
	v_add3_u32 v13, v16, v17, v13
	s_delay_alu instid0(VALU_DEP_1) | instskip(SKIP_2) | instid1(VALU_DEP_2)
	v_sub_nc_u32_e32 v16, v7, v13
	s_wait_alu 0xfffd
	v_sub_co_ci_u32_e64 v7, null, v7, v13, vcc_lo
	v_subrev_co_ci_u32_e64 v15, null, s45, v16, vcc_lo
	v_add_co_u32 v16, s2, v9, 2
	s_wait_alu 0xf1ff
	v_add_co_ci_u32_e64 v17, null, 0, v11, s2
	v_sub_co_u32 v18, s2, v5, s44
	s_wait_alu 0xf1ff
	v_subrev_co_ci_u32_e64 v15, null, 0, v15, s2
	s_delay_alu instid0(VALU_DEP_2) | instskip(SKIP_2) | instid1(VALU_DEP_3)
	v_cmp_le_u32_e32 vcc_lo, s44, v18
	s_wait_alu 0xfffd
	v_cndmask_b32_e64 v13, 0, -1, vcc_lo
	v_cmp_le_u32_e32 vcc_lo, s45, v15
	s_wait_alu 0xfffd
	v_cndmask_b32_e64 v18, 0, -1, vcc_lo
	;; [unrolled: 3-line block ×4, first 2 shown]
	v_cmp_eq_u32_e32 vcc_lo, s45, v15
	s_wait_alu 0xfffd
	v_cndmask_b32_e32 v13, v18, v13, vcc_lo
	v_add_co_u32 v15, vcc_lo, v9, 1
	s_wait_alu 0xfffd
	v_add_co_ci_u32_e64 v18, null, 0, v11, vcc_lo
	v_cmp_eq_u32_e32 vcc_lo, s45, v7
	s_wait_alu 0xfffd
	v_cndmask_b32_e32 v5, v19, v5, vcc_lo
	v_cmp_ne_u32_e32 vcc_lo, 0, v13
	s_delay_alu instid0(VALU_DEP_2) | instskip(SKIP_4) | instid1(VALU_DEP_2)
	v_cmp_ne_u32_e64 s2, 0, v5
	s_wait_alu 0xfffd
	v_cndmask_b32_e32 v5, v15, v16, vcc_lo
	v_cndmask_b32_e32 v7, v18, v17, vcc_lo
	s_wait_alu 0xf1ff
	v_cndmask_b32_e64 v5, v9, v5, s2
	s_delay_alu instid0(VALU_DEP_2) | instskip(NEXT) | instid1(VALU_DEP_2)
	v_cndmask_b32_e64 v7, v11, v7, s2
	v_xor_b32_e32 v5, v5, v3
	s_delay_alu instid0(VALU_DEP_2) | instskip(NEXT) | instid1(VALU_DEP_2)
	v_xor_b32_e32 v7, v7, v3
	v_sub_co_u32 v16, vcc_lo, v5, v3
	s_wait_alu 0xfffd
	s_delay_alu instid0(VALU_DEP_2)
	v_sub_co_ci_u32_e64 v17, null, v7, v3, vcc_lo
.LBB88_40:                              ;   in Loop: Header=BB88_22 Depth=2
	s_wait_alu 0xfffe
	s_and_not1_saveexec_b32 s2, s27
	s_cbranch_execz .LBB88_42
; %bb.41:                               ;   in Loop: Header=BB88_22 Depth=2
	v_cvt_f32_u32_e32 v3, s38
	s_sub_co_i32 s18, 0, s38
	v_mov_b32_e32 v17, v2
	s_delay_alu instid0(VALU_DEP_2) | instskip(NEXT) | instid1(TRANS32_DEP_1)
	v_rcp_iflag_f32_e32 v3, v3
	v_mul_f32_e32 v3, 0x4f7ffffe, v3
	s_delay_alu instid0(VALU_DEP_1) | instskip(SKIP_1) | instid1(VALU_DEP_1)
	v_cvt_u32_f32_e32 v3, v3
	s_wait_alu 0xfffe
	v_mul_lo_u32 v5, s18, v3
	s_delay_alu instid0(VALU_DEP_1) | instskip(NEXT) | instid1(VALU_DEP_1)
	v_mul_hi_u32 v5, v3, v5
	v_add_nc_u32_e32 v3, v3, v5
	s_delay_alu instid0(VALU_DEP_1) | instskip(NEXT) | instid1(VALU_DEP_1)
	v_mul_hi_u32 v3, v14, v3
	v_mul_lo_u32 v5, v3, s38
	v_add_nc_u32_e32 v7, 1, v3
	s_delay_alu instid0(VALU_DEP_2) | instskip(NEXT) | instid1(VALU_DEP_1)
	v_sub_nc_u32_e32 v5, v14, v5
	v_cmp_le_u32_e32 vcc_lo, s38, v5
	v_subrev_nc_u32_e32 v9, s38, v5
	s_wait_alu 0xfffd
	v_cndmask_b32_e32 v3, v3, v7, vcc_lo
	s_delay_alu instid0(VALU_DEP_1) | instskip(NEXT) | instid1(VALU_DEP_3)
	v_add_nc_u32_e32 v7, 1, v3
	v_cndmask_b32_e32 v5, v5, v9, vcc_lo
	s_delay_alu instid0(VALU_DEP_1) | instskip(SKIP_1) | instid1(VALU_DEP_3)
	v_cmp_le_u32_e32 vcc_lo, s38, v5
	s_wait_alu 0xfffd
	v_cndmask_b32_e32 v16, v3, v7, vcc_lo
.LBB88_42:                              ;   in Loop: Header=BB88_22 Depth=2
	s_wait_alu 0xfffe
	s_or_b32 exec_lo, exec_lo, s2
	s_add_co_i32 s18, s26, 2
	s_add_nc_u64 s[42:43], s[0:1], s[42:43]
	s_wait_alu 0xfffe
	s_lshl_b64 s[44:45], s[18:19], 2
                                        ; implicit-def: $vgpr18_vgpr19
	s_mov_b32 s2, exec_lo
	s_wait_alu 0xfffe
	s_add_nc_u64 s[40:41], s[10:11], s[44:45]
	s_clause 0x1
	s_load_b32 s37, s[42:43], 0x6c
	s_load_b32 s40, s[40:41], 0x8
	s_wait_kmcnt 0x0
	s_ashr_i32 s41, s40, 31
	s_wait_alu 0xfffe
	v_or_b32_e32 v3, s41, v17
	s_delay_alu instid0(VALU_DEP_1)
	v_cmpx_ne_u64_e32 0, v[2:3]
	s_xor_b32 s27, exec_lo, s2
	s_cbranch_execz .LBB88_44
; %bb.43:                               ;   in Loop: Header=BB88_22 Depth=2
	s_ashr_i32 s42, s41, 31
	v_ashrrev_i32_e32 v3, 31, v17
	s_wait_alu 0xfffe
	s_mov_b32 s43, s42
	s_wait_alu 0xfffe
	s_add_nc_u64 s[46:47], s[40:41], s[42:43]
	v_add_co_u32 v5, vcc_lo, v16, v3
	s_wait_alu 0xfffe
	s_xor_b64 s[46:47], s[46:47], s[42:43]
	s_wait_alu 0xfffd
	v_add_co_ci_u32_e64 v7, null, v17, v3, vcc_lo
	s_wait_alu 0xfffe
	s_cvt_f32_u32 s2, s46
	s_cvt_f32_u32 s18, s47
	s_sub_nc_u64 s[50:51], 0, s[46:47]
	v_xor_b32_e32 v5, v5, v3
	v_xor_b32_e32 v7, v7, v3
	s_wait_alu 0xfffe
	s_fmamk_f32 s2, s18, 0x4f800000, s2
	v_xor_b32_e32 v3, s42, v3
	s_wait_alu 0xfffe
	s_delay_alu instid0(SALU_CYCLE_1) | instskip(NEXT) | instid1(TRANS32_DEP_1)
	v_s_rcp_f32 s2, s2
	s_mul_f32 s2, s2, 0x5f7ffffc
	s_wait_alu 0xfffe
	s_delay_alu instid0(SALU_CYCLE_2) | instskip(SKIP_1) | instid1(SALU_CYCLE_2)
	s_mul_f32 s18, s2, 0x2f800000
	s_wait_alu 0xfffe
	s_trunc_f32 s18, s18
	s_wait_alu 0xfffe
	s_delay_alu instid0(SALU_CYCLE_2) | instskip(SKIP_2) | instid1(SALU_CYCLE_1)
	s_fmamk_f32 s2, s18, 0xcf800000, s2
	s_cvt_u32_f32 s49, s18
	s_wait_alu 0xfffe
	s_cvt_u32_f32 s48, s2
	s_wait_alu 0xfffe
	s_delay_alu instid0(SALU_CYCLE_2) | instskip(NEXT) | instid1(SALU_CYCLE_1)
	s_mul_u64 s[58:59], s[50:51], s[48:49]
	s_mul_hi_u32 s61, s48, s59
	s_mul_i32 s60, s48, s59
	s_mul_hi_u32 s18, s48, s58
	s_mul_i32 s39, s49, s58
	s_wait_alu 0xfffe
	s_add_nc_u64 s[60:61], s[18:19], s[60:61]
	s_mul_hi_u32 s2, s49, s58
	s_mul_hi_u32 s41, s49, s59
	s_add_co_u32 s18, s60, s39
	s_wait_alu 0xfffe
	s_add_co_ci_u32 s18, s61, s2
	s_mul_i32 s58, s49, s59
	s_add_co_ci_u32 s59, s41, 0
	s_wait_alu 0xfffe
	s_add_nc_u64 s[58:59], s[18:19], s[58:59]
	s_delay_alu instid0(SALU_CYCLE_1)
	s_add_co_u32 s48, s48, s58
	s_cselect_b32 s2, -1, 0
	s_wait_alu 0xfffe
	s_cmp_lg_u32 s2, 0
	s_add_co_ci_u32 s49, s49, s59
	s_wait_alu 0xfffe
	s_mul_u64 s[50:51], s[50:51], s[48:49]
	s_wait_alu 0xfffe
	s_mul_hi_u32 s59, s48, s51
	s_mul_i32 s58, s48, s51
	s_mul_hi_u32 s18, s48, s50
	s_mul_i32 s39, s49, s50
	s_wait_alu 0xfffe
	s_add_nc_u64 s[58:59], s[18:19], s[58:59]
	s_mul_hi_u32 s2, s49, s50
	s_mul_hi_u32 s41, s49, s51
	s_add_co_u32 s18, s58, s39
	s_wait_alu 0xfffe
	s_add_co_ci_u32 s18, s59, s2
	s_mul_i32 s50, s49, s51
	s_add_co_ci_u32 s51, s41, 0
	s_wait_alu 0xfffe
	s_add_nc_u64 s[50:51], s[18:19], s[50:51]
	s_wait_alu 0xfffe
	s_add_co_u32 s2, s48, s50
	s_cselect_b32 s18, -1, 0
	s_wait_alu 0xfffe
	v_mul_hi_u32 v9, v5, s2
	s_cmp_lg_u32 s18, 0
	v_mad_co_u64_u32 v[19:20], null, v7, s2, 0
	s_add_co_ci_u32 s18, s49, s51
	s_wait_alu 0xfffe
	v_mad_co_u64_u32 v[17:18], null, v5, s18, 0
	v_mad_co_u64_u32 v[21:22], null, v7, s18, 0
	s_delay_alu instid0(VALU_DEP_2) | instskip(SKIP_1) | instid1(VALU_DEP_3)
	v_add_co_u32 v9, vcc_lo, v9, v17
	s_wait_alu 0xfffd
	v_add_co_ci_u32_e64 v11, null, 0, v18, vcc_lo
	s_delay_alu instid0(VALU_DEP_2) | instskip(SKIP_1) | instid1(VALU_DEP_2)
	v_add_co_u32 v9, vcc_lo, v9, v19
	s_wait_alu 0xfffd
	v_add_co_ci_u32_e32 v9, vcc_lo, v11, v20, vcc_lo
	s_wait_alu 0xfffd
	v_add_co_ci_u32_e32 v11, vcc_lo, 0, v22, vcc_lo
	s_delay_alu instid0(VALU_DEP_2) | instskip(SKIP_1) | instid1(VALU_DEP_2)
	v_add_co_u32 v9, vcc_lo, v9, v21
	s_wait_alu 0xfffd
	v_add_co_ci_u32_e64 v11, null, 0, v11, vcc_lo
	s_delay_alu instid0(VALU_DEP_2) | instskip(SKIP_1) | instid1(VALU_DEP_3)
	v_mul_lo_u32 v13, s47, v9
	v_mad_co_u64_u32 v[17:18], null, s46, v9, 0
	v_mul_lo_u32 v15, s46, v11
	s_delay_alu instid0(VALU_DEP_2) | instskip(NEXT) | instid1(VALU_DEP_2)
	v_sub_co_u32 v5, vcc_lo, v5, v17
	v_add3_u32 v13, v18, v15, v13
	v_add_co_u32 v17, s2, v9, 2
	s_wait_alu 0xf1ff
	v_add_co_ci_u32_e64 v18, null, 0, v11, s2
	s_delay_alu instid0(VALU_DEP_3) | instskip(SKIP_3) | instid1(VALU_DEP_3)
	v_sub_nc_u32_e32 v15, v7, v13
	v_sub_co_u32 v19, s2, v5, s46
	s_wait_alu 0xfffd
	v_sub_co_ci_u32_e64 v7, null, v7, v13, vcc_lo
	v_subrev_co_ci_u32_e64 v15, null, s47, v15, vcc_lo
	s_delay_alu instid0(VALU_DEP_3) | instskip(SKIP_1) | instid1(VALU_DEP_2)
	v_cmp_le_u32_e32 vcc_lo, s46, v19
	s_wait_alu 0xf1ff
	v_subrev_co_ci_u32_e64 v15, null, 0, v15, s2
	s_wait_alu 0xfffd
	v_cndmask_b32_e64 v13, 0, -1, vcc_lo
	s_delay_alu instid0(VALU_DEP_2)
	v_cmp_le_u32_e32 vcc_lo, s47, v15
	s_wait_alu 0xfffd
	v_cndmask_b32_e64 v19, 0, -1, vcc_lo
	v_cmp_le_u32_e32 vcc_lo, s46, v5
	s_wait_alu 0xfffd
	v_cndmask_b32_e64 v5, 0, -1, vcc_lo
	;; [unrolled: 3-line block ×3, first 2 shown]
	v_cmp_eq_u32_e32 vcc_lo, s47, v15
	s_wait_alu 0xfffd
	v_cndmask_b32_e32 v13, v19, v13, vcc_lo
	v_add_co_u32 v15, vcc_lo, v9, 1
	s_wait_alu 0xfffd
	v_add_co_ci_u32_e64 v19, null, 0, v11, vcc_lo
	v_cmp_eq_u32_e32 vcc_lo, s47, v7
	s_wait_alu 0xfffd
	v_cndmask_b32_e32 v5, v20, v5, vcc_lo
	v_cmp_ne_u32_e32 vcc_lo, 0, v13
	s_delay_alu instid0(VALU_DEP_2) | instskip(SKIP_4) | instid1(VALU_DEP_2)
	v_cmp_ne_u32_e64 s2, 0, v5
	s_wait_alu 0xfffd
	v_cndmask_b32_e32 v5, v15, v17, vcc_lo
	v_cndmask_b32_e32 v7, v19, v18, vcc_lo
	s_wait_alu 0xf1ff
	v_cndmask_b32_e64 v5, v9, v5, s2
	s_delay_alu instid0(VALU_DEP_2) | instskip(NEXT) | instid1(VALU_DEP_2)
	v_cndmask_b32_e64 v7, v11, v7, s2
	v_xor_b32_e32 v5, v5, v3
	s_delay_alu instid0(VALU_DEP_2) | instskip(NEXT) | instid1(VALU_DEP_2)
	v_xor_b32_e32 v7, v7, v3
	v_sub_co_u32 v18, vcc_lo, v5, v3
	s_wait_alu 0xfffd
	s_delay_alu instid0(VALU_DEP_2)
	v_sub_co_ci_u32_e64 v19, null, v7, v3, vcc_lo
.LBB88_44:                              ;   in Loop: Header=BB88_22 Depth=2
	s_wait_alu 0xfffe
	s_and_not1_saveexec_b32 s2, s27
	s_cbranch_execz .LBB88_46
; %bb.45:                               ;   in Loop: Header=BB88_22 Depth=2
	v_cvt_f32_u32_e32 v3, s40
	s_sub_co_i32 s18, 0, s40
	v_mov_b32_e32 v19, v2
	s_delay_alu instid0(VALU_DEP_2) | instskip(NEXT) | instid1(TRANS32_DEP_1)
	v_rcp_iflag_f32_e32 v3, v3
	v_mul_f32_e32 v3, 0x4f7ffffe, v3
	s_delay_alu instid0(VALU_DEP_1) | instskip(SKIP_1) | instid1(VALU_DEP_1)
	v_cvt_u32_f32_e32 v3, v3
	s_wait_alu 0xfffe
	v_mul_lo_u32 v5, s18, v3
	s_delay_alu instid0(VALU_DEP_1) | instskip(NEXT) | instid1(VALU_DEP_1)
	v_mul_hi_u32 v5, v3, v5
	v_add_nc_u32_e32 v3, v3, v5
	s_delay_alu instid0(VALU_DEP_1) | instskip(NEXT) | instid1(VALU_DEP_1)
	v_mul_hi_u32 v3, v16, v3
	v_mul_lo_u32 v5, v3, s40
	v_add_nc_u32_e32 v7, 1, v3
	s_delay_alu instid0(VALU_DEP_2) | instskip(NEXT) | instid1(VALU_DEP_1)
	v_sub_nc_u32_e32 v5, v16, v5
	v_cmp_le_u32_e32 vcc_lo, s40, v5
	v_subrev_nc_u32_e32 v9, s40, v5
	s_wait_alu 0xfffd
	v_cndmask_b32_e32 v3, v3, v7, vcc_lo
	s_delay_alu instid0(VALU_DEP_1) | instskip(NEXT) | instid1(VALU_DEP_3)
	v_add_nc_u32_e32 v7, 1, v3
	v_cndmask_b32_e32 v5, v5, v9, vcc_lo
	s_delay_alu instid0(VALU_DEP_1) | instskip(SKIP_1) | instid1(VALU_DEP_3)
	v_cmp_le_u32_e32 vcc_lo, s40, v5
	s_wait_alu 0xfffd
	v_cndmask_b32_e32 v18, v3, v7, vcc_lo
.LBB88_46:                              ;   in Loop: Header=BB88_22 Depth=2
	s_wait_alu 0xfffe
	s_or_b32 exec_lo, exec_lo, s2
	s_add_co_i32 s18, s26, 1
	s_add_nc_u64 s[44:45], s[0:1], s[44:45]
	s_wait_alu 0xfffe
	s_lshl_b64 s[48:49], s[18:19], 2
                                        ; implicit-def: $vgpr20_vgpr21
	s_mov_b32 s2, exec_lo
	s_wait_alu 0xfffe
	s_add_nc_u64 s[42:43], s[10:11], s[48:49]
	s_clause 0x1
	s_load_b32 s39, s[44:45], 0x6c
	s_load_b32 s42, s[42:43], 0x8
	s_wait_kmcnt 0x0
	s_ashr_i32 s43, s42, 31
	s_wait_alu 0xfffe
	v_or_b32_e32 v3, s43, v19
	s_delay_alu instid0(VALU_DEP_1)
	v_cmpx_ne_u64_e32 0, v[2:3]
	s_xor_b32 s27, exec_lo, s2
	s_cbranch_execz .LBB88_48
; %bb.47:                               ;   in Loop: Header=BB88_22 Depth=2
	s_ashr_i32 s44, s43, 31
	v_ashrrev_i32_e32 v3, 31, v19
	s_wait_alu 0xfffe
	s_mov_b32 s45, s44
	s_wait_alu 0xfffe
	s_add_nc_u64 s[46:47], s[42:43], s[44:45]
	v_add_co_u32 v5, vcc_lo, v18, v3
	s_wait_alu 0xfffe
	s_xor_b64 s[46:47], s[46:47], s[44:45]
	s_wait_alu 0xfffd
	v_add_co_ci_u32_e64 v7, null, v19, v3, vcc_lo
	s_wait_alu 0xfffe
	s_cvt_f32_u32 s2, s46
	s_cvt_f32_u32 s18, s47
	s_sub_nc_u64 s[58:59], 0, s[46:47]
	v_xor_b32_e32 v5, v5, v3
	v_xor_b32_e32 v7, v7, v3
	s_wait_alu 0xfffe
	s_fmamk_f32 s2, s18, 0x4f800000, s2
	v_xor_b32_e32 v3, s44, v3
	s_wait_alu 0xfffe
	s_delay_alu instid0(SALU_CYCLE_1) | instskip(NEXT) | instid1(TRANS32_DEP_1)
	v_s_rcp_f32 s2, s2
	s_mul_f32 s2, s2, 0x5f7ffffc
	s_wait_alu 0xfffe
	s_delay_alu instid0(SALU_CYCLE_2) | instskip(SKIP_1) | instid1(SALU_CYCLE_2)
	s_mul_f32 s18, s2, 0x2f800000
	s_wait_alu 0xfffe
	s_trunc_f32 s18, s18
	s_wait_alu 0xfffe
	s_delay_alu instid0(SALU_CYCLE_2) | instskip(SKIP_2) | instid1(SALU_CYCLE_1)
	s_fmamk_f32 s2, s18, 0xcf800000, s2
	s_cvt_u32_f32 s51, s18
	s_wait_alu 0xfffe
	s_cvt_u32_f32 s50, s2
	s_wait_alu 0xfffe
	s_delay_alu instid0(SALU_CYCLE_2) | instskip(NEXT) | instid1(SALU_CYCLE_1)
	s_mul_u64 s[60:61], s[58:59], s[50:51]
	s_mul_hi_u32 s63, s50, s61
	s_mul_i32 s62, s50, s61
	s_mul_hi_u32 s18, s50, s60
	s_mul_i32 s41, s51, s60
	s_wait_alu 0xfffe
	s_add_nc_u64 s[62:63], s[18:19], s[62:63]
	s_mul_hi_u32 s2, s51, s60
	s_mul_hi_u32 s43, s51, s61
	s_add_co_u32 s18, s62, s41
	s_wait_alu 0xfffe
	s_add_co_ci_u32 s18, s63, s2
	s_mul_i32 s60, s51, s61
	s_add_co_ci_u32 s61, s43, 0
	s_wait_alu 0xfffe
	s_add_nc_u64 s[60:61], s[18:19], s[60:61]
	s_delay_alu instid0(SALU_CYCLE_1)
	s_add_co_u32 s50, s50, s60
	s_cselect_b32 s2, -1, 0
	s_wait_alu 0xfffe
	s_cmp_lg_u32 s2, 0
	s_add_co_ci_u32 s51, s51, s61
	s_wait_alu 0xfffe
	s_mul_u64 s[58:59], s[58:59], s[50:51]
	s_delay_alu instid0(SALU_CYCLE_1)
	s_mul_hi_u32 s61, s50, s59
	s_mul_i32 s60, s50, s59
	s_mul_hi_u32 s18, s50, s58
	s_mul_i32 s41, s51, s58
	s_wait_alu 0xfffe
	s_add_nc_u64 s[60:61], s[18:19], s[60:61]
	s_mul_hi_u32 s2, s51, s58
	s_mul_hi_u32 s43, s51, s59
	s_add_co_u32 s18, s60, s41
	s_wait_alu 0xfffe
	s_add_co_ci_u32 s18, s61, s2
	s_mul_i32 s58, s51, s59
	s_add_co_ci_u32 s59, s43, 0
	s_wait_alu 0xfffe
	s_add_nc_u64 s[58:59], s[18:19], s[58:59]
	s_delay_alu instid0(SALU_CYCLE_1)
	s_add_co_u32 s2, s50, s58
	s_cselect_b32 s18, -1, 0
	s_wait_alu 0xfffe
	v_mul_hi_u32 v9, v5, s2
	s_cmp_lg_u32 s18, 0
	v_mad_co_u64_u32 v[21:22], null, v7, s2, 0
	s_add_co_ci_u32 s18, s51, s59
	s_wait_alu 0xfffe
	v_mad_co_u64_u32 v[19:20], null, v5, s18, 0
	v_mad_co_u64_u32 v[28:29], null, v7, s18, 0
	s_delay_alu instid0(VALU_DEP_2) | instskip(SKIP_1) | instid1(VALU_DEP_3)
	v_add_co_u32 v9, vcc_lo, v9, v19
	s_wait_alu 0xfffd
	v_add_co_ci_u32_e64 v11, null, 0, v20, vcc_lo
	s_delay_alu instid0(VALU_DEP_2) | instskip(SKIP_1) | instid1(VALU_DEP_2)
	v_add_co_u32 v9, vcc_lo, v9, v21
	s_wait_alu 0xfffd
	v_add_co_ci_u32_e32 v9, vcc_lo, v11, v22, vcc_lo
	s_wait_alu 0xfffd
	v_add_co_ci_u32_e32 v11, vcc_lo, 0, v29, vcc_lo
	s_delay_alu instid0(VALU_DEP_2) | instskip(SKIP_1) | instid1(VALU_DEP_2)
	v_add_co_u32 v9, vcc_lo, v9, v28
	s_wait_alu 0xfffd
	v_add_co_ci_u32_e64 v11, null, 0, v11, vcc_lo
	s_delay_alu instid0(VALU_DEP_2) | instskip(SKIP_1) | instid1(VALU_DEP_3)
	v_mul_lo_u32 v13, s47, v9
	v_mad_co_u64_u32 v[19:20], null, s46, v9, 0
	v_mul_lo_u32 v15, s46, v11
	v_add_co_u32 v17, s2, v9, 2
	s_delay_alu instid0(VALU_DEP_3) | instskip(NEXT) | instid1(VALU_DEP_3)
	v_sub_co_u32 v5, vcc_lo, v5, v19
	v_add3_u32 v13, v20, v15, v13
	s_wait_alu 0xf1ff
	v_add_co_ci_u32_e64 v19, null, 0, v11, s2
	s_delay_alu instid0(VALU_DEP_3) | instskip(NEXT) | instid1(VALU_DEP_3)
	v_sub_co_u32 v20, s2, v5, s46
	v_sub_nc_u32_e32 v15, v7, v13
	s_wait_alu 0xfffd
	v_sub_co_ci_u32_e64 v7, null, v7, v13, vcc_lo
	s_delay_alu instid0(VALU_DEP_2) | instskip(SKIP_2) | instid1(VALU_DEP_2)
	v_subrev_co_ci_u32_e64 v15, null, s47, v15, vcc_lo
	v_cmp_le_u32_e32 vcc_lo, s46, v20
	s_wait_alu 0xf1ff
	v_subrev_co_ci_u32_e64 v15, null, 0, v15, s2
	s_wait_alu 0xfffd
	v_cndmask_b32_e64 v13, 0, -1, vcc_lo
	s_delay_alu instid0(VALU_DEP_2)
	v_cmp_le_u32_e32 vcc_lo, s47, v15
	s_wait_alu 0xfffd
	v_cndmask_b32_e64 v20, 0, -1, vcc_lo
	v_cmp_le_u32_e32 vcc_lo, s46, v5
	s_wait_alu 0xfffd
	v_cndmask_b32_e64 v5, 0, -1, vcc_lo
	;; [unrolled: 3-line block ×3, first 2 shown]
	v_cmp_eq_u32_e32 vcc_lo, s47, v15
	s_wait_alu 0xfffd
	v_cndmask_b32_e32 v13, v20, v13, vcc_lo
	v_add_co_u32 v15, vcc_lo, v9, 1
	s_wait_alu 0xfffd
	v_add_co_ci_u32_e64 v20, null, 0, v11, vcc_lo
	v_cmp_eq_u32_e32 vcc_lo, s47, v7
	s_wait_alu 0xfffd
	v_cndmask_b32_e32 v5, v21, v5, vcc_lo
	v_cmp_ne_u32_e32 vcc_lo, 0, v13
	s_delay_alu instid0(VALU_DEP_2) | instskip(SKIP_4) | instid1(VALU_DEP_2)
	v_cmp_ne_u32_e64 s2, 0, v5
	s_wait_alu 0xfffd
	v_cndmask_b32_e32 v5, v15, v17, vcc_lo
	v_cndmask_b32_e32 v7, v20, v19, vcc_lo
	s_wait_alu 0xf1ff
	v_cndmask_b32_e64 v5, v9, v5, s2
	s_delay_alu instid0(VALU_DEP_2) | instskip(NEXT) | instid1(VALU_DEP_2)
	v_cndmask_b32_e64 v7, v11, v7, s2
	v_xor_b32_e32 v5, v5, v3
	s_delay_alu instid0(VALU_DEP_2) | instskip(NEXT) | instid1(VALU_DEP_2)
	v_xor_b32_e32 v7, v7, v3
	v_sub_co_u32 v20, vcc_lo, v5, v3
	s_wait_alu 0xfffd
	s_delay_alu instid0(VALU_DEP_2)
	v_sub_co_ci_u32_e64 v21, null, v7, v3, vcc_lo
.LBB88_48:                              ;   in Loop: Header=BB88_22 Depth=2
	s_wait_alu 0xfffe
	s_and_not1_saveexec_b32 s2, s27
	s_cbranch_execz .LBB88_50
; %bb.49:                               ;   in Loop: Header=BB88_22 Depth=2
	v_cvt_f32_u32_e32 v3, s42
	s_sub_co_i32 s18, 0, s42
	v_mov_b32_e32 v21, v2
	s_delay_alu instid0(VALU_DEP_2) | instskip(NEXT) | instid1(TRANS32_DEP_1)
	v_rcp_iflag_f32_e32 v3, v3
	v_mul_f32_e32 v3, 0x4f7ffffe, v3
	s_delay_alu instid0(VALU_DEP_1) | instskip(SKIP_1) | instid1(VALU_DEP_1)
	v_cvt_u32_f32_e32 v3, v3
	s_wait_alu 0xfffe
	v_mul_lo_u32 v5, s18, v3
	s_delay_alu instid0(VALU_DEP_1) | instskip(NEXT) | instid1(VALU_DEP_1)
	v_mul_hi_u32 v5, v3, v5
	v_add_nc_u32_e32 v3, v3, v5
	s_delay_alu instid0(VALU_DEP_1) | instskip(NEXT) | instid1(VALU_DEP_1)
	v_mul_hi_u32 v3, v18, v3
	v_mul_lo_u32 v5, v3, s42
	v_add_nc_u32_e32 v7, 1, v3
	s_delay_alu instid0(VALU_DEP_2) | instskip(NEXT) | instid1(VALU_DEP_1)
	v_sub_nc_u32_e32 v5, v18, v5
	v_cmp_le_u32_e32 vcc_lo, s42, v5
	v_subrev_nc_u32_e32 v9, s42, v5
	s_wait_alu 0xfffd
	v_cndmask_b32_e32 v3, v3, v7, vcc_lo
	s_delay_alu instid0(VALU_DEP_1) | instskip(NEXT) | instid1(VALU_DEP_3)
	v_add_nc_u32_e32 v7, 1, v3
	v_cndmask_b32_e32 v5, v5, v9, vcc_lo
	s_delay_alu instid0(VALU_DEP_1) | instskip(SKIP_1) | instid1(VALU_DEP_3)
	v_cmp_le_u32_e32 vcc_lo, s42, v5
	s_wait_alu 0xfffd
	v_cndmask_b32_e32 v20, v3, v7, vcc_lo
.LBB88_50:                              ;   in Loop: Header=BB88_22 Depth=2
	s_wait_alu 0xfffe
	s_or_b32 exec_lo, exec_lo, s2
	s_mov_b32 s27, s19
	s_add_nc_u64 s[48:49], s[0:1], s[48:49]
	s_wait_alu 0xfffe
	s_lshl_b64 s[46:47], s[26:27], 2
                                        ; implicit-def: $vgpr22_vgpr23
	s_mov_b32 s2, exec_lo
	s_wait_alu 0xfffe
	s_add_nc_u64 s[44:45], s[10:11], s[46:47]
	s_clause 0x1
	s_load_b32 s27, s[48:49], 0x6c
	s_load_b32 s44, s[44:45], 0x8
	s_wait_kmcnt 0x0
	s_ashr_i32 s45, s44, 31
	s_wait_alu 0xfffe
	v_or_b32_e32 v3, s45, v21
	s_delay_alu instid0(VALU_DEP_1)
	v_cmpx_ne_u64_e32 0, v[2:3]
	s_xor_b32 s41, exec_lo, s2
	s_cbranch_execz .LBB88_52
; %bb.51:                               ;   in Loop: Header=BB88_22 Depth=2
	s_ashr_i32 s48, s45, 31
	v_ashrrev_i32_e32 v3, 31, v21
	s_wait_alu 0xfffe
	s_mov_b32 s49, s48
	s_wait_alu 0xfffe
	s_add_nc_u64 s[50:51], s[44:45], s[48:49]
	v_add_co_u32 v5, vcc_lo, v20, v3
	s_wait_alu 0xfffe
	s_xor_b64 s[50:51], s[50:51], s[48:49]
	s_wait_alu 0xfffd
	v_add_co_ci_u32_e64 v7, null, v21, v3, vcc_lo
	s_wait_alu 0xfffe
	s_cvt_f32_u32 s2, s50
	s_cvt_f32_u32 s18, s51
	s_sub_nc_u64 s[60:61], 0, s[50:51]
	v_xor_b32_e32 v5, v5, v3
	v_xor_b32_e32 v7, v7, v3
	s_wait_alu 0xfffe
	s_fmamk_f32 s2, s18, 0x4f800000, s2
	v_xor_b32_e32 v3, s48, v3
	s_wait_alu 0xfffe
	s_delay_alu instid0(SALU_CYCLE_1) | instskip(NEXT) | instid1(TRANS32_DEP_1)
	v_s_rcp_f32 s2, s2
	s_mul_f32 s2, s2, 0x5f7ffffc
	s_wait_alu 0xfffe
	s_delay_alu instid0(SALU_CYCLE_2) | instskip(SKIP_1) | instid1(SALU_CYCLE_2)
	s_mul_f32 s18, s2, 0x2f800000
	s_wait_alu 0xfffe
	s_trunc_f32 s18, s18
	s_wait_alu 0xfffe
	s_delay_alu instid0(SALU_CYCLE_2) | instskip(SKIP_2) | instid1(SALU_CYCLE_1)
	s_fmamk_f32 s2, s18, 0xcf800000, s2
	s_cvt_u32_f32 s59, s18
	s_wait_alu 0xfffe
	s_cvt_u32_f32 s58, s2
	s_delay_alu instid0(SALU_CYCLE_3) | instskip(NEXT) | instid1(SALU_CYCLE_1)
	s_mul_u64 s[62:63], s[60:61], s[58:59]
	s_mul_hi_u32 s65, s58, s63
	s_mul_i32 s64, s58, s63
	s_mul_hi_u32 s18, s58, s62
	s_mul_i32 s43, s59, s62
	s_wait_alu 0xfffe
	s_add_nc_u64 s[64:65], s[18:19], s[64:65]
	s_mul_hi_u32 s2, s59, s62
	s_mul_hi_u32 s45, s59, s63
	s_add_co_u32 s18, s64, s43
	s_wait_alu 0xfffe
	s_add_co_ci_u32 s18, s65, s2
	s_mul_i32 s62, s59, s63
	s_add_co_ci_u32 s63, s45, 0
	s_wait_alu 0xfffe
	s_add_nc_u64 s[62:63], s[18:19], s[62:63]
	s_delay_alu instid0(SALU_CYCLE_1) | instskip(SKIP_4) | instid1(SALU_CYCLE_1)
	s_add_co_u32 s58, s58, s62
	s_cselect_b32 s2, -1, 0
	s_wait_alu 0xfffe
	s_cmp_lg_u32 s2, 0
	s_add_co_ci_u32 s59, s59, s63
	s_mul_u64 s[60:61], s[60:61], s[58:59]
	s_delay_alu instid0(SALU_CYCLE_1)
	s_mul_hi_u32 s63, s58, s61
	s_mul_i32 s62, s58, s61
	s_mul_hi_u32 s18, s58, s60
	s_mul_i32 s43, s59, s60
	s_wait_alu 0xfffe
	s_add_nc_u64 s[62:63], s[18:19], s[62:63]
	s_mul_hi_u32 s2, s59, s60
	s_mul_hi_u32 s45, s59, s61
	s_add_co_u32 s18, s62, s43
	s_wait_alu 0xfffe
	s_add_co_ci_u32 s18, s63, s2
	s_mul_i32 s60, s59, s61
	s_add_co_ci_u32 s61, s45, 0
	s_wait_alu 0xfffe
	s_add_nc_u64 s[60:61], s[18:19], s[60:61]
	s_delay_alu instid0(SALU_CYCLE_1)
	s_add_co_u32 s2, s58, s60
	s_cselect_b32 s18, -1, 0
	s_wait_alu 0xfffe
	v_mul_hi_u32 v9, v5, s2
	s_cmp_lg_u32 s18, 0
	v_mad_co_u64_u32 v[28:29], null, v7, s2, 0
	s_add_co_ci_u32 s18, s59, s61
	s_wait_alu 0xfffe
	v_mad_co_u64_u32 v[21:22], null, v5, s18, 0
	v_mad_co_u64_u32 v[30:31], null, v7, s18, 0
	s_delay_alu instid0(VALU_DEP_2) | instskip(SKIP_1) | instid1(VALU_DEP_3)
	v_add_co_u32 v9, vcc_lo, v9, v21
	s_wait_alu 0xfffd
	v_add_co_ci_u32_e64 v11, null, 0, v22, vcc_lo
	s_delay_alu instid0(VALU_DEP_2) | instskip(SKIP_1) | instid1(VALU_DEP_2)
	v_add_co_u32 v9, vcc_lo, v9, v28
	s_wait_alu 0xfffd
	v_add_co_ci_u32_e32 v9, vcc_lo, v11, v29, vcc_lo
	s_wait_alu 0xfffd
	v_add_co_ci_u32_e32 v11, vcc_lo, 0, v31, vcc_lo
	s_delay_alu instid0(VALU_DEP_2) | instskip(SKIP_1) | instid1(VALU_DEP_2)
	v_add_co_u32 v9, vcc_lo, v9, v30
	s_wait_alu 0xfffd
	v_add_co_ci_u32_e64 v11, null, 0, v11, vcc_lo
	s_delay_alu instid0(VALU_DEP_2) | instskip(SKIP_1) | instid1(VALU_DEP_3)
	v_mul_lo_u32 v13, s51, v9
	v_mad_co_u64_u32 v[21:22], null, s50, v9, 0
	v_mul_lo_u32 v15, s50, v11
	v_add_co_u32 v17, s2, v9, 2
	s_wait_alu 0xf1ff
	v_add_co_ci_u32_e64 v19, null, 0, v11, s2
	s_delay_alu instid0(VALU_DEP_4) | instskip(NEXT) | instid1(VALU_DEP_4)
	v_sub_co_u32 v5, vcc_lo, v5, v21
	v_add3_u32 v13, v22, v15, v13
	s_delay_alu instid0(VALU_DEP_2) | instskip(NEXT) | instid1(VALU_DEP_2)
	v_sub_co_u32 v21, s2, v5, s50
	v_sub_nc_u32_e32 v15, v7, v13
	s_wait_alu 0xfffd
	v_sub_co_ci_u32_e64 v7, null, v7, v13, vcc_lo
	s_delay_alu instid0(VALU_DEP_2) | instskip(SKIP_2) | instid1(VALU_DEP_2)
	v_subrev_co_ci_u32_e64 v15, null, s51, v15, vcc_lo
	v_cmp_le_u32_e32 vcc_lo, s50, v21
	s_wait_alu 0xf1ff
	v_subrev_co_ci_u32_e64 v15, null, 0, v15, s2
	s_wait_alu 0xfffd
	v_cndmask_b32_e64 v13, 0, -1, vcc_lo
	s_delay_alu instid0(VALU_DEP_2)
	v_cmp_le_u32_e32 vcc_lo, s51, v15
	s_wait_alu 0xfffd
	v_cndmask_b32_e64 v21, 0, -1, vcc_lo
	v_cmp_le_u32_e32 vcc_lo, s50, v5
	s_wait_alu 0xfffd
	v_cndmask_b32_e64 v5, 0, -1, vcc_lo
	;; [unrolled: 3-line block ×3, first 2 shown]
	v_cmp_eq_u32_e32 vcc_lo, s51, v15
	s_wait_alu 0xfffd
	v_cndmask_b32_e32 v13, v21, v13, vcc_lo
	v_add_co_u32 v15, vcc_lo, v9, 1
	s_wait_alu 0xfffd
	v_add_co_ci_u32_e64 v21, null, 0, v11, vcc_lo
	v_cmp_eq_u32_e32 vcc_lo, s51, v7
	s_wait_alu 0xfffd
	v_cndmask_b32_e32 v5, v22, v5, vcc_lo
	v_cmp_ne_u32_e32 vcc_lo, 0, v13
	s_delay_alu instid0(VALU_DEP_2) | instskip(SKIP_4) | instid1(VALU_DEP_2)
	v_cmp_ne_u32_e64 s2, 0, v5
	s_wait_alu 0xfffd
	v_cndmask_b32_e32 v5, v15, v17, vcc_lo
	v_cndmask_b32_e32 v7, v21, v19, vcc_lo
	s_wait_alu 0xf1ff
	v_cndmask_b32_e64 v5, v9, v5, s2
	s_delay_alu instid0(VALU_DEP_2) | instskip(NEXT) | instid1(VALU_DEP_2)
	v_cndmask_b32_e64 v7, v11, v7, s2
	v_xor_b32_e32 v5, v5, v3
	s_delay_alu instid0(VALU_DEP_2) | instskip(NEXT) | instid1(VALU_DEP_2)
	v_xor_b32_e32 v7, v7, v3
	v_sub_co_u32 v22, vcc_lo, v5, v3
	s_wait_alu 0xfffd
	s_delay_alu instid0(VALU_DEP_2)
	v_sub_co_ci_u32_e64 v23, null, v7, v3, vcc_lo
.LBB88_52:                              ;   in Loop: Header=BB88_22 Depth=2
	s_wait_alu 0xfffe
	s_and_not1_saveexec_b32 s2, s41
	s_cbranch_execz .LBB88_54
; %bb.53:                               ;   in Loop: Header=BB88_22 Depth=2
	v_cvt_f32_u32_e32 v3, s44
	s_sub_co_i32 s18, 0, s44
	v_mov_b32_e32 v23, v2
	s_delay_alu instid0(VALU_DEP_2) | instskip(NEXT) | instid1(TRANS32_DEP_1)
	v_rcp_iflag_f32_e32 v3, v3
	v_mul_f32_e32 v3, 0x4f7ffffe, v3
	s_delay_alu instid0(VALU_DEP_1) | instskip(SKIP_1) | instid1(VALU_DEP_1)
	v_cvt_u32_f32_e32 v3, v3
	s_wait_alu 0xfffe
	v_mul_lo_u32 v5, s18, v3
	s_delay_alu instid0(VALU_DEP_1) | instskip(NEXT) | instid1(VALU_DEP_1)
	v_mul_hi_u32 v5, v3, v5
	v_add_nc_u32_e32 v3, v3, v5
	s_delay_alu instid0(VALU_DEP_1) | instskip(NEXT) | instid1(VALU_DEP_1)
	v_mul_hi_u32 v3, v20, v3
	v_mul_lo_u32 v5, v3, s44
	v_add_nc_u32_e32 v7, 1, v3
	s_delay_alu instid0(VALU_DEP_2) | instskip(NEXT) | instid1(VALU_DEP_1)
	v_sub_nc_u32_e32 v5, v20, v5
	v_cmp_le_u32_e32 vcc_lo, s44, v5
	v_subrev_nc_u32_e32 v9, s44, v5
	s_wait_alu 0xfffd
	v_cndmask_b32_e32 v3, v3, v7, vcc_lo
	s_delay_alu instid0(VALU_DEP_1) | instskip(NEXT) | instid1(VALU_DEP_3)
	v_add_nc_u32_e32 v7, 1, v3
	v_cndmask_b32_e32 v5, v5, v9, vcc_lo
	s_delay_alu instid0(VALU_DEP_1) | instskip(SKIP_1) | instid1(VALU_DEP_3)
	v_cmp_le_u32_e32 vcc_lo, s44, v5
	s_wait_alu 0xfffd
	v_cndmask_b32_e32 v22, v3, v7, vcc_lo
.LBB88_54:                              ;   in Loop: Header=BB88_22 Depth=2
	s_wait_alu 0xfffe
	s_or_b32 exec_lo, exec_lo, s2
	v_mul_lo_u32 v3, v8, s28
	v_mul_lo_u32 v5, v10, s30
	v_mul_lo_u32 v7, v12, s34
	v_mul_lo_u32 v9, v14, s36
	v_mul_lo_u32 v13, v18, s40
	s_add_nc_u64 s[40:41], s[0:1], s[46:47]
	v_mul_lo_u32 v11, v16, s38
	s_load_b32 s2, s[40:41], 0x6c
	v_sub_nc_u32_e32 v3, v6, v3
	v_sub_nc_u32_e32 v5, v8, v5
	;; [unrolled: 1-line block ×4, first 2 shown]
	v_mul_lo_u32 v8, v20, s42
	v_mul_lo_u32 v3, s25, v3
	v_mul_lo_u32 v5, s29, v5
	v_mul_lo_u32 v9, v22, s44
	v_sub_nc_u32_e32 v10, v14, v11
	v_sub_nc_u32_e32 v11, v16, v13
	v_mul_lo_u32 v6, s31, v6
	v_mul_lo_u32 v7, s35, v7
	s_add_co_i32 s26, s26, -8
	v_mul_lo_u32 v10, s37, v10
	v_add3_u32 v3, v3, v4, v5
	v_sub_nc_u32_e32 v4, v18, v8
	v_sub_nc_u32_e32 v5, v20, v9
	v_mul_lo_u32 v8, s39, v11
	s_wait_alu 0xfffe
	s_cmp_eq_u32 s26, -8
	v_add3_u32 v3, v6, v3, v7
	v_mul_lo_u32 v4, s27, v4
	s_wait_kmcnt 0x0
	v_mul_lo_u32 v5, s2, v5
	s_delay_alu instid0(VALU_DEP_3) | instskip(NEXT) | instid1(VALU_DEP_1)
	v_add3_u32 v3, v10, v3, v8
	v_add3_u32 v4, v4, v3, v5
	s_cbranch_scc1 .LBB88_56
; %bb.55:                               ;   in Loop: Header=BB88_22 Depth=2
	v_dual_mov_b32 v6, v22 :: v_dual_mov_b32 v7, v23
	s_branch .LBB88_22
.LBB88_56:                              ;   in Loop: Header=BB88_3 Depth=1
	s_load_b32 s2, s[12:13], 0x4
	s_wait_kmcnt 0x0
	v_cmp_gt_i32_e32 vcc_lo, s2, v27
	s_and_b32 exec_lo, exec_lo, vcc_lo
	s_cbranch_execz .LBB88_2
; %bb.57:                               ;   in Loop: Header=BB88_3 Depth=1
	v_ashrrev_i32_e32 v5, 31, v4
	v_add_nc_u32_e32 v3, 1, v27
	s_delay_alu instid0(VALU_DEP_2) | instskip(NEXT) | instid1(VALU_DEP_1)
	v_lshlrev_b64_e32 v[5:6], 2, v[4:5]
	v_add_co_u32 v5, vcc_lo, s16, v5
	s_wait_alu 0xfffd
	s_delay_alu instid0(VALU_DEP_2)
	v_add_co_ci_u32_e64 v6, null, s17, v6, vcc_lo
	v_cmp_gt_i32_e32 vcc_lo, s2, v3
	global_store_b32 v[5:6], v2, off
	s_and_b32 exec_lo, exec_lo, vcc_lo
	s_cbranch_execz .LBB88_2
; %bb.58:                               ;   in Loop: Header=BB88_3 Depth=1
	v_sub_nc_u32_e32 v5, v3, v26
	s_delay_alu instid0(VALU_DEP_1) | instskip(NEXT) | instid1(VALU_DEP_1)
	v_ashrrev_i32_e32 v6, 31, v5
	v_cmp_gt_i64_e32 vcc_lo, s[4:5], v[5:6]
	s_and_b32 exec_lo, exec_lo, vcc_lo
	s_cbranch_execz .LBB88_2
; %bb.59:                               ;   in Loop: Header=BB88_3 Depth=1
	v_add_nc_u32_e32 v3, s3, v4
	s_delay_alu instid0(VALU_DEP_1) | instskip(NEXT) | instid1(VALU_DEP_1)
	v_ashrrev_i32_e32 v4, 31, v3
	v_lshlrev_b64_e32 v[3:4], 2, v[3:4]
	s_delay_alu instid0(VALU_DEP_1) | instskip(SKIP_1) | instid1(VALU_DEP_2)
	v_add_co_u32 v3, vcc_lo, s16, v3
	s_wait_alu 0xfffd
	v_add_co_ci_u32_e64 v4, null, s17, v4, vcc_lo
	global_store_b32 v[3:4], v2, off
	s_branch .LBB88_2
.LBB88_60:
	s_endpgm
	.section	.rodata,"a",@progbits
	.p2align	6, 0x0
	.amdhsa_kernel _ZN2at6native16triu_tril_kernelIN3c107complexINS2_4HalfEEEiLb1ELi2ELb1EEEvNS_4cuda6detail10TensorInfoIT_T0_EENS8_IKS9_SA_EEllSA_
		.amdhsa_group_segment_fixed_size 0
		.amdhsa_private_segment_fixed_size 0
		.amdhsa_kernarg_size 712
		.amdhsa_user_sgpr_count 2
		.amdhsa_user_sgpr_dispatch_ptr 0
		.amdhsa_user_sgpr_queue_ptr 0
		.amdhsa_user_sgpr_kernarg_segment_ptr 1
		.amdhsa_user_sgpr_dispatch_id 0
		.amdhsa_user_sgpr_private_segment_size 0
		.amdhsa_wavefront_size32 1
		.amdhsa_uses_dynamic_stack 0
		.amdhsa_enable_private_segment 0
		.amdhsa_system_sgpr_workgroup_id_x 1
		.amdhsa_system_sgpr_workgroup_id_y 0
		.amdhsa_system_sgpr_workgroup_id_z 0
		.amdhsa_system_sgpr_workgroup_info 0
		.amdhsa_system_vgpr_workitem_id 0
		.amdhsa_next_free_vgpr 32
		.amdhsa_next_free_sgpr 66
		.amdhsa_reserve_vcc 1
		.amdhsa_float_round_mode_32 0
		.amdhsa_float_round_mode_16_64 0
		.amdhsa_float_denorm_mode_32 3
		.amdhsa_float_denorm_mode_16_64 3
		.amdhsa_fp16_overflow 0
		.amdhsa_workgroup_processor_mode 1
		.amdhsa_memory_ordered 1
		.amdhsa_forward_progress 1
		.amdhsa_inst_pref_size 95
		.amdhsa_round_robin_scheduling 0
		.amdhsa_exception_fp_ieee_invalid_op 0
		.amdhsa_exception_fp_denorm_src 0
		.amdhsa_exception_fp_ieee_div_zero 0
		.amdhsa_exception_fp_ieee_overflow 0
		.amdhsa_exception_fp_ieee_underflow 0
		.amdhsa_exception_fp_ieee_inexact 0
		.amdhsa_exception_int_div_zero 0
	.end_amdhsa_kernel
	.section	.text._ZN2at6native16triu_tril_kernelIN3c107complexINS2_4HalfEEEiLb1ELi2ELb1EEEvNS_4cuda6detail10TensorInfoIT_T0_EENS8_IKS9_SA_EEllSA_,"axG",@progbits,_ZN2at6native16triu_tril_kernelIN3c107complexINS2_4HalfEEEiLb1ELi2ELb1EEEvNS_4cuda6detail10TensorInfoIT_T0_EENS8_IKS9_SA_EEllSA_,comdat
.Lfunc_end88:
	.size	_ZN2at6native16triu_tril_kernelIN3c107complexINS2_4HalfEEEiLb1ELi2ELb1EEEvNS_4cuda6detail10TensorInfoIT_T0_EENS8_IKS9_SA_EEllSA_, .Lfunc_end88-_ZN2at6native16triu_tril_kernelIN3c107complexINS2_4HalfEEEiLb1ELi2ELb1EEEvNS_4cuda6detail10TensorInfoIT_T0_EENS8_IKS9_SA_EEllSA_
                                        ; -- End function
	.set _ZN2at6native16triu_tril_kernelIN3c107complexINS2_4HalfEEEiLb1ELi2ELb1EEEvNS_4cuda6detail10TensorInfoIT_T0_EENS8_IKS9_SA_EEllSA_.num_vgpr, 32
	.set _ZN2at6native16triu_tril_kernelIN3c107complexINS2_4HalfEEEiLb1ELi2ELb1EEEvNS_4cuda6detail10TensorInfoIT_T0_EENS8_IKS9_SA_EEllSA_.num_agpr, 0
	.set _ZN2at6native16triu_tril_kernelIN3c107complexINS2_4HalfEEEiLb1ELi2ELb1EEEvNS_4cuda6detail10TensorInfoIT_T0_EENS8_IKS9_SA_EEllSA_.numbered_sgpr, 66
	.set _ZN2at6native16triu_tril_kernelIN3c107complexINS2_4HalfEEEiLb1ELi2ELb1EEEvNS_4cuda6detail10TensorInfoIT_T0_EENS8_IKS9_SA_EEllSA_.num_named_barrier, 0
	.set _ZN2at6native16triu_tril_kernelIN3c107complexINS2_4HalfEEEiLb1ELi2ELb1EEEvNS_4cuda6detail10TensorInfoIT_T0_EENS8_IKS9_SA_EEllSA_.private_seg_size, 0
	.set _ZN2at6native16triu_tril_kernelIN3c107complexINS2_4HalfEEEiLb1ELi2ELb1EEEvNS_4cuda6detail10TensorInfoIT_T0_EENS8_IKS9_SA_EEllSA_.uses_vcc, 1
	.set _ZN2at6native16triu_tril_kernelIN3c107complexINS2_4HalfEEEiLb1ELi2ELb1EEEvNS_4cuda6detail10TensorInfoIT_T0_EENS8_IKS9_SA_EEllSA_.uses_flat_scratch, 0
	.set _ZN2at6native16triu_tril_kernelIN3c107complexINS2_4HalfEEEiLb1ELi2ELb1EEEvNS_4cuda6detail10TensorInfoIT_T0_EENS8_IKS9_SA_EEllSA_.has_dyn_sized_stack, 0
	.set _ZN2at6native16triu_tril_kernelIN3c107complexINS2_4HalfEEEiLb1ELi2ELb1EEEvNS_4cuda6detail10TensorInfoIT_T0_EENS8_IKS9_SA_EEllSA_.has_recursion, 0
	.set _ZN2at6native16triu_tril_kernelIN3c107complexINS2_4HalfEEEiLb1ELi2ELb1EEEvNS_4cuda6detail10TensorInfoIT_T0_EENS8_IKS9_SA_EEllSA_.has_indirect_call, 0
	.section	.AMDGPU.csdata,"",@progbits
; Kernel info:
; codeLenInByte = 12148
; TotalNumSgprs: 68
; NumVgprs: 32
; ScratchSize: 0
; MemoryBound: 0
; FloatMode: 240
; IeeeMode: 1
; LDSByteSize: 0 bytes/workgroup (compile time only)
; SGPRBlocks: 0
; VGPRBlocks: 3
; NumSGPRsForWavesPerEU: 68
; NumVGPRsForWavesPerEU: 32
; Occupancy: 16
; WaveLimiterHint : 0
; COMPUTE_PGM_RSRC2:SCRATCH_EN: 0
; COMPUTE_PGM_RSRC2:USER_SGPR: 2
; COMPUTE_PGM_RSRC2:TRAP_HANDLER: 0
; COMPUTE_PGM_RSRC2:TGID_X_EN: 1
; COMPUTE_PGM_RSRC2:TGID_Y_EN: 0
; COMPUTE_PGM_RSRC2:TGID_Z_EN: 0
; COMPUTE_PGM_RSRC2:TIDIG_COMP_CNT: 0
	.section	.text._ZN2at6native16triu_tril_kernelIN3c107complexINS2_4HalfEEEiLb1ELi2ELb0EEEvNS_4cuda6detail10TensorInfoIT_T0_EENS8_IKS9_SA_EEllSA_,"axG",@progbits,_ZN2at6native16triu_tril_kernelIN3c107complexINS2_4HalfEEEiLb1ELi2ELb0EEEvNS_4cuda6detail10TensorInfoIT_T0_EENS8_IKS9_SA_EEllSA_,comdat
	.protected	_ZN2at6native16triu_tril_kernelIN3c107complexINS2_4HalfEEEiLb1ELi2ELb0EEEvNS_4cuda6detail10TensorInfoIT_T0_EENS8_IKS9_SA_EEllSA_ ; -- Begin function _ZN2at6native16triu_tril_kernelIN3c107complexINS2_4HalfEEEiLb1ELi2ELb0EEEvNS_4cuda6detail10TensorInfoIT_T0_EENS8_IKS9_SA_EEllSA_
	.globl	_ZN2at6native16triu_tril_kernelIN3c107complexINS2_4HalfEEEiLb1ELi2ELb0EEEvNS_4cuda6detail10TensorInfoIT_T0_EENS8_IKS9_SA_EEllSA_
	.p2align	8
	.type	_ZN2at6native16triu_tril_kernelIN3c107complexINS2_4HalfEEEiLb1ELi2ELb0EEEvNS_4cuda6detail10TensorInfoIT_T0_EENS8_IKS9_SA_EEllSA_,@function
_ZN2at6native16triu_tril_kernelIN3c107complexINS2_4HalfEEEiLb1ELi2ELb0EEEvNS_4cuda6detail10TensorInfoIT_T0_EENS8_IKS9_SA_EEllSA_: ; @_ZN2at6native16triu_tril_kernelIN3c107complexINS2_4HalfEEEiLb1ELi2ELb0EEEvNS_4cuda6detail10TensorInfoIT_T0_EENS8_IKS9_SA_EEllSA_
; %bb.0:
	s_clause 0x1
	s_load_b32 s2, s[0:1], 0x1d4
	s_load_b128 s[4:7], s[0:1], 0x1b0
	v_mov_b32_e32 v2, 0
	s_delay_alu instid0(VALU_DEP_1) | instskip(SKIP_3) | instid1(VALU_DEP_1)
	v_mov_b32_e32 v1, v2
	s_wait_kmcnt 0x0
	s_and_b32 s21, s2, 0xffff
	s_mov_b32 s2, exec_lo
	v_mad_co_u64_u32 v[0:1], null, s21, ttmp9, v[0:1]
	s_delay_alu instid0(VALU_DEP_1) | instskip(NEXT) | instid1(VALU_DEP_1)
	v_lshlrev_b64_e32 v[0:1], 1, v[0:1]
	v_cmpx_gt_i64_e64 s[6:7], v[0:1]
	s_cbranch_execz .LBB89_47
; %bb.1:
	s_clause 0x2
	s_load_b32 s24, s[0:1], 0x1a8
	s_load_b32 s8, s[0:1], 0x1c0
	s_load_b64 s[10:11], s[0:1], 0xd8
	s_add_nc_u64 s[12:13], s[0:1], 0xd8
	s_add_nc_u64 s[14:15], s[0:1], 0x1c8
	s_load_b32 s26, s[14:15], 0x0
	s_load_b64 s[14:15], s[0:1], 0x0
	s_wait_kmcnt 0x0
	s_ashr_i32 s25, s24, 31
	v_cvt_f32_u32_e32 v3, s8
	s_lshl_b64 s[16:17], s[24:25], 2
	s_and_b32 s48, s24, 3
	s_add_nc_u64 s[18:19], s[12:13], s[16:17]
	s_add_nc_u64 s[22:23], s[0:1], s[16:17]
	s_load_b64 s[2:3], s[18:19], 0x0
	v_rcp_iflag_f32_e32 v3, v3
	s_clause 0x1
	s_load_b64 s[16:17], s[18:19], 0x64
	s_load_b64 s[18:19], s[22:23], 0x64
	s_mul_i32 s26, s26, s21
	s_ashr_i32 s9, s8, 31
	s_add_co_i32 s33, s24, -3
	s_lshl_b32 s50, s26, 1
	v_cmp_gt_i64_e64 s49, s[24:25], 2
	s_mov_b32 s23, 0
	v_mul_f32_e32 v3, 0x4f7ffffe, v3
	s_delay_alu instid0(VALU_DEP_1)
	v_cvt_u32_f32_e32 v18, v3
	s_wait_kmcnt 0x0
	s_mov_b32 s20, s2
	s_ashr_i32 s21, s2, 31
	s_wait_alu 0xfffe
	v_cvt_f32_u32_e32 v4, s20
	s_cmp_lg_u32 s48, 2
	s_mov_b32 s24, s17
	s_cselect_b32 s51, -1, 0
	s_cmp_gt_u32 s33, 2
	v_rcp_iflag_f32_e32 v4, v4
	s_cselect_b32 s52, -1, 0
	s_ashr_i32 s25, s17, 31
	s_ashr_i32 s27, s19, 31
	s_mov_b32 s26, s19
	s_ashr_i32 s28, s9, 31
	s_mov_b32 s17, 0
	s_delay_alu instid0(TRANS32_DEP_1) | instskip(NEXT) | instid1(VALU_DEP_1)
	v_mul_f32_e32 v3, 0x4f7ffffe, v4
	v_cvt_u32_f32_e32 v19, v3
	s_branch .LBB89_3
.LBB89_2:                               ;   in Loop: Header=BB89_3 Depth=1
	s_wait_alu 0xfffe
	s_or_b32 exec_lo, exec_lo, s2
	v_add_co_u32 v0, vcc_lo, v0, s50
	s_wait_alu 0xfffd
	v_add_co_ci_u32_e64 v1, null, 0, v1, vcc_lo
	s_delay_alu instid0(VALU_DEP_1)
	v_cmp_le_i64_e32 vcc_lo, s[6:7], v[0:1]
	s_or_b32 s17, vcc_lo, s17
	s_wait_alu 0xfffe
	s_and_not1_b32 exec_lo, exec_lo, s17
	s_cbranch_execz .LBB89_47
.LBB89_3:                               ; =>This Loop Header: Depth=1
                                        ;     Child Loop BB89_15 Depth 2
                                        ;     Child Loop BB89_20 Depth 2
	v_or_b32_e32 v3, s9, v1
                                        ; implicit-def: $vgpr4_vgpr5
	s_mov_b32 s2, exec_lo
	s_delay_alu instid0(VALU_DEP_1)
	v_cmpx_ne_u64_e32 0, v[2:3]
	s_wait_alu 0xfffe
	s_xor_b32 s19, exec_lo, s2
	s_cbranch_execz .LBB89_5
; %bb.4:                                ;   in Loop: Header=BB89_3 Depth=1
	s_mov_b32 s29, s28
	v_ashrrev_i32_e32 v9, 31, v1
	s_wait_alu 0xfffe
	s_add_nc_u64 s[30:31], s[8:9], s[28:29]
	s_wait_alu 0xfffe
	s_xor_b64 s[30:31], s[30:31], s[28:29]
	v_add_co_u32 v3, vcc_lo, v0, v9
	s_wait_alu 0xfffe
	s_cvt_f32_u32 s2, s30
	s_cvt_f32_u32 s22, s31
	s_sub_nc_u64 s[36:37], 0, s[30:31]
	s_wait_alu 0xfffd
	v_add_co_ci_u32_e64 v4, null, v1, v9, vcc_lo
	s_wait_alu 0xfffe
	s_fmamk_f32 s2, s22, 0x4f800000, s2
	v_xor_b32_e32 v10, v3, v9
	s_delay_alu instid0(VALU_DEP_2) | instskip(SKIP_2) | instid1(TRANS32_DEP_1)
	v_xor_b32_e32 v11, v4, v9
	s_wait_alu 0xfffe
	v_s_rcp_f32 s2, s2
	s_mul_f32 s2, s2, 0x5f7ffffc
	s_wait_alu 0xfffe
	s_delay_alu instid0(SALU_CYCLE_2) | instskip(SKIP_1) | instid1(SALU_CYCLE_2)
	s_mul_f32 s22, s2, 0x2f800000
	s_wait_alu 0xfffe
	s_trunc_f32 s22, s22
	s_wait_alu 0xfffe
	s_delay_alu instid0(SALU_CYCLE_2) | instskip(SKIP_2) | instid1(SALU_CYCLE_1)
	s_fmamk_f32 s2, s22, 0xcf800000, s2
	s_cvt_u32_f32 s35, s22
	s_wait_alu 0xfffe
	s_cvt_u32_f32 s34, s2
	s_wait_alu 0xfffe
	s_delay_alu instid0(SALU_CYCLE_2)
	s_mul_u64 s[38:39], s[36:37], s[34:35]
	s_wait_alu 0xfffe
	s_mul_hi_u32 s41, s34, s39
	s_mul_i32 s40, s34, s39
	s_mul_hi_u32 s22, s34, s38
	s_mul_i32 s29, s35, s38
	s_wait_alu 0xfffe
	s_add_nc_u64 s[40:41], s[22:23], s[40:41]
	s_mul_hi_u32 s2, s35, s38
	s_mul_hi_u32 s42, s35, s39
	s_wait_alu 0xfffe
	s_add_co_u32 s22, s40, s29
	s_add_co_ci_u32 s22, s41, s2
	s_mul_i32 s38, s35, s39
	s_add_co_ci_u32 s39, s42, 0
	s_wait_alu 0xfffe
	s_add_nc_u64 s[38:39], s[22:23], s[38:39]
	s_wait_alu 0xfffe
	s_add_co_u32 s34, s34, s38
	s_cselect_b32 s2, -1, 0
	s_wait_alu 0xfffe
	s_cmp_lg_u32 s2, 0
	s_add_co_ci_u32 s35, s35, s39
	s_wait_alu 0xfffe
	s_mul_u64 s[36:37], s[36:37], s[34:35]
	s_wait_alu 0xfffe
	s_mul_hi_u32 s39, s34, s37
	s_mul_i32 s38, s34, s37
	s_mul_hi_u32 s22, s34, s36
	s_mul_i32 s29, s35, s36
	s_wait_alu 0xfffe
	s_add_nc_u64 s[38:39], s[22:23], s[38:39]
	s_mul_hi_u32 s2, s35, s36
	s_mul_hi_u32 s40, s35, s37
	s_wait_alu 0xfffe
	s_add_co_u32 s22, s38, s29
	s_add_co_ci_u32 s22, s39, s2
	s_mul_i32 s36, s35, s37
	s_add_co_ci_u32 s37, s40, 0
	s_wait_alu 0xfffe
	s_add_nc_u64 s[36:37], s[22:23], s[36:37]
	s_wait_alu 0xfffe
	s_add_co_u32 s2, s34, s36
	s_cselect_b32 s22, -1, 0
	s_wait_alu 0xfffe
	v_mul_hi_u32 v12, v10, s2
	s_cmp_lg_u32 s22, 0
	v_mad_co_u64_u32 v[5:6], null, v11, s2, 0
	s_add_co_ci_u32 s22, s35, s37
	s_wait_alu 0xfffe
	v_mad_co_u64_u32 v[3:4], null, v10, s22, 0
	v_mad_co_u64_u32 v[7:8], null, v11, s22, 0
	s_delay_alu instid0(VALU_DEP_2) | instskip(SKIP_1) | instid1(VALU_DEP_3)
	v_add_co_u32 v3, vcc_lo, v12, v3
	s_wait_alu 0xfffd
	v_add_co_ci_u32_e64 v4, null, 0, v4, vcc_lo
	s_delay_alu instid0(VALU_DEP_2) | instskip(SKIP_1) | instid1(VALU_DEP_2)
	v_add_co_u32 v3, vcc_lo, v3, v5
	s_wait_alu 0xfffd
	v_add_co_ci_u32_e32 v3, vcc_lo, v4, v6, vcc_lo
	s_wait_alu 0xfffd
	v_add_co_ci_u32_e32 v4, vcc_lo, 0, v8, vcc_lo
	s_delay_alu instid0(VALU_DEP_2) | instskip(SKIP_1) | instid1(VALU_DEP_2)
	v_add_co_u32 v5, vcc_lo, v3, v7
	s_wait_alu 0xfffd
	v_add_co_ci_u32_e64 v6, null, 0, v4, vcc_lo
	s_delay_alu instid0(VALU_DEP_2) | instskip(SKIP_1) | instid1(VALU_DEP_3)
	v_mul_lo_u32 v7, s31, v5
	v_mad_co_u64_u32 v[3:4], null, s30, v5, 0
	v_mul_lo_u32 v8, s30, v6
	s_delay_alu instid0(VALU_DEP_2) | instskip(NEXT) | instid1(VALU_DEP_2)
	v_sub_co_u32 v3, vcc_lo, v10, v3
	v_add3_u32 v4, v4, v8, v7
	v_add_co_u32 v8, s2, v5, 2
	s_wait_alu 0xf1ff
	v_add_co_ci_u32_e64 v10, null, 0, v6, s2
	s_delay_alu instid0(VALU_DEP_3) | instskip(SKIP_3) | instid1(VALU_DEP_3)
	v_sub_nc_u32_e32 v7, v11, v4
	v_sub_co_u32 v12, s2, v3, s30
	s_wait_alu 0xfffd
	v_sub_co_ci_u32_e64 v4, null, v11, v4, vcc_lo
	v_subrev_co_ci_u32_e64 v7, null, s31, v7, vcc_lo
	s_delay_alu instid0(VALU_DEP_3) | instskip(SKIP_1) | instid1(VALU_DEP_2)
	v_cmp_le_u32_e32 vcc_lo, s30, v12
	s_wait_alu 0xf1ff
	v_subrev_co_ci_u32_e64 v7, null, 0, v7, s2
	s_wait_alu 0xfffd
	v_cndmask_b32_e64 v11, 0, -1, vcc_lo
	s_delay_alu instid0(VALU_DEP_2)
	v_cmp_le_u32_e32 vcc_lo, s31, v7
	s_wait_alu 0xfffd
	v_cndmask_b32_e64 v12, 0, -1, vcc_lo
	v_cmp_le_u32_e32 vcc_lo, s30, v3
	s_wait_alu 0xfffd
	v_cndmask_b32_e64 v3, 0, -1, vcc_lo
	;; [unrolled: 3-line block ×3, first 2 shown]
	v_cmp_eq_u32_e32 vcc_lo, s31, v7
	s_wait_alu 0xfffd
	v_cndmask_b32_e32 v7, v12, v11, vcc_lo
	v_add_co_u32 v11, vcc_lo, v5, 1
	s_wait_alu 0xfffd
	v_add_co_ci_u32_e64 v12, null, 0, v6, vcc_lo
	v_cmp_eq_u32_e32 vcc_lo, s31, v4
	s_wait_alu 0xfffd
	v_cndmask_b32_e32 v3, v13, v3, vcc_lo
	v_cmp_ne_u32_e32 vcc_lo, 0, v7
	v_xor_b32_e32 v7, s28, v9
	s_wait_alu 0xfffd
	v_cndmask_b32_e32 v4, v12, v10, vcc_lo
	v_cmp_ne_u32_e64 s2, 0, v3
	v_cndmask_b32_e32 v3, v11, v8, vcc_lo
	s_wait_alu 0xf1ff
	s_delay_alu instid0(VALU_DEP_2) | instskip(NEXT) | instid1(VALU_DEP_2)
	v_cndmask_b32_e64 v4, v6, v4, s2
	v_cndmask_b32_e64 v3, v5, v3, s2
	s_delay_alu instid0(VALU_DEP_2) | instskip(NEXT) | instid1(VALU_DEP_2)
	v_xor_b32_e32 v5, v4, v7
	v_xor_b32_e32 v3, v3, v7
	s_delay_alu instid0(VALU_DEP_1) | instskip(SKIP_1) | instid1(VALU_DEP_3)
	v_sub_co_u32 v4, vcc_lo, v3, v7
	s_wait_alu 0xfffd
	v_sub_co_ci_u32_e64 v5, null, v5, v7, vcc_lo
.LBB89_5:                               ;   in Loop: Header=BB89_3 Depth=1
	s_wait_alu 0xfffe
	s_and_not1_saveexec_b32 s2, s19
	s_cbranch_execz .LBB89_7
; %bb.6:                                ;   in Loop: Header=BB89_3 Depth=1
	s_sub_co_i32 s19, 0, s8
	s_wait_alu 0xfffe
	v_mul_lo_u32 v3, s19, v18
	s_delay_alu instid0(VALU_DEP_1) | instskip(NEXT) | instid1(VALU_DEP_1)
	v_mul_hi_u32 v3, v18, v3
	v_add_nc_u32_e32 v3, v18, v3
	s_delay_alu instid0(VALU_DEP_1) | instskip(NEXT) | instid1(VALU_DEP_1)
	v_mul_hi_u32 v3, v0, v3
	v_mul_lo_u32 v4, v3, s8
	v_add_nc_u32_e32 v5, 1, v3
	s_delay_alu instid0(VALU_DEP_2) | instskip(NEXT) | instid1(VALU_DEP_1)
	v_sub_nc_u32_e32 v4, v0, v4
	v_subrev_nc_u32_e32 v6, s8, v4
	v_cmp_le_u32_e32 vcc_lo, s8, v4
	s_wait_alu 0xfffd
	s_delay_alu instid0(VALU_DEP_2) | instskip(NEXT) | instid1(VALU_DEP_1)
	v_dual_cndmask_b32 v4, v4, v6 :: v_dual_cndmask_b32 v3, v3, v5
	v_cmp_le_u32_e32 vcc_lo, s8, v4
	s_delay_alu instid0(VALU_DEP_2) | instskip(SKIP_1) | instid1(VALU_DEP_1)
	v_add_nc_u32_e32 v5, 1, v3
	s_wait_alu 0xfffd
	v_dual_cndmask_b32 v4, v3, v5 :: v_dual_mov_b32 v5, v2
.LBB89_7:                               ;   in Loop: Header=BB89_3 Depth=1
	s_wait_alu 0xfffe
	s_or_b32 exec_lo, exec_lo, s2
	s_delay_alu instid0(VALU_DEP_1) | instskip(SKIP_1) | instid1(VALU_DEP_1)
	v_or_b32_e32 v3, s21, v5
                                        ; implicit-def: $vgpr8_vgpr9
	s_mov_b32 s2, exec_lo
	v_cmpx_ne_u64_e32 0, v[2:3]
	s_wait_alu 0xfffe
	s_xor_b32 s19, exec_lo, s2
	s_cbranch_execz .LBB89_9
; %bb.8:                                ;   in Loop: Header=BB89_3 Depth=1
	s_ashr_i32 s30, s21, 31
	v_ashrrev_i32_e32 v3, 31, v5
	s_wait_alu 0xfffe
	s_mov_b32 s31, s30
	s_wait_alu 0xfffe
	s_add_nc_u64 s[34:35], s[20:21], s[30:31]
	v_add_co_u32 v6, vcc_lo, v4, v3
	s_wait_alu 0xfffe
	s_xor_b64 s[34:35], s[34:35], s[30:31]
	s_wait_alu 0xfffd
	v_add_co_ci_u32_e64 v5, null, v5, v3, vcc_lo
	s_wait_alu 0xfffe
	s_cvt_f32_u32 s2, s34
	s_cvt_f32_u32 s22, s35
	s_sub_nc_u64 s[38:39], 0, s[34:35]
	v_xor_b32_e32 v11, v6, v3
	v_xor_b32_e32 v12, v5, v3
	s_wait_alu 0xfffe
	s_fmamk_f32 s2, s22, 0x4f800000, s2
	v_xor_b32_e32 v3, s30, v3
	s_wait_alu 0xfffe
	s_delay_alu instid0(SALU_CYCLE_1) | instskip(NEXT) | instid1(TRANS32_DEP_1)
	v_s_rcp_f32 s2, s2
	s_mul_f32 s2, s2, 0x5f7ffffc
	s_wait_alu 0xfffe
	s_delay_alu instid0(SALU_CYCLE_2) | instskip(SKIP_1) | instid1(SALU_CYCLE_2)
	s_mul_f32 s22, s2, 0x2f800000
	s_wait_alu 0xfffe
	s_trunc_f32 s22, s22
	s_wait_alu 0xfffe
	s_delay_alu instid0(SALU_CYCLE_2) | instskip(SKIP_2) | instid1(SALU_CYCLE_1)
	s_fmamk_f32 s2, s22, 0xcf800000, s2
	s_cvt_u32_f32 s37, s22
	s_wait_alu 0xfffe
	s_cvt_u32_f32 s36, s2
	s_wait_alu 0xfffe
	s_delay_alu instid0(SALU_CYCLE_2)
	s_mul_u64 s[40:41], s[38:39], s[36:37]
	s_wait_alu 0xfffe
	s_mul_hi_u32 s43, s36, s41
	s_mul_i32 s42, s36, s41
	s_mul_hi_u32 s22, s36, s40
	s_mul_i32 s29, s37, s40
	s_wait_alu 0xfffe
	s_add_nc_u64 s[42:43], s[22:23], s[42:43]
	s_mul_hi_u32 s2, s37, s40
	s_mul_hi_u32 s31, s37, s41
	s_wait_alu 0xfffe
	s_add_co_u32 s22, s42, s29
	s_add_co_ci_u32 s22, s43, s2
	s_mul_i32 s40, s37, s41
	s_add_co_ci_u32 s41, s31, 0
	s_wait_alu 0xfffe
	s_add_nc_u64 s[40:41], s[22:23], s[40:41]
	s_wait_alu 0xfffe
	s_add_co_u32 s36, s36, s40
	s_cselect_b32 s2, -1, 0
	s_wait_alu 0xfffe
	s_cmp_lg_u32 s2, 0
	s_add_co_ci_u32 s37, s37, s41
	s_wait_alu 0xfffe
	s_mul_u64 s[38:39], s[38:39], s[36:37]
	s_wait_alu 0xfffe
	s_mul_hi_u32 s41, s36, s39
	s_mul_i32 s40, s36, s39
	s_mul_hi_u32 s22, s36, s38
	s_mul_i32 s29, s37, s38
	s_wait_alu 0xfffe
	s_add_nc_u64 s[40:41], s[22:23], s[40:41]
	s_mul_hi_u32 s2, s37, s38
	s_mul_hi_u32 s31, s37, s39
	s_wait_alu 0xfffe
	s_add_co_u32 s22, s40, s29
	s_add_co_ci_u32 s22, s41, s2
	s_mul_i32 s38, s37, s39
	s_add_co_ci_u32 s39, s31, 0
	s_wait_alu 0xfffe
	s_add_nc_u64 s[38:39], s[22:23], s[38:39]
	s_wait_alu 0xfffe
	s_add_co_u32 s2, s36, s38
	s_cselect_b32 s22, -1, 0
	s_wait_alu 0xfffe
	v_mul_hi_u32 v13, v11, s2
	s_cmp_lg_u32 s22, 0
	v_mad_co_u64_u32 v[7:8], null, v12, s2, 0
	s_add_co_ci_u32 s22, s37, s39
	s_wait_alu 0xfffe
	v_mad_co_u64_u32 v[5:6], null, v11, s22, 0
	v_mad_co_u64_u32 v[9:10], null, v12, s22, 0
	s_delay_alu instid0(VALU_DEP_2) | instskip(SKIP_1) | instid1(VALU_DEP_3)
	v_add_co_u32 v5, vcc_lo, v13, v5
	s_wait_alu 0xfffd
	v_add_co_ci_u32_e64 v6, null, 0, v6, vcc_lo
	s_delay_alu instid0(VALU_DEP_2) | instskip(SKIP_1) | instid1(VALU_DEP_2)
	v_add_co_u32 v5, vcc_lo, v5, v7
	s_wait_alu 0xfffd
	v_add_co_ci_u32_e32 v5, vcc_lo, v6, v8, vcc_lo
	s_wait_alu 0xfffd
	v_add_co_ci_u32_e32 v6, vcc_lo, 0, v10, vcc_lo
	s_delay_alu instid0(VALU_DEP_2) | instskip(SKIP_1) | instid1(VALU_DEP_2)
	v_add_co_u32 v7, vcc_lo, v5, v9
	s_wait_alu 0xfffd
	v_add_co_ci_u32_e64 v8, null, 0, v6, vcc_lo
	s_delay_alu instid0(VALU_DEP_2) | instskip(SKIP_1) | instid1(VALU_DEP_3)
	v_mul_lo_u32 v9, s35, v7
	v_mad_co_u64_u32 v[5:6], null, s34, v7, 0
	v_mul_lo_u32 v10, s34, v8
	s_delay_alu instid0(VALU_DEP_2) | instskip(NEXT) | instid1(VALU_DEP_2)
	v_sub_co_u32 v5, vcc_lo, v11, v5
	v_add3_u32 v6, v6, v10, v9
	v_add_co_u32 v10, s2, v7, 2
	s_wait_alu 0xf1ff
	v_add_co_ci_u32_e64 v11, null, 0, v8, s2
	s_delay_alu instid0(VALU_DEP_3) | instskip(SKIP_3) | instid1(VALU_DEP_3)
	v_sub_nc_u32_e32 v9, v12, v6
	v_sub_co_u32 v13, s2, v5, s34
	s_wait_alu 0xfffd
	v_sub_co_ci_u32_e64 v6, null, v12, v6, vcc_lo
	v_subrev_co_ci_u32_e64 v9, null, s35, v9, vcc_lo
	s_delay_alu instid0(VALU_DEP_3) | instskip(SKIP_1) | instid1(VALU_DEP_2)
	v_cmp_le_u32_e32 vcc_lo, s34, v13
	s_wait_alu 0xf1ff
	v_subrev_co_ci_u32_e64 v9, null, 0, v9, s2
	s_wait_alu 0xfffd
	v_cndmask_b32_e64 v12, 0, -1, vcc_lo
	s_delay_alu instid0(VALU_DEP_2)
	v_cmp_le_u32_e32 vcc_lo, s35, v9
	s_wait_alu 0xfffd
	v_cndmask_b32_e64 v13, 0, -1, vcc_lo
	v_cmp_le_u32_e32 vcc_lo, s34, v5
	s_wait_alu 0xfffd
	v_cndmask_b32_e64 v5, 0, -1, vcc_lo
	;; [unrolled: 3-line block ×3, first 2 shown]
	v_cmp_eq_u32_e32 vcc_lo, s35, v9
	s_wait_alu 0xfffd
	v_cndmask_b32_e32 v9, v13, v12, vcc_lo
	v_add_co_u32 v12, vcc_lo, v7, 1
	s_wait_alu 0xfffd
	v_add_co_ci_u32_e64 v13, null, 0, v8, vcc_lo
	v_cmp_eq_u32_e32 vcc_lo, s35, v6
	s_wait_alu 0xfffd
	v_cndmask_b32_e32 v5, v14, v5, vcc_lo
	v_cmp_ne_u32_e32 vcc_lo, 0, v9
	s_wait_alu 0xfffd
	v_cndmask_b32_e32 v6, v13, v11, vcc_lo
	s_delay_alu instid0(VALU_DEP_3) | instskip(SKIP_2) | instid1(VALU_DEP_2)
	v_cmp_ne_u32_e64 s2, 0, v5
	v_cndmask_b32_e32 v5, v12, v10, vcc_lo
	s_wait_alu 0xf1ff
	v_cndmask_b32_e64 v6, v8, v6, s2
	s_delay_alu instid0(VALU_DEP_2) | instskip(NEXT) | instid1(VALU_DEP_2)
	v_cndmask_b32_e64 v5, v7, v5, s2
	v_xor_b32_e32 v6, v6, v3
	s_delay_alu instid0(VALU_DEP_2) | instskip(NEXT) | instid1(VALU_DEP_1)
	v_xor_b32_e32 v5, v5, v3
	v_sub_co_u32 v8, vcc_lo, v5, v3
	s_wait_alu 0xfffd
	s_delay_alu instid0(VALU_DEP_3)
	v_sub_co_ci_u32_e64 v9, null, v6, v3, vcc_lo
.LBB89_9:                               ;   in Loop: Header=BB89_3 Depth=1
	s_wait_alu 0xfffe
	s_and_not1_saveexec_b32 s2, s19
	s_cbranch_execz .LBB89_11
; %bb.10:                               ;   in Loop: Header=BB89_3 Depth=1
	s_sub_co_i32 s19, 0, s20
	v_mov_b32_e32 v9, v2
	s_wait_alu 0xfffe
	v_mul_lo_u32 v3, s19, v19
	s_delay_alu instid0(VALU_DEP_1) | instskip(NEXT) | instid1(VALU_DEP_1)
	v_mul_hi_u32 v3, v19, v3
	v_add_nc_u32_e32 v3, v19, v3
	s_delay_alu instid0(VALU_DEP_1) | instskip(NEXT) | instid1(VALU_DEP_1)
	v_mul_hi_u32 v3, v4, v3
	v_mul_lo_u32 v5, v3, s20
	v_add_nc_u32_e32 v6, 1, v3
	s_delay_alu instid0(VALU_DEP_2) | instskip(NEXT) | instid1(VALU_DEP_1)
	v_sub_nc_u32_e32 v5, v4, v5
	v_cmp_le_u32_e32 vcc_lo, s20, v5
	v_subrev_nc_u32_e32 v7, s20, v5
	s_wait_alu 0xfffd
	v_cndmask_b32_e32 v3, v3, v6, vcc_lo
	s_delay_alu instid0(VALU_DEP_1) | instskip(NEXT) | instid1(VALU_DEP_3)
	v_add_nc_u32_e32 v6, 1, v3
	v_cndmask_b32_e32 v5, v5, v7, vcc_lo
	s_delay_alu instid0(VALU_DEP_1) | instskip(SKIP_1) | instid1(VALU_DEP_3)
	v_cmp_le_u32_e32 vcc_lo, s20, v5
	s_wait_alu 0xfffd
	v_cndmask_b32_e32 v8, v3, v6, vcc_lo
.LBB89_11:                              ;   in Loop: Header=BB89_3 Depth=1
	s_wait_alu 0xfffe
	s_or_b32 exec_lo, exec_lo, s2
	v_mad_co_u64_u32 v[5:6], null, v4, s8, 0
	s_delay_alu instid0(VALU_DEP_2) | instskip(SKIP_3) | instid1(VALU_DEP_2)
	v_mad_co_u64_u32 v[6:7], null, v8, s20, 0
	s_and_not1_b32 vcc_lo, exec_lo, s49
	v_sub_co_u32 v20, null, v0, v5
	v_sub_co_u32 v21, null, v4, v6
	v_mul_lo_u32 v3, s24, v20
	v_mul_lo_u32 v5, s26, v20
	s_delay_alu instid0(VALU_DEP_2) | instskip(NEXT) | instid1(VALU_DEP_1)
	v_mad_co_u64_u32 v[6:7], null, s16, v21, v[3:4]
	v_mad_co_u64_u32 v[4:5], null, s18, v21, v[5:6]
	s_wait_alu 0xfffe
	s_cbranch_vccnz .LBB89_38
; %bb.12:                               ;   in Loop: Header=BB89_3 Depth=1
	s_mov_b32 s19, 1
	s_and_not1_b32 vcc_lo, exec_lo, s51
	s_mov_b32 s22, s33
	s_mov_b32 s2, s33
	s_wait_alu 0xfffe
	s_cbranch_vccz .LBB89_15
; %bb.13:                               ;   in Loop: Header=BB89_3 Depth=1
	s_and_b32 vcc_lo, exec_lo, s52
	s_mov_b32 s22, s2
	s_wait_alu 0xfffe
	s_cbranch_vccnz .LBB89_20
	s_branch .LBB89_38
.LBB89_14:                              ;   in Loop: Header=BB89_15 Depth=2
	s_wait_alu 0xfffe
	s_or_b32 exec_lo, exec_lo, s2
	s_add_nc_u64 s[36:37], s[0:1], s[36:37]
	s_clause 0x1
	s_load_b32 s2, s[34:35], 0x6c
	s_load_b32 s29, s[36:37], 0x6c
	v_mul_lo_u32 v3, v10, s30
	s_add_co_i32 s22, s22, -1
	s_delay_alu instid0(VALU_DEP_1) | instskip(SKIP_2) | instid1(VALU_DEP_2)
	v_sub_nc_u32_e32 v3, v8, v3
	v_dual_mov_b32 v8, v10 :: v_dual_mov_b32 v9, v11
	s_wait_kmcnt 0x0
	v_mad_co_u64_u32 v[6:7], null, s2, v3, v[6:7]
	v_mad_co_u64_u32 v[4:5], null, s29, v3, v[4:5]
	s_xor_b32 s2, s48, s19
	s_add_co_i32 s19, s19, 1
	s_wait_alu 0xfffe
	s_cmp_lg_u32 s2, 2
	s_cbranch_scc0 .LBB89_19
.LBB89_15:                              ;   Parent Loop BB89_3 Depth=1
                                        ; =>  This Inner Loop Header: Depth=2
	s_lshl_b64 s[36:37], s[22:23], 2
                                        ; implicit-def: $vgpr10_vgpr11
	s_mov_b32 s2, exec_lo
	s_wait_alu 0xfffe
	s_add_nc_u64 s[34:35], s[12:13], s[36:37]
	s_load_b32 s30, s[34:35], 0x8
	s_wait_kmcnt 0x0
	s_ashr_i32 s31, s30, 31
	s_wait_alu 0xfffe
	v_or_b32_e32 v3, s31, v9
	s_delay_alu instid0(VALU_DEP_1)
	v_cmpx_ne_u64_e32 0, v[2:3]
	s_xor_b32 s29, exec_lo, s2
	s_cbranch_execz .LBB89_17
; %bb.16:                               ;   in Loop: Header=BB89_15 Depth=2
	s_ashr_i32 s38, s31, 31
	s_mov_b32 s47, s23
	s_wait_alu 0xfffe
	s_mov_b32 s39, s38
	s_mov_b32 s57, s23
	s_wait_alu 0xfffe
	s_add_nc_u64 s[40:41], s[30:31], s[38:39]
	v_ashrrev_i32_e32 v3, 31, v9
	s_wait_alu 0xfffe
	s_xor_b64 s[40:41], s[40:41], s[38:39]
	s_wait_alu 0xfffe
	s_cvt_f32_u32 s2, s40
	s_cvt_f32_u32 s31, s41
	s_sub_nc_u64 s[44:45], 0, s[40:41]
	v_add_co_u32 v5, vcc_lo, v8, v3
	s_wait_alu 0xfffe
	s_fmamk_f32 s2, s31, 0x4f800000, s2
	s_wait_alu 0xfffd
	v_add_co_ci_u32_e64 v7, null, v9, v3, vcc_lo
	v_xor_b32_e32 v5, v5, v3
	s_wait_alu 0xfffe
	v_s_rcp_f32 s2, s2
	s_delay_alu instid0(VALU_DEP_2) | instskip(SKIP_1) | instid1(TRANS32_DEP_1)
	v_xor_b32_e32 v7, v7, v3
	v_xor_b32_e32 v3, s38, v3
	s_mul_f32 s2, s2, 0x5f7ffffc
	s_wait_alu 0xfffe
	s_delay_alu instid0(SALU_CYCLE_2) | instskip(SKIP_1) | instid1(SALU_CYCLE_2)
	s_mul_f32 s31, s2, 0x2f800000
	s_wait_alu 0xfffe
	s_trunc_f32 s31, s31
	s_wait_alu 0xfffe
	s_delay_alu instid0(SALU_CYCLE_2) | instskip(SKIP_2) | instid1(SALU_CYCLE_1)
	s_fmamk_f32 s2, s31, 0xcf800000, s2
	s_cvt_u32_f32 s43, s31
	s_wait_alu 0xfffe
	s_cvt_u32_f32 s42, s2
	s_wait_alu 0xfffe
	s_delay_alu instid0(SALU_CYCLE_2) | instskip(NEXT) | instid1(SALU_CYCLE_1)
	s_mul_u64 s[54:55], s[44:45], s[42:43]
	s_mul_hi_u32 s59, s42, s55
	s_mul_i32 s58, s42, s55
	s_mul_hi_u32 s46, s42, s54
	s_mul_i32 s31, s43, s54
	s_wait_alu 0xfffe
	s_add_nc_u64 s[46:47], s[46:47], s[58:59]
	s_mul_hi_u32 s2, s43, s54
	s_mul_hi_u32 s39, s43, s55
	s_wait_alu 0xfffe
	s_add_co_u32 s31, s46, s31
	s_add_co_ci_u32 s56, s47, s2
	s_mul_i32 s54, s43, s55
	s_add_co_ci_u32 s55, s39, 0
	s_delay_alu instid0(SALU_CYCLE_1)
	s_add_nc_u64 s[46:47], s[56:57], s[54:55]
	s_mov_b32 s55, s23
	s_wait_alu 0xfffe
	s_add_co_u32 s42, s42, s46
	s_cselect_b32 s2, -1, 0
	s_wait_alu 0xfffe
	s_cmp_lg_u32 s2, 0
	s_add_co_ci_u32 s43, s43, s47
	s_mov_b32 s47, s23
	s_wait_alu 0xfffe
	s_mul_u64 s[44:45], s[44:45], s[42:43]
	s_wait_alu 0xfffe
	s_mul_hi_u32 s57, s42, s45
	s_mul_i32 s56, s42, s45
	s_mul_hi_u32 s54, s42, s44
	s_mul_i32 s31, s43, s44
	s_add_nc_u64 s[54:55], s[54:55], s[56:57]
	s_mul_hi_u32 s2, s43, s44
	s_mul_hi_u32 s39, s43, s45
	s_wait_alu 0xfffe
	s_add_co_u32 s31, s54, s31
	s_add_co_ci_u32 s46, s55, s2
	s_mul_i32 s44, s43, s45
	s_add_co_ci_u32 s45, s39, 0
	s_wait_alu 0xfffe
	s_add_nc_u64 s[44:45], s[46:47], s[44:45]
	s_wait_alu 0xfffe
	s_add_co_u32 s2, s42, s44
	s_cselect_b32 s31, -1, 0
	s_wait_alu 0xfffe
	v_mul_hi_u32 v15, v5, s2
	s_cmp_lg_u32 s31, 0
	v_mad_co_u64_u32 v[11:12], null, v7, s2, 0
	s_add_co_ci_u32 s31, s43, s45
	s_wait_alu 0xfffe
	v_mad_co_u64_u32 v[9:10], null, v5, s31, 0
	v_mad_co_u64_u32 v[13:14], null, v7, s31, 0
	s_delay_alu instid0(VALU_DEP_2) | instskip(SKIP_1) | instid1(VALU_DEP_3)
	v_add_co_u32 v9, vcc_lo, v15, v9
	s_wait_alu 0xfffd
	v_add_co_ci_u32_e64 v10, null, 0, v10, vcc_lo
	s_delay_alu instid0(VALU_DEP_2) | instskip(SKIP_1) | instid1(VALU_DEP_2)
	v_add_co_u32 v9, vcc_lo, v9, v11
	s_wait_alu 0xfffd
	v_add_co_ci_u32_e32 v9, vcc_lo, v10, v12, vcc_lo
	s_wait_alu 0xfffd
	v_add_co_ci_u32_e32 v10, vcc_lo, 0, v14, vcc_lo
	s_delay_alu instid0(VALU_DEP_2) | instskip(SKIP_1) | instid1(VALU_DEP_2)
	v_add_co_u32 v11, vcc_lo, v9, v13
	s_wait_alu 0xfffd
	v_add_co_ci_u32_e64 v12, null, 0, v10, vcc_lo
	s_delay_alu instid0(VALU_DEP_2) | instskip(SKIP_1) | instid1(VALU_DEP_3)
	v_mul_lo_u32 v13, s41, v11
	v_mad_co_u64_u32 v[9:10], null, s40, v11, 0
	v_mul_lo_u32 v14, s40, v12
	s_delay_alu instid0(VALU_DEP_2) | instskip(NEXT) | instid1(VALU_DEP_2)
	v_sub_co_u32 v5, vcc_lo, v5, v9
	v_add3_u32 v10, v10, v14, v13
	s_delay_alu instid0(VALU_DEP_1) | instskip(SKIP_2) | instid1(VALU_DEP_2)
	v_sub_nc_u32_e32 v13, v7, v10
	s_wait_alu 0xfffd
	v_sub_co_ci_u32_e64 v7, null, v7, v10, vcc_lo
	v_subrev_co_ci_u32_e64 v9, null, s41, v13, vcc_lo
	v_add_co_u32 v13, s2, v11, 2
	s_wait_alu 0xf1ff
	v_add_co_ci_u32_e64 v14, null, 0, v12, s2
	v_sub_co_u32 v15, s2, v5, s40
	s_wait_alu 0xf1ff
	v_subrev_co_ci_u32_e64 v9, null, 0, v9, s2
	s_delay_alu instid0(VALU_DEP_2) | instskip(SKIP_2) | instid1(VALU_DEP_3)
	v_cmp_le_u32_e32 vcc_lo, s40, v15
	s_wait_alu 0xfffd
	v_cndmask_b32_e64 v10, 0, -1, vcc_lo
	v_cmp_le_u32_e32 vcc_lo, s41, v9
	s_wait_alu 0xfffd
	v_cndmask_b32_e64 v15, 0, -1, vcc_lo
	;; [unrolled: 3-line block ×4, first 2 shown]
	v_cmp_eq_u32_e32 vcc_lo, s41, v9
	s_wait_alu 0xfffd
	v_cndmask_b32_e32 v9, v15, v10, vcc_lo
	v_add_co_u32 v10, vcc_lo, v11, 1
	s_wait_alu 0xfffd
	v_add_co_ci_u32_e64 v15, null, 0, v12, vcc_lo
	v_cmp_eq_u32_e32 vcc_lo, s41, v7
	s_wait_alu 0xfffd
	v_cndmask_b32_e32 v5, v16, v5, vcc_lo
	v_cmp_ne_u32_e32 vcc_lo, 0, v9
	s_delay_alu instid0(VALU_DEP_2) | instskip(SKIP_4) | instid1(VALU_DEP_2)
	v_cmp_ne_u32_e64 s2, 0, v5
	s_wait_alu 0xfffd
	v_cndmask_b32_e32 v5, v10, v13, vcc_lo
	v_cndmask_b32_e32 v7, v15, v14, vcc_lo
	s_wait_alu 0xf1ff
	v_cndmask_b32_e64 v5, v11, v5, s2
	s_delay_alu instid0(VALU_DEP_2) | instskip(NEXT) | instid1(VALU_DEP_2)
	v_cndmask_b32_e64 v7, v12, v7, s2
	v_xor_b32_e32 v5, v5, v3
	s_delay_alu instid0(VALU_DEP_2) | instskip(NEXT) | instid1(VALU_DEP_2)
	v_xor_b32_e32 v7, v7, v3
	v_sub_co_u32 v10, vcc_lo, v5, v3
	s_wait_alu 0xfffd
	s_delay_alu instid0(VALU_DEP_2)
	v_sub_co_ci_u32_e64 v11, null, v7, v3, vcc_lo
.LBB89_17:                              ;   in Loop: Header=BB89_15 Depth=2
	s_wait_alu 0xfffe
	s_and_not1_saveexec_b32 s2, s29
	s_cbranch_execz .LBB89_14
; %bb.18:                               ;   in Loop: Header=BB89_15 Depth=2
	v_cvt_f32_u32_e32 v3, s30
	s_sub_co_i32 s29, 0, s30
	v_mov_b32_e32 v11, v2
	s_delay_alu instid0(VALU_DEP_2) | instskip(NEXT) | instid1(TRANS32_DEP_1)
	v_rcp_iflag_f32_e32 v3, v3
	v_mul_f32_e32 v3, 0x4f7ffffe, v3
	s_delay_alu instid0(VALU_DEP_1) | instskip(SKIP_1) | instid1(VALU_DEP_1)
	v_cvt_u32_f32_e32 v3, v3
	s_wait_alu 0xfffe
	v_mul_lo_u32 v5, s29, v3
	s_delay_alu instid0(VALU_DEP_1) | instskip(NEXT) | instid1(VALU_DEP_1)
	v_mul_hi_u32 v5, v3, v5
	v_add_nc_u32_e32 v3, v3, v5
	s_delay_alu instid0(VALU_DEP_1) | instskip(NEXT) | instid1(VALU_DEP_1)
	v_mul_hi_u32 v3, v8, v3
	v_mul_lo_u32 v5, v3, s30
	v_add_nc_u32_e32 v7, 1, v3
	s_delay_alu instid0(VALU_DEP_2) | instskip(NEXT) | instid1(VALU_DEP_1)
	v_sub_nc_u32_e32 v5, v8, v5
	v_cmp_le_u32_e32 vcc_lo, s30, v5
	v_subrev_nc_u32_e32 v9, s30, v5
	s_wait_alu 0xfffd
	v_cndmask_b32_e32 v3, v3, v7, vcc_lo
	s_delay_alu instid0(VALU_DEP_1) | instskip(NEXT) | instid1(VALU_DEP_3)
	v_add_nc_u32_e32 v7, 1, v3
	v_cndmask_b32_e32 v5, v5, v9, vcc_lo
	s_delay_alu instid0(VALU_DEP_1) | instskip(SKIP_1) | instid1(VALU_DEP_3)
	v_cmp_le_u32_e32 vcc_lo, s30, v5
	s_wait_alu 0xfffd
	v_cndmask_b32_e32 v10, v3, v7, vcc_lo
	s_branch .LBB89_14
.LBB89_19:                              ;   in Loop: Header=BB89_3 Depth=1
	s_mov_b32 s2, s22
	s_and_b32 vcc_lo, exec_lo, s52
	s_wait_alu 0xfffe
	s_mov_b32 s22, s2
	s_cbranch_vccz .LBB89_38
.LBB89_20:                              ;   Parent Loop BB89_3 Depth=1
                                        ; =>  This Inner Loop Header: Depth=2
	s_wait_alu 0xfffe
	s_lshl_b64 s[42:43], s[22:23], 2
                                        ; implicit-def: $vgpr10_vgpr11
	s_mov_b32 s2, exec_lo
	s_wait_alu 0xfffe
	s_add_nc_u64 s[36:37], s[12:13], s[42:43]
	s_load_b32 s30, s[36:37], 0x8
	s_wait_kmcnt 0x0
	s_ashr_i32 s31, s30, 31
	s_wait_alu 0xfffe
	v_or_b32_e32 v3, s31, v9
	s_delay_alu instid0(VALU_DEP_1)
	v_cmpx_ne_u64_e32 0, v[2:3]
	s_xor_b32 s19, exec_lo, s2
	s_cbranch_execz .LBB89_22
; %bb.21:                               ;   in Loop: Header=BB89_20 Depth=2
	s_ashr_i32 s34, s31, 31
	s_mov_b32 s47, s23
	s_wait_alu 0xfffe
	s_mov_b32 s35, s34
	s_mov_b32 s57, s23
	s_wait_alu 0xfffe
	s_add_nc_u64 s[38:39], s[30:31], s[34:35]
	v_ashrrev_i32_e32 v3, 31, v9
	s_wait_alu 0xfffe
	s_xor_b64 s[38:39], s[38:39], s[34:35]
	s_wait_alu 0xfffe
	s_cvt_f32_u32 s2, s38
	s_cvt_f32_u32 s29, s39
	s_sub_nc_u64 s[44:45], 0, s[38:39]
	v_add_co_u32 v5, vcc_lo, v8, v3
	s_wait_alu 0xfffe
	s_fmamk_f32 s2, s29, 0x4f800000, s2
	s_wait_alu 0xfffd
	v_add_co_ci_u32_e64 v7, null, v9, v3, vcc_lo
	v_xor_b32_e32 v5, v5, v3
	s_wait_alu 0xfffe
	v_s_rcp_f32 s2, s2
	s_delay_alu instid0(VALU_DEP_2) | instskip(SKIP_1) | instid1(TRANS32_DEP_1)
	v_xor_b32_e32 v7, v7, v3
	v_xor_b32_e32 v3, s34, v3
	s_mul_f32 s2, s2, 0x5f7ffffc
	s_wait_alu 0xfffe
	s_delay_alu instid0(SALU_CYCLE_2) | instskip(SKIP_1) | instid1(SALU_CYCLE_2)
	s_mul_f32 s29, s2, 0x2f800000
	s_wait_alu 0xfffe
	s_trunc_f32 s29, s29
	s_wait_alu 0xfffe
	s_delay_alu instid0(SALU_CYCLE_2) | instskip(SKIP_2) | instid1(SALU_CYCLE_1)
	s_fmamk_f32 s2, s29, 0xcf800000, s2
	s_cvt_u32_f32 s41, s29
	s_wait_alu 0xfffe
	s_cvt_u32_f32 s40, s2
	s_wait_alu 0xfffe
	s_delay_alu instid0(SALU_CYCLE_2) | instskip(NEXT) | instid1(SALU_CYCLE_1)
	s_mul_u64 s[54:55], s[44:45], s[40:41]
	s_mul_hi_u32 s59, s40, s55
	s_mul_i32 s58, s40, s55
	s_mul_hi_u32 s46, s40, s54
	s_mul_i32 s29, s41, s54
	s_wait_alu 0xfffe
	s_add_nc_u64 s[46:47], s[46:47], s[58:59]
	s_mul_hi_u32 s2, s41, s54
	s_mul_hi_u32 s31, s41, s55
	s_wait_alu 0xfffe
	s_add_co_u32 s29, s46, s29
	s_add_co_ci_u32 s56, s47, s2
	s_mul_i32 s54, s41, s55
	s_add_co_ci_u32 s55, s31, 0
	s_delay_alu instid0(SALU_CYCLE_1)
	s_add_nc_u64 s[46:47], s[56:57], s[54:55]
	s_mov_b32 s55, s23
	s_wait_alu 0xfffe
	s_add_co_u32 s40, s40, s46
	s_cselect_b32 s2, -1, 0
	s_wait_alu 0xfffe
	s_cmp_lg_u32 s2, 0
	s_add_co_ci_u32 s41, s41, s47
	s_mov_b32 s47, s23
	s_wait_alu 0xfffe
	s_mul_u64 s[44:45], s[44:45], s[40:41]
	s_wait_alu 0xfffe
	s_mul_hi_u32 s57, s40, s45
	s_mul_i32 s56, s40, s45
	s_mul_hi_u32 s54, s40, s44
	s_mul_i32 s29, s41, s44
	s_add_nc_u64 s[54:55], s[54:55], s[56:57]
	s_mul_hi_u32 s2, s41, s44
	s_mul_hi_u32 s31, s41, s45
	s_wait_alu 0xfffe
	s_add_co_u32 s29, s54, s29
	s_add_co_ci_u32 s46, s55, s2
	s_mul_i32 s44, s41, s45
	s_add_co_ci_u32 s45, s31, 0
	s_wait_alu 0xfffe
	s_add_nc_u64 s[44:45], s[46:47], s[44:45]
	s_wait_alu 0xfffe
	s_add_co_u32 s2, s40, s44
	s_cselect_b32 s29, -1, 0
	s_wait_alu 0xfffe
	v_mul_hi_u32 v15, v5, s2
	s_cmp_lg_u32 s29, 0
	v_mad_co_u64_u32 v[11:12], null, v7, s2, 0
	s_add_co_ci_u32 s29, s41, s45
	s_wait_alu 0xfffe
	v_mad_co_u64_u32 v[9:10], null, v5, s29, 0
	v_mad_co_u64_u32 v[13:14], null, v7, s29, 0
	s_delay_alu instid0(VALU_DEP_2) | instskip(SKIP_1) | instid1(VALU_DEP_3)
	v_add_co_u32 v9, vcc_lo, v15, v9
	s_wait_alu 0xfffd
	v_add_co_ci_u32_e64 v10, null, 0, v10, vcc_lo
	s_delay_alu instid0(VALU_DEP_2) | instskip(SKIP_1) | instid1(VALU_DEP_2)
	v_add_co_u32 v9, vcc_lo, v9, v11
	s_wait_alu 0xfffd
	v_add_co_ci_u32_e32 v9, vcc_lo, v10, v12, vcc_lo
	s_wait_alu 0xfffd
	v_add_co_ci_u32_e32 v10, vcc_lo, 0, v14, vcc_lo
	s_delay_alu instid0(VALU_DEP_2) | instskip(SKIP_1) | instid1(VALU_DEP_2)
	v_add_co_u32 v11, vcc_lo, v9, v13
	s_wait_alu 0xfffd
	v_add_co_ci_u32_e64 v12, null, 0, v10, vcc_lo
	s_delay_alu instid0(VALU_DEP_2) | instskip(SKIP_1) | instid1(VALU_DEP_3)
	v_mul_lo_u32 v13, s39, v11
	v_mad_co_u64_u32 v[9:10], null, s38, v11, 0
	v_mul_lo_u32 v14, s38, v12
	s_delay_alu instid0(VALU_DEP_2) | instskip(NEXT) | instid1(VALU_DEP_2)
	v_sub_co_u32 v5, vcc_lo, v5, v9
	v_add3_u32 v10, v10, v14, v13
	s_delay_alu instid0(VALU_DEP_1) | instskip(SKIP_2) | instid1(VALU_DEP_2)
	v_sub_nc_u32_e32 v13, v7, v10
	s_wait_alu 0xfffd
	v_sub_co_ci_u32_e64 v7, null, v7, v10, vcc_lo
	v_subrev_co_ci_u32_e64 v9, null, s39, v13, vcc_lo
	v_add_co_u32 v13, s2, v11, 2
	s_wait_alu 0xf1ff
	v_add_co_ci_u32_e64 v14, null, 0, v12, s2
	v_sub_co_u32 v15, s2, v5, s38
	s_wait_alu 0xf1ff
	v_subrev_co_ci_u32_e64 v9, null, 0, v9, s2
	s_delay_alu instid0(VALU_DEP_2) | instskip(SKIP_2) | instid1(VALU_DEP_3)
	v_cmp_le_u32_e32 vcc_lo, s38, v15
	s_wait_alu 0xfffd
	v_cndmask_b32_e64 v10, 0, -1, vcc_lo
	v_cmp_le_u32_e32 vcc_lo, s39, v9
	s_wait_alu 0xfffd
	v_cndmask_b32_e64 v15, 0, -1, vcc_lo
	;; [unrolled: 3-line block ×4, first 2 shown]
	v_cmp_eq_u32_e32 vcc_lo, s39, v9
	s_wait_alu 0xfffd
	v_cndmask_b32_e32 v9, v15, v10, vcc_lo
	v_add_co_u32 v10, vcc_lo, v11, 1
	s_wait_alu 0xfffd
	v_add_co_ci_u32_e64 v15, null, 0, v12, vcc_lo
	v_cmp_eq_u32_e32 vcc_lo, s39, v7
	s_wait_alu 0xfffd
	v_cndmask_b32_e32 v5, v16, v5, vcc_lo
	v_cmp_ne_u32_e32 vcc_lo, 0, v9
	s_delay_alu instid0(VALU_DEP_2) | instskip(SKIP_4) | instid1(VALU_DEP_2)
	v_cmp_ne_u32_e64 s2, 0, v5
	s_wait_alu 0xfffd
	v_cndmask_b32_e32 v5, v10, v13, vcc_lo
	v_cndmask_b32_e32 v7, v15, v14, vcc_lo
	s_wait_alu 0xf1ff
	v_cndmask_b32_e64 v5, v11, v5, s2
	s_delay_alu instid0(VALU_DEP_2) | instskip(NEXT) | instid1(VALU_DEP_2)
	v_cndmask_b32_e64 v7, v12, v7, s2
	v_xor_b32_e32 v5, v5, v3
	s_delay_alu instid0(VALU_DEP_2) | instskip(NEXT) | instid1(VALU_DEP_2)
	v_xor_b32_e32 v7, v7, v3
	v_sub_co_u32 v10, vcc_lo, v5, v3
	s_wait_alu 0xfffd
	s_delay_alu instid0(VALU_DEP_2)
	v_sub_co_ci_u32_e64 v11, null, v7, v3, vcc_lo
.LBB89_22:                              ;   in Loop: Header=BB89_20 Depth=2
	s_wait_alu 0xfffe
	s_and_not1_saveexec_b32 s2, s19
	s_cbranch_execz .LBB89_24
; %bb.23:                               ;   in Loop: Header=BB89_20 Depth=2
	v_cvt_f32_u32_e32 v3, s30
	s_sub_co_i32 s19, 0, s30
	v_mov_b32_e32 v11, v2
	s_delay_alu instid0(VALU_DEP_2) | instskip(NEXT) | instid1(TRANS32_DEP_1)
	v_rcp_iflag_f32_e32 v3, v3
	v_mul_f32_e32 v3, 0x4f7ffffe, v3
	s_delay_alu instid0(VALU_DEP_1) | instskip(SKIP_1) | instid1(VALU_DEP_1)
	v_cvt_u32_f32_e32 v3, v3
	s_wait_alu 0xfffe
	v_mul_lo_u32 v5, s19, v3
	s_delay_alu instid0(VALU_DEP_1) | instskip(NEXT) | instid1(VALU_DEP_1)
	v_mul_hi_u32 v5, v3, v5
	v_add_nc_u32_e32 v3, v3, v5
	s_delay_alu instid0(VALU_DEP_1) | instskip(NEXT) | instid1(VALU_DEP_1)
	v_mul_hi_u32 v3, v8, v3
	v_mul_lo_u32 v5, v3, s30
	v_add_nc_u32_e32 v7, 1, v3
	s_delay_alu instid0(VALU_DEP_2) | instskip(NEXT) | instid1(VALU_DEP_1)
	v_sub_nc_u32_e32 v5, v8, v5
	v_cmp_le_u32_e32 vcc_lo, s30, v5
	v_subrev_nc_u32_e32 v9, s30, v5
	s_wait_alu 0xfffd
	v_cndmask_b32_e32 v3, v3, v7, vcc_lo
	s_delay_alu instid0(VALU_DEP_1) | instskip(NEXT) | instid1(VALU_DEP_3)
	v_add_nc_u32_e32 v7, 1, v3
	v_cndmask_b32_e32 v5, v5, v9, vcc_lo
	s_delay_alu instid0(VALU_DEP_1) | instskip(SKIP_1) | instid1(VALU_DEP_3)
	v_cmp_le_u32_e32 vcc_lo, s30, v5
	s_wait_alu 0xfffd
	v_cndmask_b32_e32 v10, v3, v7, vcc_lo
.LBB89_24:                              ;   in Loop: Header=BB89_20 Depth=2
	s_wait_alu 0xfffe
	s_or_b32 exec_lo, exec_lo, s2
	s_add_co_i32 s34, s22, -1
	s_mov_b32 s35, s23
	s_add_nc_u64 s[42:43], s[0:1], s[42:43]
	s_wait_alu 0xfffe
	s_lshl_b64 s[40:41], s[34:35], 2
                                        ; implicit-def: $vgpr12_vgpr13
	s_mov_b32 s2, exec_lo
	s_wait_alu 0xfffe
	s_add_nc_u64 s[38:39], s[12:13], s[40:41]
	s_clause 0x2
	s_load_b32 s34, s[38:39], 0x8
	s_load_b32 s19, s[36:37], 0x6c
	;; [unrolled: 1-line block ×3, first 2 shown]
	s_wait_kmcnt 0x0
	s_ashr_i32 s35, s34, 31
	s_wait_alu 0xfffe
	v_or_b32_e32 v3, s35, v11
	s_delay_alu instid0(VALU_DEP_1)
	v_cmpx_ne_u64_e32 0, v[2:3]
	s_xor_b32 s31, exec_lo, s2
	s_cbranch_execz .LBB89_26
; %bb.25:                               ;   in Loop: Header=BB89_20 Depth=2
	s_ashr_i32 s36, s35, 31
	s_mov_b32 s55, s23
	s_wait_alu 0xfffe
	s_mov_b32 s37, s36
	s_mov_b32 s59, s23
	s_wait_alu 0xfffe
	s_add_nc_u64 s[42:43], s[34:35], s[36:37]
	v_ashrrev_i32_e32 v3, 31, v11
	s_wait_alu 0xfffe
	s_xor_b64 s[42:43], s[42:43], s[36:37]
	s_wait_alu 0xfffe
	s_cvt_f32_u32 s2, s42
	s_cvt_f32_u32 s35, s43
	s_sub_nc_u64 s[46:47], 0, s[42:43]
	v_add_co_u32 v5, vcc_lo, v10, v3
	s_wait_alu 0xfffe
	s_fmamk_f32 s2, s35, 0x4f800000, s2
	s_wait_alu 0xfffd
	v_add_co_ci_u32_e64 v7, null, v11, v3, vcc_lo
	v_xor_b32_e32 v5, v5, v3
	s_wait_alu 0xfffe
	v_s_rcp_f32 s2, s2
	s_delay_alu instid0(VALU_DEP_2) | instskip(SKIP_1) | instid1(TRANS32_DEP_1)
	v_xor_b32_e32 v7, v7, v3
	v_xor_b32_e32 v3, s36, v3
	s_mul_f32 s2, s2, 0x5f7ffffc
	s_wait_alu 0xfffe
	s_delay_alu instid0(SALU_CYCLE_2) | instskip(SKIP_1) | instid1(SALU_CYCLE_2)
	s_mul_f32 s35, s2, 0x2f800000
	s_wait_alu 0xfffe
	s_trunc_f32 s35, s35
	s_wait_alu 0xfffe
	s_delay_alu instid0(SALU_CYCLE_2) | instskip(SKIP_2) | instid1(SALU_CYCLE_1)
	s_fmamk_f32 s2, s35, 0xcf800000, s2
	s_cvt_u32_f32 s45, s35
	s_wait_alu 0xfffe
	s_cvt_u32_f32 s44, s2
	s_wait_alu 0xfffe
	s_delay_alu instid0(SALU_CYCLE_2) | instskip(NEXT) | instid1(SALU_CYCLE_1)
	s_mul_u64 s[56:57], s[46:47], s[44:45]
	s_mul_hi_u32 s61, s44, s57
	s_mul_i32 s60, s44, s57
	s_mul_hi_u32 s54, s44, s56
	s_mul_i32 s35, s45, s56
	s_add_nc_u64 s[54:55], s[54:55], s[60:61]
	s_mul_hi_u32 s2, s45, s56
	s_mul_hi_u32 s37, s45, s57
	s_wait_alu 0xfffe
	s_add_co_u32 s35, s54, s35
	s_add_co_ci_u32 s58, s55, s2
	s_mul_i32 s56, s45, s57
	s_add_co_ci_u32 s57, s37, 0
	s_delay_alu instid0(SALU_CYCLE_1)
	s_add_nc_u64 s[54:55], s[58:59], s[56:57]
	s_mov_b32 s57, s23
	s_add_co_u32 s44, s44, s54
	s_cselect_b32 s2, -1, 0
	s_wait_alu 0xfffe
	s_cmp_lg_u32 s2, 0
	s_add_co_ci_u32 s45, s45, s55
	s_mov_b32 s55, s23
	s_wait_alu 0xfffe
	s_mul_u64 s[46:47], s[46:47], s[44:45]
	s_wait_alu 0xfffe
	s_mul_hi_u32 s59, s44, s47
	s_mul_i32 s58, s44, s47
	s_mul_hi_u32 s56, s44, s46
	s_mul_i32 s35, s45, s46
	s_add_nc_u64 s[56:57], s[56:57], s[58:59]
	s_mul_hi_u32 s2, s45, s46
	s_mul_hi_u32 s37, s45, s47
	s_wait_alu 0xfffe
	s_add_co_u32 s35, s56, s35
	s_add_co_ci_u32 s54, s57, s2
	s_mul_i32 s46, s45, s47
	s_add_co_ci_u32 s47, s37, 0
	s_wait_alu 0xfffe
	s_add_nc_u64 s[46:47], s[54:55], s[46:47]
	s_wait_alu 0xfffe
	s_add_co_u32 s2, s44, s46
	s_cselect_b32 s35, -1, 0
	s_wait_alu 0xfffe
	v_mul_hi_u32 v9, v5, s2
	s_cmp_lg_u32 s35, 0
	v_mad_co_u64_u32 v[13:14], null, v7, s2, 0
	s_add_co_ci_u32 s35, s45, s47
	s_wait_alu 0xfffe
	v_mad_co_u64_u32 v[11:12], null, v5, s35, 0
	v_mad_co_u64_u32 v[15:16], null, v7, s35, 0
	s_delay_alu instid0(VALU_DEP_2) | instskip(SKIP_1) | instid1(VALU_DEP_3)
	v_add_co_u32 v9, vcc_lo, v9, v11
	s_wait_alu 0xfffd
	v_add_co_ci_u32_e64 v11, null, 0, v12, vcc_lo
	s_delay_alu instid0(VALU_DEP_2) | instskip(SKIP_1) | instid1(VALU_DEP_2)
	v_add_co_u32 v9, vcc_lo, v9, v13
	s_wait_alu 0xfffd
	v_add_co_ci_u32_e32 v9, vcc_lo, v11, v14, vcc_lo
	s_wait_alu 0xfffd
	v_add_co_ci_u32_e32 v11, vcc_lo, 0, v16, vcc_lo
	s_delay_alu instid0(VALU_DEP_2) | instskip(SKIP_1) | instid1(VALU_DEP_2)
	v_add_co_u32 v9, vcc_lo, v9, v15
	s_wait_alu 0xfffd
	v_add_co_ci_u32_e64 v13, null, 0, v11, vcc_lo
	s_delay_alu instid0(VALU_DEP_2) | instskip(SKIP_1) | instid1(VALU_DEP_3)
	v_mul_lo_u32 v14, s43, v9
	v_mad_co_u64_u32 v[11:12], null, s42, v9, 0
	v_mul_lo_u32 v15, s42, v13
	s_delay_alu instid0(VALU_DEP_2) | instskip(NEXT) | instid1(VALU_DEP_2)
	v_sub_co_u32 v5, vcc_lo, v5, v11
	v_add3_u32 v12, v12, v15, v14
	s_delay_alu instid0(VALU_DEP_1) | instskip(SKIP_2) | instid1(VALU_DEP_2)
	v_sub_nc_u32_e32 v14, v7, v12
	s_wait_alu 0xfffd
	v_sub_co_ci_u32_e64 v7, null, v7, v12, vcc_lo
	v_subrev_co_ci_u32_e64 v11, null, s43, v14, vcc_lo
	v_add_co_u32 v14, s2, v9, 2
	s_wait_alu 0xf1ff
	v_add_co_ci_u32_e64 v15, null, 0, v13, s2
	v_sub_co_u32 v16, s2, v5, s42
	s_wait_alu 0xf1ff
	v_subrev_co_ci_u32_e64 v11, null, 0, v11, s2
	s_delay_alu instid0(VALU_DEP_2) | instskip(SKIP_2) | instid1(VALU_DEP_3)
	v_cmp_le_u32_e32 vcc_lo, s42, v16
	s_wait_alu 0xfffd
	v_cndmask_b32_e64 v12, 0, -1, vcc_lo
	v_cmp_le_u32_e32 vcc_lo, s43, v11
	s_wait_alu 0xfffd
	v_cndmask_b32_e64 v16, 0, -1, vcc_lo
	;; [unrolled: 3-line block ×4, first 2 shown]
	v_cmp_eq_u32_e32 vcc_lo, s43, v11
	s_wait_alu 0xfffd
	v_cndmask_b32_e32 v11, v16, v12, vcc_lo
	v_add_co_u32 v12, vcc_lo, v9, 1
	s_wait_alu 0xfffd
	v_add_co_ci_u32_e64 v16, null, 0, v13, vcc_lo
	v_cmp_eq_u32_e32 vcc_lo, s43, v7
	s_wait_alu 0xfffd
	v_cndmask_b32_e32 v5, v17, v5, vcc_lo
	v_cmp_ne_u32_e32 vcc_lo, 0, v11
	s_delay_alu instid0(VALU_DEP_2) | instskip(SKIP_4) | instid1(VALU_DEP_2)
	v_cmp_ne_u32_e64 s2, 0, v5
	s_wait_alu 0xfffd
	v_cndmask_b32_e32 v5, v12, v14, vcc_lo
	v_cndmask_b32_e32 v7, v16, v15, vcc_lo
	s_wait_alu 0xf1ff
	v_cndmask_b32_e64 v5, v9, v5, s2
	s_delay_alu instid0(VALU_DEP_2) | instskip(NEXT) | instid1(VALU_DEP_2)
	v_cndmask_b32_e64 v7, v13, v7, s2
	v_xor_b32_e32 v5, v5, v3
	s_delay_alu instid0(VALU_DEP_2) | instskip(NEXT) | instid1(VALU_DEP_2)
	v_xor_b32_e32 v7, v7, v3
	v_sub_co_u32 v12, vcc_lo, v5, v3
	s_wait_alu 0xfffd
	s_delay_alu instid0(VALU_DEP_2)
	v_sub_co_ci_u32_e64 v13, null, v7, v3, vcc_lo
.LBB89_26:                              ;   in Loop: Header=BB89_20 Depth=2
	s_wait_alu 0xfffe
	s_and_not1_saveexec_b32 s2, s31
	s_cbranch_execz .LBB89_28
; %bb.27:                               ;   in Loop: Header=BB89_20 Depth=2
	v_cvt_f32_u32_e32 v3, s34
	s_sub_co_i32 s31, 0, s34
	v_mov_b32_e32 v13, v2
	s_delay_alu instid0(VALU_DEP_2) | instskip(NEXT) | instid1(TRANS32_DEP_1)
	v_rcp_iflag_f32_e32 v3, v3
	v_mul_f32_e32 v3, 0x4f7ffffe, v3
	s_delay_alu instid0(VALU_DEP_1) | instskip(SKIP_1) | instid1(VALU_DEP_1)
	v_cvt_u32_f32_e32 v3, v3
	s_wait_alu 0xfffe
	v_mul_lo_u32 v5, s31, v3
	s_delay_alu instid0(VALU_DEP_1) | instskip(NEXT) | instid1(VALU_DEP_1)
	v_mul_hi_u32 v5, v3, v5
	v_add_nc_u32_e32 v3, v3, v5
	s_delay_alu instid0(VALU_DEP_1) | instskip(NEXT) | instid1(VALU_DEP_1)
	v_mul_hi_u32 v3, v10, v3
	v_mul_lo_u32 v5, v3, s34
	v_add_nc_u32_e32 v7, 1, v3
	s_delay_alu instid0(VALU_DEP_2) | instskip(NEXT) | instid1(VALU_DEP_1)
	v_sub_nc_u32_e32 v5, v10, v5
	v_cmp_le_u32_e32 vcc_lo, s34, v5
	v_subrev_nc_u32_e32 v9, s34, v5
	s_wait_alu 0xfffd
	v_cndmask_b32_e32 v3, v3, v7, vcc_lo
	s_delay_alu instid0(VALU_DEP_1) | instskip(NEXT) | instid1(VALU_DEP_3)
	v_add_nc_u32_e32 v7, 1, v3
	v_cndmask_b32_e32 v5, v5, v9, vcc_lo
	s_delay_alu instid0(VALU_DEP_1) | instskip(SKIP_1) | instid1(VALU_DEP_3)
	v_cmp_le_u32_e32 vcc_lo, s34, v5
	s_wait_alu 0xfffd
	v_cndmask_b32_e32 v12, v3, v7, vcc_lo
.LBB89_28:                              ;   in Loop: Header=BB89_20 Depth=2
	s_wait_alu 0xfffe
	s_or_b32 exec_lo, exec_lo, s2
	s_add_co_i32 s36, s22, -2
	s_mov_b32 s37, s23
	s_add_nc_u64 s[40:41], s[0:1], s[40:41]
	s_wait_alu 0xfffe
	s_lshl_b64 s[46:47], s[36:37], 2
                                        ; implicit-def: $vgpr14_vgpr15
	s_mov_b32 s2, exec_lo
	s_wait_alu 0xfffe
	s_add_nc_u64 s[44:45], s[12:13], s[46:47]
	s_clause 0x2
	s_load_b32 s36, s[44:45], 0x8
	s_load_b32 s31, s[38:39], 0x6c
	;; [unrolled: 1-line block ×3, first 2 shown]
	s_wait_kmcnt 0x0
	s_ashr_i32 s37, s36, 31
	s_wait_alu 0xfffe
	v_or_b32_e32 v3, s37, v13
	s_delay_alu instid0(VALU_DEP_1)
	v_cmpx_ne_u64_e32 0, v[2:3]
	s_xor_b32 s42, exec_lo, s2
	s_cbranch_execz .LBB89_30
; %bb.29:                               ;   in Loop: Header=BB89_20 Depth=2
	s_ashr_i32 s38, s37, 31
	s_mov_b32 s59, s23
	s_wait_alu 0xfffe
	s_mov_b32 s39, s38
	s_mov_b32 s63, s23
	s_wait_alu 0xfffe
	s_add_nc_u64 s[40:41], s[36:37], s[38:39]
	v_ashrrev_i32_e32 v3, 31, v13
	s_wait_alu 0xfffe
	s_xor_b64 s[40:41], s[40:41], s[38:39]
	s_wait_alu 0xfffe
	s_cvt_f32_u32 s2, s40
	s_cvt_f32_u32 s37, s41
	s_sub_nc_u64 s[56:57], 0, s[40:41]
	v_add_co_u32 v5, vcc_lo, v12, v3
	s_wait_alu 0xfffe
	s_fmamk_f32 s2, s37, 0x4f800000, s2
	s_wait_alu 0xfffd
	v_add_co_ci_u32_e64 v7, null, v13, v3, vcc_lo
	v_xor_b32_e32 v5, v5, v3
	s_wait_alu 0xfffe
	v_s_rcp_f32 s2, s2
	s_delay_alu instid0(VALU_DEP_2) | instskip(SKIP_1) | instid1(TRANS32_DEP_1)
	v_xor_b32_e32 v7, v7, v3
	v_xor_b32_e32 v3, s38, v3
	s_mul_f32 s2, s2, 0x5f7ffffc
	s_wait_alu 0xfffe
	s_delay_alu instid0(SALU_CYCLE_2) | instskip(SKIP_1) | instid1(SALU_CYCLE_2)
	s_mul_f32 s37, s2, 0x2f800000
	s_wait_alu 0xfffe
	s_trunc_f32 s37, s37
	s_wait_alu 0xfffe
	s_delay_alu instid0(SALU_CYCLE_2) | instskip(SKIP_2) | instid1(SALU_CYCLE_1)
	s_fmamk_f32 s2, s37, 0xcf800000, s2
	s_cvt_u32_f32 s55, s37
	s_wait_alu 0xfffe
	s_cvt_u32_f32 s54, s2
	s_delay_alu instid0(SALU_CYCLE_3) | instskip(NEXT) | instid1(SALU_CYCLE_1)
	s_mul_u64 s[60:61], s[56:57], s[54:55]
	s_mul_hi_u32 s65, s54, s61
	s_mul_i32 s64, s54, s61
	s_mul_hi_u32 s58, s54, s60
	s_mul_i32 s37, s55, s60
	s_add_nc_u64 s[58:59], s[58:59], s[64:65]
	s_mul_hi_u32 s2, s55, s60
	s_mul_hi_u32 s39, s55, s61
	s_wait_alu 0xfffe
	s_add_co_u32 s37, s58, s37
	s_add_co_ci_u32 s62, s59, s2
	s_mul_i32 s60, s55, s61
	s_add_co_ci_u32 s61, s39, 0
	s_delay_alu instid0(SALU_CYCLE_1)
	s_add_nc_u64 s[58:59], s[62:63], s[60:61]
	s_mov_b32 s61, s23
	s_add_co_u32 s54, s54, s58
	s_cselect_b32 s2, -1, 0
	s_wait_alu 0xfffe
	s_cmp_lg_u32 s2, 0
	s_add_co_ci_u32 s55, s55, s59
	s_mov_b32 s59, s23
	s_mul_u64 s[56:57], s[56:57], s[54:55]
	s_delay_alu instid0(SALU_CYCLE_1)
	s_mul_hi_u32 s63, s54, s57
	s_mul_i32 s62, s54, s57
	s_mul_hi_u32 s60, s54, s56
	s_mul_i32 s37, s55, s56
	s_add_nc_u64 s[60:61], s[60:61], s[62:63]
	s_mul_hi_u32 s2, s55, s56
	s_mul_hi_u32 s39, s55, s57
	s_wait_alu 0xfffe
	s_add_co_u32 s37, s60, s37
	s_add_co_ci_u32 s58, s61, s2
	s_mul_i32 s56, s55, s57
	s_add_co_ci_u32 s57, s39, 0
	s_delay_alu instid0(SALU_CYCLE_1) | instskip(NEXT) | instid1(SALU_CYCLE_1)
	s_add_nc_u64 s[56:57], s[58:59], s[56:57]
	s_add_co_u32 s2, s54, s56
	s_cselect_b32 s37, -1, 0
	s_wait_alu 0xfffe
	v_mul_hi_u32 v9, v5, s2
	s_cmp_lg_u32 s37, 0
	v_mad_co_u64_u32 v[15:16], null, v7, s2, 0
	s_add_co_ci_u32 s37, s55, s57
	s_wait_alu 0xfffe
	v_mad_co_u64_u32 v[13:14], null, v5, s37, 0
	v_mad_co_u64_u32 v[22:23], null, v7, s37, 0
	s_delay_alu instid0(VALU_DEP_2) | instskip(SKIP_1) | instid1(VALU_DEP_3)
	v_add_co_u32 v9, vcc_lo, v9, v13
	s_wait_alu 0xfffd
	v_add_co_ci_u32_e64 v11, null, 0, v14, vcc_lo
	s_delay_alu instid0(VALU_DEP_2) | instskip(SKIP_1) | instid1(VALU_DEP_2)
	v_add_co_u32 v9, vcc_lo, v9, v15
	s_wait_alu 0xfffd
	v_add_co_ci_u32_e32 v9, vcc_lo, v11, v16, vcc_lo
	s_wait_alu 0xfffd
	v_add_co_ci_u32_e32 v11, vcc_lo, 0, v23, vcc_lo
	s_delay_alu instid0(VALU_DEP_2) | instskip(SKIP_1) | instid1(VALU_DEP_2)
	v_add_co_u32 v9, vcc_lo, v9, v22
	s_wait_alu 0xfffd
	v_add_co_ci_u32_e64 v11, null, 0, v11, vcc_lo
	s_delay_alu instid0(VALU_DEP_2) | instskip(SKIP_1) | instid1(VALU_DEP_3)
	v_mul_lo_u32 v15, s41, v9
	v_mad_co_u64_u32 v[13:14], null, s40, v9, 0
	v_mul_lo_u32 v16, s40, v11
	s_delay_alu instid0(VALU_DEP_2) | instskip(NEXT) | instid1(VALU_DEP_2)
	v_sub_co_u32 v5, vcc_lo, v5, v13
	v_add3_u32 v14, v14, v16, v15
	s_delay_alu instid0(VALU_DEP_1) | instskip(SKIP_2) | instid1(VALU_DEP_2)
	v_sub_nc_u32_e32 v15, v7, v14
	s_wait_alu 0xfffd
	v_sub_co_ci_u32_e64 v7, null, v7, v14, vcc_lo
	v_subrev_co_ci_u32_e64 v13, null, s41, v15, vcc_lo
	v_add_co_u32 v15, s2, v9, 2
	s_wait_alu 0xf1ff
	v_add_co_ci_u32_e64 v16, null, 0, v11, s2
	v_sub_co_u32 v17, s2, v5, s40
	s_wait_alu 0xf1ff
	v_subrev_co_ci_u32_e64 v13, null, 0, v13, s2
	s_delay_alu instid0(VALU_DEP_2) | instskip(SKIP_2) | instid1(VALU_DEP_3)
	v_cmp_le_u32_e32 vcc_lo, s40, v17
	s_wait_alu 0xfffd
	v_cndmask_b32_e64 v14, 0, -1, vcc_lo
	v_cmp_le_u32_e32 vcc_lo, s41, v13
	s_wait_alu 0xfffd
	v_cndmask_b32_e64 v17, 0, -1, vcc_lo
	;; [unrolled: 3-line block ×4, first 2 shown]
	v_cmp_eq_u32_e32 vcc_lo, s41, v13
	s_wait_alu 0xfffd
	v_cndmask_b32_e32 v13, v17, v14, vcc_lo
	v_add_co_u32 v14, vcc_lo, v9, 1
	s_wait_alu 0xfffd
	v_add_co_ci_u32_e64 v17, null, 0, v11, vcc_lo
	v_cmp_eq_u32_e32 vcc_lo, s41, v7
	s_wait_alu 0xfffd
	v_cndmask_b32_e32 v5, v22, v5, vcc_lo
	v_cmp_ne_u32_e32 vcc_lo, 0, v13
	s_delay_alu instid0(VALU_DEP_2) | instskip(SKIP_4) | instid1(VALU_DEP_2)
	v_cmp_ne_u32_e64 s2, 0, v5
	s_wait_alu 0xfffd
	v_cndmask_b32_e32 v5, v14, v15, vcc_lo
	v_cndmask_b32_e32 v7, v17, v16, vcc_lo
	s_wait_alu 0xf1ff
	v_cndmask_b32_e64 v5, v9, v5, s2
	s_delay_alu instid0(VALU_DEP_2) | instskip(NEXT) | instid1(VALU_DEP_2)
	v_cndmask_b32_e64 v7, v11, v7, s2
	v_xor_b32_e32 v5, v5, v3
	s_delay_alu instid0(VALU_DEP_2) | instskip(NEXT) | instid1(VALU_DEP_2)
	v_xor_b32_e32 v7, v7, v3
	v_sub_co_u32 v14, vcc_lo, v5, v3
	s_wait_alu 0xfffd
	s_delay_alu instid0(VALU_DEP_2)
	v_sub_co_ci_u32_e64 v15, null, v7, v3, vcc_lo
.LBB89_30:                              ;   in Loop: Header=BB89_20 Depth=2
	s_wait_alu 0xfffe
	s_and_not1_saveexec_b32 s2, s42
	s_cbranch_execz .LBB89_32
; %bb.31:                               ;   in Loop: Header=BB89_20 Depth=2
	v_cvt_f32_u32_e32 v3, s36
	s_sub_co_i32 s37, 0, s36
	v_mov_b32_e32 v15, v2
	s_delay_alu instid0(VALU_DEP_2) | instskip(NEXT) | instid1(TRANS32_DEP_1)
	v_rcp_iflag_f32_e32 v3, v3
	v_mul_f32_e32 v3, 0x4f7ffffe, v3
	s_delay_alu instid0(VALU_DEP_1) | instskip(SKIP_1) | instid1(VALU_DEP_1)
	v_cvt_u32_f32_e32 v3, v3
	s_wait_alu 0xfffe
	v_mul_lo_u32 v5, s37, v3
	s_delay_alu instid0(VALU_DEP_1) | instskip(NEXT) | instid1(VALU_DEP_1)
	v_mul_hi_u32 v5, v3, v5
	v_add_nc_u32_e32 v3, v3, v5
	s_delay_alu instid0(VALU_DEP_1) | instskip(NEXT) | instid1(VALU_DEP_1)
	v_mul_hi_u32 v3, v12, v3
	v_mul_lo_u32 v5, v3, s36
	v_add_nc_u32_e32 v7, 1, v3
	s_delay_alu instid0(VALU_DEP_2) | instskip(NEXT) | instid1(VALU_DEP_1)
	v_sub_nc_u32_e32 v5, v12, v5
	v_cmp_le_u32_e32 vcc_lo, s36, v5
	v_subrev_nc_u32_e32 v9, s36, v5
	s_wait_alu 0xfffd
	v_cndmask_b32_e32 v3, v3, v7, vcc_lo
	s_delay_alu instid0(VALU_DEP_1) | instskip(NEXT) | instid1(VALU_DEP_3)
	v_add_nc_u32_e32 v7, 1, v3
	v_cndmask_b32_e32 v5, v5, v9, vcc_lo
	s_delay_alu instid0(VALU_DEP_1) | instskip(SKIP_1) | instid1(VALU_DEP_3)
	v_cmp_le_u32_e32 vcc_lo, s36, v5
	s_wait_alu 0xfffd
	v_cndmask_b32_e32 v14, v3, v7, vcc_lo
.LBB89_32:                              ;   in Loop: Header=BB89_20 Depth=2
	s_wait_alu 0xfffe
	s_or_b32 exec_lo, exec_lo, s2
	s_add_co_i32 s38, s22, -3
	s_mov_b32 s39, s23
	s_add_nc_u64 s[46:47], s[0:1], s[46:47]
	s_wait_alu 0xfffe
	s_lshl_b64 s[42:43], s[38:39], 2
                                        ; implicit-def: $vgpr16_vgpr17
	s_mov_b32 s2, exec_lo
	s_wait_alu 0xfffe
	s_add_nc_u64 s[40:41], s[12:13], s[42:43]
	s_clause 0x2
	s_load_b32 s38, s[40:41], 0x8
	s_load_b32 s37, s[44:45], 0x6c
	;; [unrolled: 1-line block ×3, first 2 shown]
	s_wait_kmcnt 0x0
	s_ashr_i32 s39, s38, 31
	s_wait_alu 0xfffe
	v_or_b32_e32 v3, s39, v15
	s_delay_alu instid0(VALU_DEP_1)
	v_cmpx_ne_u64_e32 0, v[2:3]
	s_xor_b32 s54, exec_lo, s2
	s_cbranch_execz .LBB89_34
; %bb.33:                               ;   in Loop: Header=BB89_20 Depth=2
	s_ashr_i32 s44, s39, 31
	s_mov_b32 s61, s23
	s_wait_alu 0xfffe
	s_mov_b32 s45, s44
	s_mov_b32 s65, s23
	s_wait_alu 0xfffe
	s_add_nc_u64 s[46:47], s[38:39], s[44:45]
	v_ashrrev_i32_e32 v3, 31, v15
	s_wait_alu 0xfffe
	s_xor_b64 s[46:47], s[46:47], s[44:45]
	s_wait_alu 0xfffe
	s_cvt_f32_u32 s2, s46
	s_cvt_f32_u32 s39, s47
	s_sub_nc_u64 s[58:59], 0, s[46:47]
	v_add_co_u32 v5, vcc_lo, v14, v3
	s_wait_alu 0xfffe
	s_fmamk_f32 s2, s39, 0x4f800000, s2
	s_wait_alu 0xfffd
	v_add_co_ci_u32_e64 v7, null, v15, v3, vcc_lo
	v_xor_b32_e32 v5, v5, v3
	s_wait_alu 0xfffe
	v_s_rcp_f32 s2, s2
	s_delay_alu instid0(VALU_DEP_2) | instskip(SKIP_1) | instid1(TRANS32_DEP_1)
	v_xor_b32_e32 v7, v7, v3
	v_xor_b32_e32 v3, s44, v3
	s_mul_f32 s2, s2, 0x5f7ffffc
	s_wait_alu 0xfffe
	s_delay_alu instid0(SALU_CYCLE_2) | instskip(SKIP_1) | instid1(SALU_CYCLE_2)
	s_mul_f32 s39, s2, 0x2f800000
	s_wait_alu 0xfffe
	s_trunc_f32 s39, s39
	s_wait_alu 0xfffe
	s_delay_alu instid0(SALU_CYCLE_2) | instskip(SKIP_2) | instid1(SALU_CYCLE_1)
	s_fmamk_f32 s2, s39, 0xcf800000, s2
	s_cvt_u32_f32 s57, s39
	s_wait_alu 0xfffe
	s_cvt_u32_f32 s56, s2
	s_delay_alu instid0(SALU_CYCLE_3) | instskip(NEXT) | instid1(SALU_CYCLE_1)
	s_mul_u64 s[62:63], s[58:59], s[56:57]
	s_mul_hi_u32 s67, s56, s63
	s_mul_i32 s66, s56, s63
	s_mul_hi_u32 s60, s56, s62
	s_mul_i32 s39, s57, s62
	s_add_nc_u64 s[60:61], s[60:61], s[66:67]
	s_mul_hi_u32 s2, s57, s62
	s_mul_hi_u32 s45, s57, s63
	s_wait_alu 0xfffe
	s_add_co_u32 s39, s60, s39
	s_add_co_ci_u32 s64, s61, s2
	s_mul_i32 s62, s57, s63
	s_add_co_ci_u32 s63, s45, 0
	s_delay_alu instid0(SALU_CYCLE_1)
	s_add_nc_u64 s[60:61], s[64:65], s[62:63]
	s_mov_b32 s63, s23
	s_add_co_u32 s56, s56, s60
	s_cselect_b32 s2, -1, 0
	s_wait_alu 0xfffe
	s_cmp_lg_u32 s2, 0
	s_add_co_ci_u32 s57, s57, s61
	s_mov_b32 s61, s23
	s_mul_u64 s[58:59], s[58:59], s[56:57]
	s_delay_alu instid0(SALU_CYCLE_1)
	s_mul_hi_u32 s65, s56, s59
	s_mul_i32 s64, s56, s59
	s_mul_hi_u32 s62, s56, s58
	s_mul_i32 s39, s57, s58
	s_add_nc_u64 s[62:63], s[62:63], s[64:65]
	s_mul_hi_u32 s2, s57, s58
	s_mul_hi_u32 s45, s57, s59
	s_wait_alu 0xfffe
	s_add_co_u32 s39, s62, s39
	s_add_co_ci_u32 s60, s63, s2
	s_mul_i32 s58, s57, s59
	s_add_co_ci_u32 s59, s45, 0
	s_delay_alu instid0(SALU_CYCLE_1) | instskip(NEXT) | instid1(SALU_CYCLE_1)
	s_add_nc_u64 s[58:59], s[60:61], s[58:59]
	s_add_co_u32 s2, s56, s58
	s_cselect_b32 s39, -1, 0
	s_wait_alu 0xfffe
	v_mul_hi_u32 v9, v5, s2
	s_cmp_lg_u32 s39, 0
	v_mad_co_u64_u32 v[22:23], null, v7, s2, 0
	s_add_co_ci_u32 s39, s57, s59
	s_wait_alu 0xfffe
	v_mad_co_u64_u32 v[15:16], null, v5, s39, 0
	v_mad_co_u64_u32 v[24:25], null, v7, s39, 0
	s_delay_alu instid0(VALU_DEP_2) | instskip(SKIP_1) | instid1(VALU_DEP_3)
	v_add_co_u32 v9, vcc_lo, v9, v15
	s_wait_alu 0xfffd
	v_add_co_ci_u32_e64 v11, null, 0, v16, vcc_lo
	s_delay_alu instid0(VALU_DEP_2) | instskip(SKIP_1) | instid1(VALU_DEP_2)
	v_add_co_u32 v9, vcc_lo, v9, v22
	s_wait_alu 0xfffd
	v_add_co_ci_u32_e32 v9, vcc_lo, v11, v23, vcc_lo
	s_wait_alu 0xfffd
	v_add_co_ci_u32_e32 v11, vcc_lo, 0, v25, vcc_lo
	s_delay_alu instid0(VALU_DEP_2) | instskip(SKIP_1) | instid1(VALU_DEP_2)
	v_add_co_u32 v9, vcc_lo, v9, v24
	s_wait_alu 0xfffd
	v_add_co_ci_u32_e64 v11, null, 0, v11, vcc_lo
	s_delay_alu instid0(VALU_DEP_2) | instskip(SKIP_1) | instid1(VALU_DEP_3)
	v_mul_lo_u32 v13, s47, v9
	v_mad_co_u64_u32 v[15:16], null, s46, v9, 0
	v_mul_lo_u32 v17, s46, v11
	s_delay_alu instid0(VALU_DEP_2) | instskip(NEXT) | instid1(VALU_DEP_2)
	v_sub_co_u32 v5, vcc_lo, v5, v15
	v_add3_u32 v13, v16, v17, v13
	s_delay_alu instid0(VALU_DEP_1) | instskip(SKIP_2) | instid1(VALU_DEP_2)
	v_sub_nc_u32_e32 v16, v7, v13
	s_wait_alu 0xfffd
	v_sub_co_ci_u32_e64 v7, null, v7, v13, vcc_lo
	v_subrev_co_ci_u32_e64 v15, null, s47, v16, vcc_lo
	v_add_co_u32 v16, s2, v9, 2
	s_wait_alu 0xf1ff
	v_add_co_ci_u32_e64 v17, null, 0, v11, s2
	v_sub_co_u32 v22, s2, v5, s46
	s_wait_alu 0xf1ff
	v_subrev_co_ci_u32_e64 v15, null, 0, v15, s2
	s_delay_alu instid0(VALU_DEP_2) | instskip(SKIP_2) | instid1(VALU_DEP_3)
	v_cmp_le_u32_e32 vcc_lo, s46, v22
	s_wait_alu 0xfffd
	v_cndmask_b32_e64 v13, 0, -1, vcc_lo
	v_cmp_le_u32_e32 vcc_lo, s47, v15
	s_wait_alu 0xfffd
	v_cndmask_b32_e64 v22, 0, -1, vcc_lo
	;; [unrolled: 3-line block ×4, first 2 shown]
	v_cmp_eq_u32_e32 vcc_lo, s47, v15
	s_wait_alu 0xfffd
	v_cndmask_b32_e32 v13, v22, v13, vcc_lo
	v_add_co_u32 v15, vcc_lo, v9, 1
	s_wait_alu 0xfffd
	v_add_co_ci_u32_e64 v22, null, 0, v11, vcc_lo
	v_cmp_eq_u32_e32 vcc_lo, s47, v7
	s_wait_alu 0xfffd
	v_cndmask_b32_e32 v5, v23, v5, vcc_lo
	v_cmp_ne_u32_e32 vcc_lo, 0, v13
	s_delay_alu instid0(VALU_DEP_2) | instskip(SKIP_4) | instid1(VALU_DEP_2)
	v_cmp_ne_u32_e64 s2, 0, v5
	s_wait_alu 0xfffd
	v_cndmask_b32_e32 v5, v15, v16, vcc_lo
	v_cndmask_b32_e32 v7, v22, v17, vcc_lo
	s_wait_alu 0xf1ff
	v_cndmask_b32_e64 v5, v9, v5, s2
	s_delay_alu instid0(VALU_DEP_2) | instskip(NEXT) | instid1(VALU_DEP_2)
	v_cndmask_b32_e64 v7, v11, v7, s2
	v_xor_b32_e32 v5, v5, v3
	s_delay_alu instid0(VALU_DEP_2) | instskip(NEXT) | instid1(VALU_DEP_2)
	v_xor_b32_e32 v7, v7, v3
	v_sub_co_u32 v16, vcc_lo, v5, v3
	s_wait_alu 0xfffd
	s_delay_alu instid0(VALU_DEP_2)
	v_sub_co_ci_u32_e64 v17, null, v7, v3, vcc_lo
.LBB89_34:                              ;   in Loop: Header=BB89_20 Depth=2
	s_and_not1_saveexec_b32 s2, s54
	s_cbranch_execz .LBB89_36
; %bb.35:                               ;   in Loop: Header=BB89_20 Depth=2
	v_cvt_f32_u32_e32 v3, s38
	s_sub_co_i32 s39, 0, s38
	v_mov_b32_e32 v17, v2
	s_delay_alu instid0(VALU_DEP_2) | instskip(NEXT) | instid1(TRANS32_DEP_1)
	v_rcp_iflag_f32_e32 v3, v3
	v_mul_f32_e32 v3, 0x4f7ffffe, v3
	s_delay_alu instid0(VALU_DEP_1) | instskip(SKIP_1) | instid1(VALU_DEP_1)
	v_cvt_u32_f32_e32 v3, v3
	s_wait_alu 0xfffe
	v_mul_lo_u32 v5, s39, v3
	s_delay_alu instid0(VALU_DEP_1) | instskip(NEXT) | instid1(VALU_DEP_1)
	v_mul_hi_u32 v5, v3, v5
	v_add_nc_u32_e32 v3, v3, v5
	s_delay_alu instid0(VALU_DEP_1) | instskip(NEXT) | instid1(VALU_DEP_1)
	v_mul_hi_u32 v3, v14, v3
	v_mul_lo_u32 v5, v3, s38
	v_add_nc_u32_e32 v7, 1, v3
	s_delay_alu instid0(VALU_DEP_2) | instskip(NEXT) | instid1(VALU_DEP_1)
	v_sub_nc_u32_e32 v5, v14, v5
	v_cmp_le_u32_e32 vcc_lo, s38, v5
	v_subrev_nc_u32_e32 v9, s38, v5
	s_wait_alu 0xfffd
	v_cndmask_b32_e32 v3, v3, v7, vcc_lo
	s_delay_alu instid0(VALU_DEP_1) | instskip(NEXT) | instid1(VALU_DEP_3)
	v_add_nc_u32_e32 v7, 1, v3
	v_cndmask_b32_e32 v5, v5, v9, vcc_lo
	s_delay_alu instid0(VALU_DEP_1) | instskip(SKIP_1) | instid1(VALU_DEP_3)
	v_cmp_le_u32_e32 vcc_lo, s38, v5
	s_wait_alu 0xfffd
	v_cndmask_b32_e32 v16, v3, v7, vcc_lo
.LBB89_36:                              ;   in Loop: Header=BB89_20 Depth=2
	s_wait_alu 0xfffe
	s_or_b32 exec_lo, exec_lo, s2
	s_add_nc_u64 s[42:43], s[0:1], s[42:43]
	v_mul_lo_u32 v3, v10, s30
	s_clause 0x1
	s_load_b32 s2, s[40:41], 0x6c
	s_load_b32 s30, s[42:43], 0x6c
	v_mul_lo_u32 v5, v12, s34
	v_mul_lo_u32 v7, v14, s36
	;; [unrolled: 1-line block ×3, first 2 shown]
	s_add_co_i32 s22, s22, -4
	s_wait_alu 0xfffe
	s_cmp_eq_u32 s22, -1
	v_sub_nc_u32_e32 v3, v8, v3
	s_delay_alu instid0(VALU_DEP_4) | instskip(NEXT) | instid1(VALU_DEP_4)
	v_sub_nc_u32_e32 v5, v10, v5
	v_sub_nc_u32_e32 v7, v12, v7
	s_delay_alu instid0(VALU_DEP_4) | instskip(NEXT) | instid1(VALU_DEP_4)
	v_sub_nc_u32_e32 v8, v14, v9
	v_mul_lo_u32 v9, s19, v3
	v_mul_lo_u32 v3, s29, v3
	;; [unrolled: 1-line block ×6, first 2 shown]
	s_wait_kmcnt 0x0
	v_mul_lo_u32 v12, s2, v8
	v_mul_lo_u32 v8, s30, v8
	v_add3_u32 v6, v9, v6, v10
	v_add3_u32 v3, v3, v4, v5
	s_delay_alu instid0(VALU_DEP_2) | instskip(NEXT) | instid1(VALU_DEP_2)
	v_add3_u32 v6, v11, v6, v12
	v_add3_u32 v4, v7, v3, v8
	s_cbranch_scc1 .LBB89_38
; %bb.37:                               ;   in Loop: Header=BB89_20 Depth=2
	v_dual_mov_b32 v8, v16 :: v_dual_mov_b32 v9, v17
	s_branch .LBB89_20
.LBB89_38:                              ;   in Loop: Header=BB89_3 Depth=1
	v_sub_nc_u32_e32 v5, v20, v21
	v_mov_b32_e32 v7, 0
	v_dual_mov_b32 v11, 0 :: v_dual_mov_b32 v8, 0
	s_delay_alu instid0(VALU_DEP_3) | instskip(NEXT) | instid1(VALU_DEP_1)
	v_add_nc_u32_e32 v9, 2, v5
	v_ashrrev_i32_e32 v10, 31, v9
	s_delay_alu instid0(VALU_DEP_1)
	v_cmp_le_i64_e32 vcc_lo, s[4:5], v[9:10]
	v_mov_b32_e32 v10, 0
	s_and_saveexec_b32 s19, vcc_lo
	s_cbranch_execz .LBB89_44
; %bb.39:                               ;   in Loop: Header=BB89_3 Depth=1
	v_dual_mov_b32 v7, 0 :: v_dual_mov_b32 v8, 0
	v_mov_b32_e32 v3, 0
	v_mov_b32_e32 v9, 0
	s_mov_b32 s2, exec_lo
	v_cmpx_gt_i32_e64 s3, v20
	s_cbranch_execz .LBB89_43
; %bb.40:                               ;   in Loop: Header=BB89_3 Depth=1
	v_ashrrev_i32_e32 v7, 31, v6
	v_dual_mov_b32 v9, 0 :: v_dual_add_nc_u32 v8, 1, v20
	s_delay_alu instid0(VALU_DEP_2) | instskip(NEXT) | instid1(VALU_DEP_1)
	v_lshlrev_b64_e32 v[6:7], 2, v[6:7]
	v_add_co_u32 v6, vcc_lo, s10, v6
	s_wait_alu 0xfffd
	s_delay_alu instid0(VALU_DEP_2)
	v_add_co_ci_u32_e64 v7, null, s11, v7, vcc_lo
	v_cmp_gt_i32_e32 vcc_lo, s3, v8
	v_mov_b32_e32 v8, 0
	global_load_b32 v3, v[6:7], off
	s_and_saveexec_b32 s22, vcc_lo
	s_wait_alu 0xfffe
	s_xor_b32 s22, exec_lo, s22
	s_cbranch_execz .LBB89_42
; %bb.41:                               ;   in Loop: Header=BB89_3 Depth=1
	s_lshl_b64 s[30:31], s[24:25], 2
	s_wait_alu 0xfffe
	v_add_co_u32 v6, vcc_lo, v6, s30
	s_wait_alu 0xfffd
	v_add_co_ci_u32_e64 v7, null, s31, v7, vcc_lo
	global_load_b32 v6, v[6:7], off
	s_wait_loadcnt 0x0
	v_and_b32_e32 v8, 0xffff0000, v6
	v_and_b32_e32 v9, 0xffff, v6
.LBB89_42:                              ;   in Loop: Header=BB89_3 Depth=1
	s_wait_alu 0xfffe
	s_or_b32 exec_lo, exec_lo, s22
	s_wait_loadcnt 0x0
	v_lshrrev_b32_e32 v7, 16, v3
.LBB89_43:                              ;   in Loop: Header=BB89_3 Depth=1
	s_wait_alu 0xfffe
	s_or_b32 exec_lo, exec_lo, s2
	v_add_nc_u32_e32 v10, 1, v5
	v_ashrrev_i32_e32 v6, 31, v5
	v_and_b32_e32 v3, 0xffff, v3
	s_delay_alu instid0(VALU_DEP_3) | instskip(NEXT) | instid1(VALU_DEP_3)
	v_ashrrev_i32_e32 v11, 31, v10
	v_cmp_gt_i64_e32 vcc_lo, s[4:5], v[5:6]
	v_lshlrev_b32_e32 v5, 16, v7
	s_delay_alu instid0(VALU_DEP_3) | instskip(SKIP_2) | instid1(VALU_DEP_3)
	v_cmp_gt_i64_e64 s2, s[4:5], v[10:11]
	s_wait_alu 0xfffd
	v_cndmask_b32_e64 v10, v3, 0, vcc_lo
	v_cndmask_b32_e64 v11, v5, 0, vcc_lo
	s_wait_alu 0xf1ff
	s_delay_alu instid0(VALU_DEP_3)
	v_cndmask_b32_e64 v7, v9, 0, s2
	v_cndmask_b32_e64 v8, v8, 0, s2
.LBB89_44:                              ;   in Loop: Header=BB89_3 Depth=1
	s_wait_alu 0xfffe
	s_or_b32 exec_lo, exec_lo, s19
	s_delay_alu instid0(SALU_CYCLE_1)
	s_mov_b32 s2, exec_lo
	v_cmpx_gt_i32_e64 s3, v20
	s_cbranch_execz .LBB89_2
; %bb.45:                               ;   in Loop: Header=BB89_3 Depth=1
	v_ashrrev_i32_e32 v5, 31, v4
	v_or_b32_e32 v6, v11, v10
	s_mov_b32 s19, exec_lo
	s_delay_alu instid0(VALU_DEP_2) | instskip(SKIP_1) | instid1(VALU_DEP_2)
	v_lshlrev_b64_e32 v[3:4], 2, v[4:5]
	v_add_nc_u32_e32 v5, 1, v20
	v_add_co_u32 v3, vcc_lo, s14, v3
	s_wait_alu 0xfffd
	s_delay_alu instid0(VALU_DEP_3)
	v_add_co_ci_u32_e64 v4, null, s15, v4, vcc_lo
	global_store_b32 v[3:4], v6, off
	v_cmpx_gt_i32_e64 s3, v5
	s_wait_alu 0xfffe
	s_xor_b32 s19, exec_lo, s19
	s_cbranch_execz .LBB89_2
; %bb.46:                               ;   in Loop: Header=BB89_3 Depth=1
	s_lshl_b64 s[30:31], s[26:27], 2
	v_or_b32_e32 v5, v8, v7
	s_wait_alu 0xfffe
	v_add_co_u32 v3, vcc_lo, v3, s30
	s_wait_alu 0xfffd
	v_add_co_ci_u32_e64 v4, null, s31, v4, vcc_lo
	global_store_b32 v[3:4], v5, off
	s_branch .LBB89_2
.LBB89_47:
	s_endpgm
	.section	.rodata,"a",@progbits
	.p2align	6, 0x0
	.amdhsa_kernel _ZN2at6native16triu_tril_kernelIN3c107complexINS2_4HalfEEEiLb1ELi2ELb0EEEvNS_4cuda6detail10TensorInfoIT_T0_EENS8_IKS9_SA_EEllSA_
		.amdhsa_group_segment_fixed_size 0
		.amdhsa_private_segment_fixed_size 0
		.amdhsa_kernarg_size 712
		.amdhsa_user_sgpr_count 2
		.amdhsa_user_sgpr_dispatch_ptr 0
		.amdhsa_user_sgpr_queue_ptr 0
		.amdhsa_user_sgpr_kernarg_segment_ptr 1
		.amdhsa_user_sgpr_dispatch_id 0
		.amdhsa_user_sgpr_private_segment_size 0
		.amdhsa_wavefront_size32 1
		.amdhsa_uses_dynamic_stack 0
		.amdhsa_enable_private_segment 0
		.amdhsa_system_sgpr_workgroup_id_x 1
		.amdhsa_system_sgpr_workgroup_id_y 0
		.amdhsa_system_sgpr_workgroup_id_z 0
		.amdhsa_system_sgpr_workgroup_info 0
		.amdhsa_system_vgpr_workitem_id 0
		.amdhsa_next_free_vgpr 26
		.amdhsa_next_free_sgpr 68
		.amdhsa_reserve_vcc 1
		.amdhsa_float_round_mode_32 0
		.amdhsa_float_round_mode_16_64 0
		.amdhsa_float_denorm_mode_32 3
		.amdhsa_float_denorm_mode_16_64 3
		.amdhsa_fp16_overflow 0
		.amdhsa_workgroup_processor_mode 1
		.amdhsa_memory_ordered 1
		.amdhsa_forward_progress 1
		.amdhsa_inst_pref_size 66
		.amdhsa_round_robin_scheduling 0
		.amdhsa_exception_fp_ieee_invalid_op 0
		.amdhsa_exception_fp_denorm_src 0
		.amdhsa_exception_fp_ieee_div_zero 0
		.amdhsa_exception_fp_ieee_overflow 0
		.amdhsa_exception_fp_ieee_underflow 0
		.amdhsa_exception_fp_ieee_inexact 0
		.amdhsa_exception_int_div_zero 0
	.end_amdhsa_kernel
	.section	.text._ZN2at6native16triu_tril_kernelIN3c107complexINS2_4HalfEEEiLb1ELi2ELb0EEEvNS_4cuda6detail10TensorInfoIT_T0_EENS8_IKS9_SA_EEllSA_,"axG",@progbits,_ZN2at6native16triu_tril_kernelIN3c107complexINS2_4HalfEEEiLb1ELi2ELb0EEEvNS_4cuda6detail10TensorInfoIT_T0_EENS8_IKS9_SA_EEllSA_,comdat
.Lfunc_end89:
	.size	_ZN2at6native16triu_tril_kernelIN3c107complexINS2_4HalfEEEiLb1ELi2ELb0EEEvNS_4cuda6detail10TensorInfoIT_T0_EENS8_IKS9_SA_EEllSA_, .Lfunc_end89-_ZN2at6native16triu_tril_kernelIN3c107complexINS2_4HalfEEEiLb1ELi2ELb0EEEvNS_4cuda6detail10TensorInfoIT_T0_EENS8_IKS9_SA_EEllSA_
                                        ; -- End function
	.set _ZN2at6native16triu_tril_kernelIN3c107complexINS2_4HalfEEEiLb1ELi2ELb0EEEvNS_4cuda6detail10TensorInfoIT_T0_EENS8_IKS9_SA_EEllSA_.num_vgpr, 26
	.set _ZN2at6native16triu_tril_kernelIN3c107complexINS2_4HalfEEEiLb1ELi2ELb0EEEvNS_4cuda6detail10TensorInfoIT_T0_EENS8_IKS9_SA_EEllSA_.num_agpr, 0
	.set _ZN2at6native16triu_tril_kernelIN3c107complexINS2_4HalfEEEiLb1ELi2ELb0EEEvNS_4cuda6detail10TensorInfoIT_T0_EENS8_IKS9_SA_EEllSA_.numbered_sgpr, 68
	.set _ZN2at6native16triu_tril_kernelIN3c107complexINS2_4HalfEEEiLb1ELi2ELb0EEEvNS_4cuda6detail10TensorInfoIT_T0_EENS8_IKS9_SA_EEllSA_.num_named_barrier, 0
	.set _ZN2at6native16triu_tril_kernelIN3c107complexINS2_4HalfEEEiLb1ELi2ELb0EEEvNS_4cuda6detail10TensorInfoIT_T0_EENS8_IKS9_SA_EEllSA_.private_seg_size, 0
	.set _ZN2at6native16triu_tril_kernelIN3c107complexINS2_4HalfEEEiLb1ELi2ELb0EEEvNS_4cuda6detail10TensorInfoIT_T0_EENS8_IKS9_SA_EEllSA_.uses_vcc, 1
	.set _ZN2at6native16triu_tril_kernelIN3c107complexINS2_4HalfEEEiLb1ELi2ELb0EEEvNS_4cuda6detail10TensorInfoIT_T0_EENS8_IKS9_SA_EEllSA_.uses_flat_scratch, 0
	.set _ZN2at6native16triu_tril_kernelIN3c107complexINS2_4HalfEEEiLb1ELi2ELb0EEEvNS_4cuda6detail10TensorInfoIT_T0_EENS8_IKS9_SA_EEllSA_.has_dyn_sized_stack, 0
	.set _ZN2at6native16triu_tril_kernelIN3c107complexINS2_4HalfEEEiLb1ELi2ELb0EEEvNS_4cuda6detail10TensorInfoIT_T0_EENS8_IKS9_SA_EEllSA_.has_recursion, 0
	.set _ZN2at6native16triu_tril_kernelIN3c107complexINS2_4HalfEEEiLb1ELi2ELb0EEEvNS_4cuda6detail10TensorInfoIT_T0_EENS8_IKS9_SA_EEllSA_.has_indirect_call, 0
	.section	.AMDGPU.csdata,"",@progbits
; Kernel info:
; codeLenInByte = 8364
; TotalNumSgprs: 70
; NumVgprs: 26
; ScratchSize: 0
; MemoryBound: 0
; FloatMode: 240
; IeeeMode: 1
; LDSByteSize: 0 bytes/workgroup (compile time only)
; SGPRBlocks: 0
; VGPRBlocks: 3
; NumSGPRsForWavesPerEU: 70
; NumVGPRsForWavesPerEU: 26
; Occupancy: 16
; WaveLimiterHint : 1
; COMPUTE_PGM_RSRC2:SCRATCH_EN: 0
; COMPUTE_PGM_RSRC2:USER_SGPR: 2
; COMPUTE_PGM_RSRC2:TRAP_HANDLER: 0
; COMPUTE_PGM_RSRC2:TGID_X_EN: 1
; COMPUTE_PGM_RSRC2:TGID_Y_EN: 0
; COMPUTE_PGM_RSRC2:TGID_Z_EN: 0
; COMPUTE_PGM_RSRC2:TIDIG_COMP_CNT: 0
	.section	.text._ZN2at6native16triu_tril_kernelIN3c107complexINS2_4HalfEEElLb1ELi2ELb1EEEvNS_4cuda6detail10TensorInfoIT_T0_EENS8_IKS9_SA_EEllSA_,"axG",@progbits,_ZN2at6native16triu_tril_kernelIN3c107complexINS2_4HalfEEElLb1ELi2ELb1EEEvNS_4cuda6detail10TensorInfoIT_T0_EENS8_IKS9_SA_EEllSA_,comdat
	.protected	_ZN2at6native16triu_tril_kernelIN3c107complexINS2_4HalfEEElLb1ELi2ELb1EEEvNS_4cuda6detail10TensorInfoIT_T0_EENS8_IKS9_SA_EEllSA_ ; -- Begin function _ZN2at6native16triu_tril_kernelIN3c107complexINS2_4HalfEEElLb1ELi2ELb1EEEvNS_4cuda6detail10TensorInfoIT_T0_EENS8_IKS9_SA_EEllSA_
	.globl	_ZN2at6native16triu_tril_kernelIN3c107complexINS2_4HalfEEElLb1ELi2ELb1EEEvNS_4cuda6detail10TensorInfoIT_T0_EENS8_IKS9_SA_EEllSA_
	.p2align	8
	.type	_ZN2at6native16triu_tril_kernelIN3c107complexINS2_4HalfEEElLb1ELi2ELb1EEEvNS_4cuda6detail10TensorInfoIT_T0_EENS8_IKS9_SA_EEllSA_,@function
_ZN2at6native16triu_tril_kernelIN3c107complexINS2_4HalfEEElLb1ELi2ELb1EEEvNS_4cuda6detail10TensorInfoIT_T0_EENS8_IKS9_SA_EEllSA_: ; @_ZN2at6native16triu_tril_kernelIN3c107complexINS2_4HalfEEElLb1ELi2ELb1EEEvNS_4cuda6detail10TensorInfoIT_T0_EENS8_IKS9_SA_EEllSA_
; %bb.0:
	s_clause 0x1
	s_load_b32 s2, s[0:1], 0x364
	s_load_b128 s[4:7], s[0:1], 0x340
	v_mov_b32_e32 v2, 0
	s_mov_b32 s3, exec_lo
	s_delay_alu instid0(VALU_DEP_1)
	v_mov_b32_e32 v1, v2
	s_wait_kmcnt 0x0
	s_and_b32 s2, s2, 0xffff
	s_delay_alu instid0(VALU_DEP_1) | instid1(SALU_CYCLE_1)
	v_mad_co_u64_u32 v[0:1], null, s2, ttmp9, v[0:1]
	s_delay_alu instid0(VALU_DEP_1) | instskip(NEXT) | instid1(VALU_DEP_1)
	v_lshlrev_b64_e32 v[0:1], 1, v[0:1]
	v_cmpx_gt_i64_e64 s[6:7], v[0:1]
	s_cbranch_execz .LBB90_41
; %bb.1:
	s_load_b32 s22, s[0:1], 0x338
	s_add_nc_u64 s[12:13], s[0:1], 0x358
	s_clause 0x1
	s_load_b64 s[8:9], s[0:1], 0x350
	s_load_b64 s[10:11], s[0:1], 0x0
	s_add_nc_u64 s[28:29], s[0:1], 0x1a0
	s_load_b32 s3, s[12:13], 0x0
	s_movk_i32 s18, 0xffe0
	s_add_nc_u64 s[16:17], s[0:1], 0xb8
	s_mov_b32 s19, -1
	s_add_nc_u64 s[34:35], s[0:1], 0x190
	s_mov_b32 s65, 0
	s_wait_kmcnt 0x0
	s_add_co_i32 s14, s22, -2
	v_cvt_f32_u32_e32 v3, s8
	s_ashr_i32 s15, s14, 31
	s_add_co_i32 s20, s22, -3
	s_lshl_b64 s[12:13], s[14:15], 3
	s_ashr_i32 s23, s22, 31
	s_add_nc_u64 s[12:13], s[28:29], s[12:13]
	v_rcp_iflag_f32_e32 v3, v3
	s_load_b64 s[12:13], s[12:13], 0x8
	s_mul_i32 s24, s3, s2
	s_and_b32 s25, s20, 3
	s_lshl_b64 s[2:3], s[22:23], 3
	s_ashr_i32 s21, s20, 31
	s_and_b32 s14, s14, 3
	s_lshl_b32 s62, s24, 1
	s_cmp_lg_u32 s25, 3
	v_cmp_gt_i64_e64 s33, s[22:23], 2
	s_cselect_b32 s63, -1, 0
	s_cmp_gt_u32 s20, 2
	s_wait_alu 0xfffe
	s_add_nc_u64 s[22:23], s[0:1], s[2:3]
	s_add_nc_u64 s[24:25], s[28:29], s[2:3]
	s_cselect_b32 s64, -1, 0
	s_lshl_b64 s[2:3], s[20:21], 3
	s_mov_b32 s15, 0
	s_wait_alu 0xfffe
	s_add_nc_u64 s[30:31], s[0:1], s[2:3]
	s_add_nc_u64 s[2:3], s[28:29], s[2:3]
	s_mov_b64 s[26:27], s[14:15]
	s_add_nc_u64 s[28:29], s[30:31], 0xd0
	s_wait_kmcnt 0x0
	v_cvt_f32_u32_e32 v4, s12
	s_wait_alu 0xfffe
	s_add_nc_u64 s[30:31], s[2:3], 8
	s_ashr_i32 s36, s9, 31
	s_delay_alu instid0(VALU_DEP_1) | instskip(NEXT) | instid1(TRANS32_DEP_1)
	v_rcp_iflag_f32_e32 v4, v4
	v_dual_mul_f32 v3, 0x4f7ffffe, v3 :: v_dual_mul_f32 v4, 0x4f7ffffe, v4
	s_delay_alu instid0(VALU_DEP_1) | instskip(NEXT) | instid1(VALU_DEP_2)
	v_cvt_u32_f32_e32 v18, v3
	v_cvt_u32_f32_e32 v19, v4
	s_branch .LBB90_3
.LBB90_2:                               ;   in Loop: Header=BB90_3 Depth=1
	s_wait_alu 0xfffe
	s_or_b32 exec_lo, exec_lo, s37
	v_add_co_u32 v0, vcc_lo, v0, s62
	s_wait_alu 0xfffd
	v_add_co_ci_u32_e64 v1, null, 0, v1, vcc_lo
	s_delay_alu instid0(VALU_DEP_1) | instskip(SKIP_1) | instid1(SALU_CYCLE_1)
	v_cmp_le_i64_e32 vcc_lo, s[6:7], v[0:1]
	s_or_b32 s65, vcc_lo, s65
	s_and_not1_b32 exec_lo, exec_lo, s65
	s_cbranch_execz .LBB90_41
.LBB90_3:                               ; =>This Loop Header: Depth=1
                                        ;     Child Loop BB90_17 Depth 2
                                        ;     Child Loop BB90_22 Depth 2
	v_or_b32_e32 v3, s9, v1
                                        ; implicit-def: $vgpr6_vgpr7
	s_mov_b32 s0, exec_lo
	s_delay_alu instid0(VALU_DEP_1)
	v_cmpx_ne_u64_e32 0, v[2:3]
	s_wait_alu 0xfffe
	s_xor_b32 s1, exec_lo, s0
	s_cbranch_execz .LBB90_5
; %bb.4:                                ;   in Loop: Header=BB90_3 Depth=1
	s_mov_b32 s37, s36
	v_ashrrev_i32_e32 v9, 31, v1
	s_wait_alu 0xfffe
	s_add_nc_u64 s[2:3], s[8:9], s[36:37]
	s_wait_alu 0xfffe
	s_xor_b64 s[2:3], s[2:3], s[36:37]
	v_add_co_u32 v3, vcc_lo, v0, v9
	s_wait_alu 0xfffe
	s_cvt_f32_u32 s0, s2
	s_cvt_f32_u32 s14, s3
	s_sub_nc_u64 s[40:41], 0, s[2:3]
	s_wait_alu 0xfffd
	v_add_co_ci_u32_e64 v4, null, v1, v9, vcc_lo
	s_wait_alu 0xfffe
	s_fmamk_f32 s0, s14, 0x4f800000, s0
	v_xor_b32_e32 v10, v3, v9
	s_delay_alu instid0(VALU_DEP_2) | instskip(SKIP_2) | instid1(TRANS32_DEP_1)
	v_xor_b32_e32 v11, v4, v9
	s_wait_alu 0xfffe
	v_s_rcp_f32 s0, s0
	s_mul_f32 s0, s0, 0x5f7ffffc
	s_wait_alu 0xfffe
	s_delay_alu instid0(SALU_CYCLE_2) | instskip(SKIP_1) | instid1(SALU_CYCLE_2)
	s_mul_f32 s14, s0, 0x2f800000
	s_wait_alu 0xfffe
	s_trunc_f32 s14, s14
	s_wait_alu 0xfffe
	s_delay_alu instid0(SALU_CYCLE_2) | instskip(SKIP_2) | instid1(SALU_CYCLE_1)
	s_fmamk_f32 s0, s14, 0xcf800000, s0
	s_cvt_u32_f32 s39, s14
	s_wait_alu 0xfffe
	s_cvt_u32_f32 s38, s0
	s_wait_alu 0xfffe
	s_delay_alu instid0(SALU_CYCLE_2) | instskip(NEXT) | instid1(SALU_CYCLE_1)
	s_mul_u64 s[42:43], s[40:41], s[38:39]
	s_mul_hi_u32 s45, s38, s43
	s_mul_i32 s44, s38, s43
	s_mul_hi_u32 s14, s38, s42
	s_mul_i32 s37, s39, s42
	s_wait_alu 0xfffe
	s_add_nc_u64 s[44:45], s[14:15], s[44:45]
	s_mul_hi_u32 s0, s39, s42
	s_mul_hi_u32 s46, s39, s43
	s_wait_alu 0xfffe
	s_add_co_u32 s14, s44, s37
	s_add_co_ci_u32 s14, s45, s0
	s_mul_i32 s42, s39, s43
	s_add_co_ci_u32 s43, s46, 0
	s_wait_alu 0xfffe
	s_add_nc_u64 s[42:43], s[14:15], s[42:43]
	s_delay_alu instid0(SALU_CYCLE_1)
	s_add_co_u32 s38, s38, s42
	s_cselect_b32 s0, -1, 0
	s_wait_alu 0xfffe
	s_cmp_lg_u32 s0, 0
	s_add_co_ci_u32 s39, s39, s43
	s_wait_alu 0xfffe
	s_mul_u64 s[40:41], s[40:41], s[38:39]
	s_delay_alu instid0(SALU_CYCLE_1)
	s_mul_hi_u32 s43, s38, s41
	s_mul_i32 s42, s38, s41
	s_mul_hi_u32 s14, s38, s40
	s_mul_i32 s37, s39, s40
	s_wait_alu 0xfffe
	s_add_nc_u64 s[42:43], s[14:15], s[42:43]
	s_mul_hi_u32 s0, s39, s40
	s_mul_hi_u32 s44, s39, s41
	s_add_co_u32 s14, s42, s37
	s_wait_alu 0xfffe
	s_add_co_ci_u32 s14, s43, s0
	s_mul_i32 s40, s39, s41
	s_add_co_ci_u32 s41, s44, 0
	s_wait_alu 0xfffe
	s_add_nc_u64 s[40:41], s[14:15], s[40:41]
	s_delay_alu instid0(SALU_CYCLE_1)
	s_add_co_u32 s0, s38, s40
	s_cselect_b32 s14, -1, 0
	s_wait_alu 0xfffe
	v_mul_hi_u32 v12, v10, s0
	s_cmp_lg_u32 s14, 0
	v_mad_co_u64_u32 v[5:6], null, v11, s0, 0
	s_add_co_ci_u32 s14, s39, s41
	s_wait_alu 0xfffe
	v_mad_co_u64_u32 v[3:4], null, v10, s14, 0
	v_mad_co_u64_u32 v[7:8], null, v11, s14, 0
	s_delay_alu instid0(VALU_DEP_2) | instskip(SKIP_1) | instid1(VALU_DEP_3)
	v_add_co_u32 v3, vcc_lo, v12, v3
	s_wait_alu 0xfffd
	v_add_co_ci_u32_e64 v4, null, 0, v4, vcc_lo
	s_delay_alu instid0(VALU_DEP_2) | instskip(SKIP_1) | instid1(VALU_DEP_2)
	v_add_co_u32 v3, vcc_lo, v3, v5
	s_wait_alu 0xfffd
	v_add_co_ci_u32_e32 v3, vcc_lo, v4, v6, vcc_lo
	s_wait_alu 0xfffd
	v_add_co_ci_u32_e32 v4, vcc_lo, 0, v8, vcc_lo
	s_delay_alu instid0(VALU_DEP_2) | instskip(SKIP_1) | instid1(VALU_DEP_2)
	v_add_co_u32 v5, vcc_lo, v3, v7
	s_wait_alu 0xfffd
	v_add_co_ci_u32_e64 v6, null, 0, v4, vcc_lo
	s_delay_alu instid0(VALU_DEP_2) | instskip(SKIP_1) | instid1(VALU_DEP_3)
	v_mul_lo_u32 v7, s3, v5
	v_mad_co_u64_u32 v[3:4], null, s2, v5, 0
	v_mul_lo_u32 v8, s2, v6
	s_delay_alu instid0(VALU_DEP_2) | instskip(NEXT) | instid1(VALU_DEP_2)
	v_sub_co_u32 v3, vcc_lo, v10, v3
	v_add3_u32 v4, v4, v8, v7
	v_add_co_u32 v8, s0, v5, 2
	s_wait_alu 0xf1ff
	v_add_co_ci_u32_e64 v10, null, 0, v6, s0
	s_delay_alu instid0(VALU_DEP_3) | instskip(SKIP_3) | instid1(VALU_DEP_3)
	v_sub_nc_u32_e32 v7, v11, v4
	v_sub_co_u32 v12, s0, v3, s2
	s_wait_alu 0xfffd
	v_sub_co_ci_u32_e64 v4, null, v11, v4, vcc_lo
	v_subrev_co_ci_u32_e64 v7, null, s3, v7, vcc_lo
	s_delay_alu instid0(VALU_DEP_3) | instskip(SKIP_1) | instid1(VALU_DEP_2)
	v_cmp_le_u32_e32 vcc_lo, s2, v12
	s_wait_alu 0xf1ff
	v_subrev_co_ci_u32_e64 v7, null, 0, v7, s0
	s_wait_alu 0xfffd
	v_cndmask_b32_e64 v11, 0, -1, vcc_lo
	s_delay_alu instid0(VALU_DEP_2)
	v_cmp_le_u32_e32 vcc_lo, s3, v7
	s_wait_alu 0xfffd
	v_cndmask_b32_e64 v12, 0, -1, vcc_lo
	v_cmp_le_u32_e32 vcc_lo, s2, v3
	s_wait_alu 0xfffd
	v_cndmask_b32_e64 v3, 0, -1, vcc_lo
	;; [unrolled: 3-line block ×3, first 2 shown]
	v_cmp_eq_u32_e32 vcc_lo, s3, v7
	s_wait_alu 0xfffd
	v_cndmask_b32_e32 v7, v12, v11, vcc_lo
	v_add_co_u32 v11, vcc_lo, v5, 1
	s_wait_alu 0xfffd
	v_add_co_ci_u32_e64 v12, null, 0, v6, vcc_lo
	v_cmp_eq_u32_e32 vcc_lo, s3, v4
	s_wait_alu 0xfffd
	v_cndmask_b32_e32 v3, v13, v3, vcc_lo
	v_cmp_ne_u32_e32 vcc_lo, 0, v7
	v_xor_b32_e32 v7, s36, v9
	s_wait_alu 0xfffd
	v_cndmask_b32_e32 v4, v12, v10, vcc_lo
	v_cmp_ne_u32_e64 s0, 0, v3
	v_cndmask_b32_e32 v3, v11, v8, vcc_lo
	s_wait_alu 0xf1ff
	s_delay_alu instid0(VALU_DEP_2) | instskip(NEXT) | instid1(VALU_DEP_2)
	v_cndmask_b32_e64 v4, v6, v4, s0
	v_cndmask_b32_e64 v3, v5, v3, s0
	s_delay_alu instid0(VALU_DEP_2) | instskip(NEXT) | instid1(VALU_DEP_2)
	v_xor_b32_e32 v4, v4, v7
	v_xor_b32_e32 v3, v3, v7
	s_delay_alu instid0(VALU_DEP_1) | instskip(SKIP_1) | instid1(VALU_DEP_3)
	v_sub_co_u32 v6, vcc_lo, v3, v7
	s_wait_alu 0xfffd
	v_sub_co_ci_u32_e64 v7, null, v4, v7, vcc_lo
.LBB90_5:                               ;   in Loop: Header=BB90_3 Depth=1
	s_wait_alu 0xfffe
	s_and_not1_saveexec_b32 s0, s1
	s_cbranch_execz .LBB90_7
; %bb.6:                                ;   in Loop: Header=BB90_3 Depth=1
	s_sub_co_i32 s1, 0, s8
	v_mov_b32_e32 v7, v2
	s_wait_alu 0xfffe
	v_mul_lo_u32 v3, s1, v18
	s_delay_alu instid0(VALU_DEP_1) | instskip(NEXT) | instid1(VALU_DEP_1)
	v_mul_hi_u32 v3, v18, v3
	v_add_nc_u32_e32 v3, v18, v3
	s_delay_alu instid0(VALU_DEP_1) | instskip(NEXT) | instid1(VALU_DEP_1)
	v_mul_hi_u32 v3, v0, v3
	v_mul_lo_u32 v4, v3, s8
	v_add_nc_u32_e32 v5, 1, v3
	s_delay_alu instid0(VALU_DEP_2) | instskip(NEXT) | instid1(VALU_DEP_1)
	v_sub_nc_u32_e32 v4, v0, v4
	v_subrev_nc_u32_e32 v6, s8, v4
	v_cmp_le_u32_e32 vcc_lo, s8, v4
	s_wait_alu 0xfffd
	s_delay_alu instid0(VALU_DEP_2) | instskip(NEXT) | instid1(VALU_DEP_1)
	v_dual_cndmask_b32 v4, v4, v6 :: v_dual_cndmask_b32 v3, v3, v5
	v_cmp_le_u32_e32 vcc_lo, s8, v4
	s_delay_alu instid0(VALU_DEP_2) | instskip(SKIP_1) | instid1(VALU_DEP_1)
	v_add_nc_u32_e32 v5, 1, v3
	s_wait_alu 0xfffd
	v_cndmask_b32_e32 v6, v3, v5, vcc_lo
.LBB90_7:                               ;   in Loop: Header=BB90_3 Depth=1
	s_wait_alu 0xfffe
	s_or_b32 exec_lo, exec_lo, s0
	v_or_b32_e32 v3, s13, v7
                                        ; implicit-def: $vgpr8_vgpr9
	s_mov_b32 s0, exec_lo
	s_delay_alu instid0(VALU_DEP_1)
	v_cmpx_ne_u64_e32 0, v[2:3]
	s_wait_alu 0xfffe
	s_xor_b32 s1, exec_lo, s0
	s_cbranch_execz .LBB90_9
; %bb.8:                                ;   in Loop: Header=BB90_3 Depth=1
	s_ashr_i32 s2, s13, 31
	v_ashrrev_i32_e32 v5, 31, v7
	s_wait_alu 0xfffe
	s_mov_b32 s3, s2
	s_wait_alu 0xfffe
	s_add_nc_u64 s[38:39], s[12:13], s[2:3]
	v_add_co_u32 v3, vcc_lo, v6, v5
	s_wait_alu 0xfffe
	s_xor_b64 s[38:39], s[38:39], s[2:3]
	s_wait_alu 0xfffd
	v_add_co_ci_u32_e64 v4, null, v7, v5, vcc_lo
	s_wait_alu 0xfffe
	s_cvt_f32_u32 s0, s38
	s_cvt_f32_u32 s3, s39
	s_sub_nc_u64 s[42:43], 0, s[38:39]
	v_xor_b32_e32 v12, v3, v5
	v_xor_b32_e32 v13, v4, v5
	s_wait_alu 0xfffe
	s_fmamk_f32 s0, s3, 0x4f800000, s0
	v_xor_b32_e32 v5, s2, v5
	s_wait_alu 0xfffe
	s_delay_alu instid0(SALU_CYCLE_1) | instskip(NEXT) | instid1(TRANS32_DEP_1)
	v_s_rcp_f32 s0, s0
	s_mul_f32 s0, s0, 0x5f7ffffc
	s_wait_alu 0xfffe
	s_delay_alu instid0(SALU_CYCLE_2) | instskip(SKIP_1) | instid1(SALU_CYCLE_2)
	s_mul_f32 s3, s0, 0x2f800000
	s_wait_alu 0xfffe
	s_trunc_f32 s3, s3
	s_wait_alu 0xfffe
	s_delay_alu instid0(SALU_CYCLE_2) | instskip(SKIP_2) | instid1(SALU_CYCLE_1)
	s_fmamk_f32 s0, s3, 0xcf800000, s0
	s_cvt_u32_f32 s41, s3
	s_wait_alu 0xfffe
	s_cvt_u32_f32 s40, s0
	s_delay_alu instid0(SALU_CYCLE_3)
	s_mul_u64 s[44:45], s[42:43], s[40:41]
	s_wait_alu 0xfffe
	s_mul_hi_u32 s47, s40, s45
	s_mul_i32 s46, s40, s45
	s_mul_hi_u32 s14, s40, s44
	s_mul_i32 s3, s41, s44
	s_wait_alu 0xfffe
	s_add_nc_u64 s[46:47], s[14:15], s[46:47]
	s_mul_hi_u32 s0, s41, s44
	s_mul_hi_u32 s37, s41, s45
	s_wait_alu 0xfffe
	s_add_co_u32 s3, s46, s3
	s_add_co_ci_u32 s14, s47, s0
	s_mul_i32 s44, s41, s45
	s_add_co_ci_u32 s45, s37, 0
	s_wait_alu 0xfffe
	s_add_nc_u64 s[44:45], s[14:15], s[44:45]
	s_wait_alu 0xfffe
	s_add_co_u32 s40, s40, s44
	s_cselect_b32 s0, -1, 0
	s_wait_alu 0xfffe
	s_cmp_lg_u32 s0, 0
	s_add_co_ci_u32 s41, s41, s45
	s_delay_alu instid0(SALU_CYCLE_1) | instskip(NEXT) | instid1(SALU_CYCLE_1)
	s_mul_u64 s[42:43], s[42:43], s[40:41]
	s_mul_hi_u32 s45, s40, s43
	s_mul_i32 s44, s40, s43
	s_mul_hi_u32 s14, s40, s42
	s_mul_i32 s3, s41, s42
	s_wait_alu 0xfffe
	s_add_nc_u64 s[44:45], s[14:15], s[44:45]
	s_mul_hi_u32 s0, s41, s42
	s_mul_hi_u32 s37, s41, s43
	s_wait_alu 0xfffe
	s_add_co_u32 s3, s44, s3
	s_add_co_ci_u32 s14, s45, s0
	s_mul_i32 s42, s41, s43
	s_add_co_ci_u32 s43, s37, 0
	s_wait_alu 0xfffe
	s_add_nc_u64 s[42:43], s[14:15], s[42:43]
	s_delay_alu instid0(SALU_CYCLE_1)
	s_add_co_u32 s0, s40, s42
	s_cselect_b32 s3, -1, 0
	s_wait_alu 0xfffe
	v_mul_hi_u32 v14, v12, s0
	s_cmp_lg_u32 s3, 0
	v_mad_co_u64_u32 v[8:9], null, v13, s0, 0
	s_add_co_ci_u32 s3, s41, s43
	s_wait_alu 0xfffe
	v_mad_co_u64_u32 v[3:4], null, v12, s3, 0
	v_mad_co_u64_u32 v[10:11], null, v13, s3, 0
	s_delay_alu instid0(VALU_DEP_2) | instskip(SKIP_1) | instid1(VALU_DEP_3)
	v_add_co_u32 v3, vcc_lo, v14, v3
	s_wait_alu 0xfffd
	v_add_co_ci_u32_e64 v4, null, 0, v4, vcc_lo
	s_delay_alu instid0(VALU_DEP_2) | instskip(SKIP_1) | instid1(VALU_DEP_2)
	v_add_co_u32 v3, vcc_lo, v3, v8
	s_wait_alu 0xfffd
	v_add_co_ci_u32_e32 v3, vcc_lo, v4, v9, vcc_lo
	s_wait_alu 0xfffd
	v_add_co_ci_u32_e32 v4, vcc_lo, 0, v11, vcc_lo
	s_delay_alu instid0(VALU_DEP_2) | instskip(SKIP_1) | instid1(VALU_DEP_2)
	v_add_co_u32 v8, vcc_lo, v3, v10
	s_wait_alu 0xfffd
	v_add_co_ci_u32_e64 v9, null, 0, v4, vcc_lo
	s_delay_alu instid0(VALU_DEP_2) | instskip(SKIP_1) | instid1(VALU_DEP_3)
	v_mul_lo_u32 v10, s39, v8
	v_mad_co_u64_u32 v[3:4], null, s38, v8, 0
	v_mul_lo_u32 v11, s38, v9
	s_delay_alu instid0(VALU_DEP_2) | instskip(NEXT) | instid1(VALU_DEP_2)
	v_sub_co_u32 v3, vcc_lo, v12, v3
	v_add3_u32 v4, v4, v11, v10
	v_add_co_u32 v11, s0, v8, 2
	s_wait_alu 0xf1ff
	v_add_co_ci_u32_e64 v12, null, 0, v9, s0
	s_delay_alu instid0(VALU_DEP_3) | instskip(SKIP_3) | instid1(VALU_DEP_3)
	v_sub_nc_u32_e32 v10, v13, v4
	v_sub_co_u32 v14, s0, v3, s38
	s_wait_alu 0xfffd
	v_sub_co_ci_u32_e64 v4, null, v13, v4, vcc_lo
	v_subrev_co_ci_u32_e64 v10, null, s39, v10, vcc_lo
	s_delay_alu instid0(VALU_DEP_3) | instskip(SKIP_1) | instid1(VALU_DEP_2)
	v_cmp_le_u32_e32 vcc_lo, s38, v14
	s_wait_alu 0xf1ff
	v_subrev_co_ci_u32_e64 v10, null, 0, v10, s0
	s_wait_alu 0xfffd
	v_cndmask_b32_e64 v13, 0, -1, vcc_lo
	s_delay_alu instid0(VALU_DEP_2)
	v_cmp_le_u32_e32 vcc_lo, s39, v10
	s_wait_alu 0xfffd
	v_cndmask_b32_e64 v14, 0, -1, vcc_lo
	v_cmp_le_u32_e32 vcc_lo, s38, v3
	s_wait_alu 0xfffd
	v_cndmask_b32_e64 v3, 0, -1, vcc_lo
	;; [unrolled: 3-line block ×3, first 2 shown]
	v_cmp_eq_u32_e32 vcc_lo, s39, v10
	s_wait_alu 0xfffd
	v_cndmask_b32_e32 v10, v14, v13, vcc_lo
	v_add_co_u32 v13, vcc_lo, v8, 1
	s_wait_alu 0xfffd
	v_add_co_ci_u32_e64 v14, null, 0, v9, vcc_lo
	v_cmp_eq_u32_e32 vcc_lo, s39, v4
	s_wait_alu 0xfffd
	v_cndmask_b32_e32 v3, v15, v3, vcc_lo
	v_cmp_ne_u32_e32 vcc_lo, 0, v10
	s_delay_alu instid0(VALU_DEP_2) | instskip(SKIP_3) | instid1(VALU_DEP_1)
	v_cmp_ne_u32_e64 s0, 0, v3
	s_wait_alu 0xfffd
	v_dual_cndmask_b32 v4, v14, v12 :: v_dual_cndmask_b32 v3, v13, v11
	s_wait_alu 0xf1ff
	v_cndmask_b32_e64 v4, v9, v4, s0
	s_delay_alu instid0(VALU_DEP_2) | instskip(NEXT) | instid1(VALU_DEP_2)
	v_cndmask_b32_e64 v3, v8, v3, s0
	v_xor_b32_e32 v4, v4, v5
	s_delay_alu instid0(VALU_DEP_2) | instskip(NEXT) | instid1(VALU_DEP_1)
	v_xor_b32_e32 v3, v3, v5
	v_sub_co_u32 v8, vcc_lo, v3, v5
	s_wait_alu 0xfffd
	s_delay_alu instid0(VALU_DEP_3)
	v_sub_co_ci_u32_e64 v9, null, v4, v5, vcc_lo
.LBB90_9:                               ;   in Loop: Header=BB90_3 Depth=1
	s_wait_alu 0xfffe
	s_and_not1_saveexec_b32 s0, s1
	s_cbranch_execz .LBB90_11
; %bb.10:                               ;   in Loop: Header=BB90_3 Depth=1
	s_sub_co_i32 s1, 0, s12
	v_mov_b32_e32 v9, v2
	s_wait_alu 0xfffe
	v_mul_lo_u32 v3, s1, v19
	s_delay_alu instid0(VALU_DEP_1) | instskip(NEXT) | instid1(VALU_DEP_1)
	v_mul_hi_u32 v3, v19, v3
	v_add_nc_u32_e32 v3, v19, v3
	s_delay_alu instid0(VALU_DEP_1) | instskip(NEXT) | instid1(VALU_DEP_1)
	v_mul_hi_u32 v3, v6, v3
	v_mul_lo_u32 v4, v3, s12
	v_add_nc_u32_e32 v5, 1, v3
	s_delay_alu instid0(VALU_DEP_2) | instskip(NEXT) | instid1(VALU_DEP_1)
	v_sub_nc_u32_e32 v4, v6, v4
	v_subrev_nc_u32_e32 v8, s12, v4
	v_cmp_le_u32_e32 vcc_lo, s12, v4
	s_wait_alu 0xfffd
	s_delay_alu instid0(VALU_DEP_2) | instskip(NEXT) | instid1(VALU_DEP_1)
	v_dual_cndmask_b32 v4, v4, v8 :: v_dual_cndmask_b32 v3, v3, v5
	v_cmp_le_u32_e32 vcc_lo, s12, v4
	s_delay_alu instid0(VALU_DEP_2) | instskip(SKIP_1) | instid1(VALU_DEP_1)
	v_add_nc_u32_e32 v5, 1, v3
	s_wait_alu 0xfffd
	v_cndmask_b32_e32 v8, v3, v5, vcc_lo
.LBB90_11:                              ;   in Loop: Header=BB90_3 Depth=1
	s_wait_alu 0xfffe
	s_or_b32 exec_lo, exec_lo, s0
	v_mul_lo_u32 v5, v7, s8
	v_mul_lo_u32 v12, v6, s9
	v_mad_co_u64_u32 v[3:4], null, v6, s8, 0
	v_mul_lo_u32 v13, v9, s12
	v_mul_lo_u32 v14, v8, s13
	v_mad_co_u64_u32 v[10:11], null, v8, s12, 0
	s_mov_b32 s37, exec_lo
	v_add3_u32 v5, v4, v12, v5
	v_sub_co_u32 v4, vcc_lo, v0, v3
	v_add3_u32 v11, v11, v14, v13
	s_wait_alu 0xfffd
	s_delay_alu instid0(VALU_DEP_3) | instskip(SKIP_3) | instid1(VALU_DEP_2)
	v_sub_co_ci_u32_e64 v5, null, v1, v5, vcc_lo
	v_sub_co_u32 v20, vcc_lo, v6, v10
	s_wait_alu 0xfffd
	v_sub_co_ci_u32_e64 v21, null, v7, v11, vcc_lo
	v_sub_co_u32 v6, vcc_lo, v4, v20
	s_wait_alu 0xfffd
	s_delay_alu instid0(VALU_DEP_2) | instskip(NEXT) | instid1(VALU_DEP_1)
	v_sub_co_ci_u32_e64 v7, null, v5, v21, vcc_lo
	v_cmpx_gt_i64_e64 s[4:5], v[6:7]
	s_cbranch_execz .LBB90_2
; %bb.12:                               ;   in Loop: Header=BB90_3 Depth=1
	s_load_b128 s[0:3], s[22:23], 0xc0
	s_and_not1_b32 vcc_lo, exec_lo, s33
	s_wait_kmcnt 0x0
	v_mul_lo_u32 v3, s3, v4
	v_mul_lo_u32 v10, s2, v5
	v_mad_co_u64_u32 v[6:7], null, s2, v4, 0
	s_delay_alu instid0(VALU_DEP_1) | instskip(SKIP_2) | instid1(VALU_DEP_3)
	v_add3_u32 v7, v7, v10, v3
	v_mul_lo_u32 v3, s0, v21
	v_mul_lo_u32 v10, s1, v20
	v_mad_co_u64_u32 v[6:7], null, s0, v20, v[6:7]
	s_delay_alu instid0(VALU_DEP_1)
	v_add3_u32 v7, v10, v7, v3
	s_wait_alu 0xfffe
	s_cbranch_vccnz .LBB90_38
; %bb.13:                               ;   in Loop: Header=BB90_3 Depth=1
	s_mov_b64 s[38:39], s[26:27]
	s_mov_b64 s[40:41], s[30:31]
	s_and_not1_b32 vcc_lo, exec_lo, s63
	s_mov_b64 s[44:45], s[28:29]
	s_mov_b64 s[42:43], s[20:21]
	s_wait_alu 0xfffe
	s_cbranch_vccz .LBB90_17
.LBB90_14:                              ;   in Loop: Header=BB90_3 Depth=1
	s_and_not1_b32 vcc_lo, exec_lo, s64
	s_wait_alu 0xfffe
	s_cbranch_vccnz .LBB90_38
; %bb.15:                               ;   in Loop: Header=BB90_3 Depth=1
	s_lshl_b64 s[0:1], s[42:43], 3
	s_add_nc_u64 s[42:43], s[42:43], 1
	s_wait_alu 0xfffe
	s_add_nc_u64 s[38:39], s[16:17], s[0:1]
	s_add_nc_u64 s[40:41], s[34:35], s[0:1]
	s_branch .LBB90_22
.LBB90_16:                              ;   in Loop: Header=BB90_17 Depth=2
	s_wait_alu 0xfffe
	s_or_b32 exec_lo, exec_lo, s0
	s_load_b64 s[0:1], s[44:45], 0x0
	v_mul_lo_u32 v3, v11, s46
	v_mul_lo_u32 v14, v10, s47
	v_mad_co_u64_u32 v[12:13], null, v10, s46, 0
	s_add_nc_u64 s[38:39], s[38:39], -1
	s_add_nc_u64 s[42:43], s[42:43], -1
	;; [unrolled: 1-line block ×3, first 2 shown]
	s_wait_alu 0xfffe
	s_cmp_lg_u64 s[38:39], 0
	s_add_nc_u64 s[40:41], s[40:41], -8
	v_add3_u32 v3, v13, v14, v3
	v_sub_co_u32 v8, vcc_lo, v8, v12
	s_wait_alu 0xfffd
	s_delay_alu instid0(VALU_DEP_2) | instskip(SKIP_1) | instid1(VALU_DEP_2)
	v_sub_co_ci_u32_e64 v3, null, v9, v3, vcc_lo
	s_wait_kmcnt 0x0
	v_mul_lo_u32 v9, s1, v8
	s_delay_alu instid0(VALU_DEP_2) | instskip(SKIP_1) | instid1(VALU_DEP_1)
	v_mul_lo_u32 v3, s0, v3
	v_mad_co_u64_u32 v[6:7], null, s0, v8, v[6:7]
	v_add3_u32 v7, v9, v7, v3
	v_dual_mov_b32 v8, v10 :: v_dual_mov_b32 v9, v11
	s_cbranch_scc0 .LBB90_14
.LBB90_17:                              ;   Parent Loop BB90_3 Depth=1
                                        ; =>  This Inner Loop Header: Depth=2
	s_load_b64 s[46:47], s[40:41], 0x0
                                        ; implicit-def: $vgpr10_vgpr11
	s_mov_b32 s0, exec_lo
	s_wait_kmcnt 0x0
	v_or_b32_e32 v3, s47, v9
	s_delay_alu instid0(VALU_DEP_1)
	v_cmpx_ne_u64_e32 0, v[2:3]
	s_wait_alu 0xfffe
	s_xor_b32 s1, exec_lo, s0
	s_cbranch_execz .LBB90_19
; %bb.18:                               ;   in Loop: Header=BB90_17 Depth=2
	s_ashr_i32 s48, s47, 31
	v_ashrrev_i32_e32 v3, 31, v9
	s_wait_alu 0xfffe
	s_mov_b32 s49, s48
	s_wait_alu 0xfffe
	s_add_nc_u64 s[50:51], s[46:47], s[48:49]
	v_add_co_u32 v10, vcc_lo, v8, v3
	s_wait_alu 0xfffe
	s_xor_b64 s[50:51], s[50:51], s[48:49]
	s_wait_alu 0xfffd
	v_add_co_ci_u32_e64 v11, null, v9, v3, vcc_lo
	s_wait_alu 0xfffe
	s_cvt_f32_u32 s0, s50
	s_cvt_f32_u32 s14, s51
	s_sub_nc_u64 s[54:55], 0, s[50:51]
	v_xor_b32_e32 v16, v10, v3
	v_xor_b32_e32 v17, v11, v3
	s_wait_alu 0xfffe
	s_fmamk_f32 s0, s14, 0x4f800000, s0
	v_xor_b32_e32 v3, s48, v3
	s_wait_alu 0xfffe
	s_delay_alu instid0(SALU_CYCLE_1) | instskip(NEXT) | instid1(TRANS32_DEP_1)
	v_s_rcp_f32 s0, s0
	s_mul_f32 s0, s0, 0x5f7ffffc
	s_wait_alu 0xfffe
	s_delay_alu instid0(SALU_CYCLE_2) | instskip(SKIP_1) | instid1(SALU_CYCLE_2)
	s_mul_f32 s14, s0, 0x2f800000
	s_wait_alu 0xfffe
	s_trunc_f32 s14, s14
	s_wait_alu 0xfffe
	s_delay_alu instid0(SALU_CYCLE_2) | instskip(SKIP_2) | instid1(SALU_CYCLE_1)
	s_fmamk_f32 s0, s14, 0xcf800000, s0
	s_cvt_u32_f32 s53, s14
	s_wait_alu 0xfffe
	s_cvt_u32_f32 s52, s0
	s_wait_alu 0xfffe
	s_delay_alu instid0(SALU_CYCLE_2)
	s_mul_u64 s[56:57], s[54:55], s[52:53]
	s_wait_alu 0xfffe
	s_mul_hi_u32 s59, s52, s57
	s_mul_i32 s58, s52, s57
	s_mul_hi_u32 s14, s52, s56
	s_mul_i32 s49, s53, s56
	s_wait_alu 0xfffe
	s_add_nc_u64 s[58:59], s[14:15], s[58:59]
	s_mul_hi_u32 s0, s53, s56
	s_mul_hi_u32 s60, s53, s57
	s_wait_alu 0xfffe
	s_add_co_u32 s14, s58, s49
	s_add_co_ci_u32 s14, s59, s0
	s_mul_i32 s56, s53, s57
	s_add_co_ci_u32 s57, s60, 0
	s_wait_alu 0xfffe
	s_add_nc_u64 s[56:57], s[14:15], s[56:57]
	s_wait_alu 0xfffe
	s_add_co_u32 s52, s52, s56
	s_cselect_b32 s0, -1, 0
	s_wait_alu 0xfffe
	s_cmp_lg_u32 s0, 0
	s_add_co_ci_u32 s53, s53, s57
	s_wait_alu 0xfffe
	s_mul_u64 s[54:55], s[54:55], s[52:53]
	s_wait_alu 0xfffe
	s_mul_hi_u32 s57, s52, s55
	s_mul_i32 s56, s52, s55
	s_mul_hi_u32 s14, s52, s54
	s_mul_i32 s49, s53, s54
	s_wait_alu 0xfffe
	s_add_nc_u64 s[56:57], s[14:15], s[56:57]
	s_mul_hi_u32 s0, s53, s54
	s_mul_hi_u32 s58, s53, s55
	s_wait_alu 0xfffe
	s_add_co_u32 s14, s56, s49
	s_add_co_ci_u32 s14, s57, s0
	s_mul_i32 s54, s53, s55
	s_add_co_ci_u32 s55, s58, 0
	s_wait_alu 0xfffe
	s_add_nc_u64 s[54:55], s[14:15], s[54:55]
	s_wait_alu 0xfffe
	s_add_co_u32 s0, s52, s54
	s_cselect_b32 s14, -1, 0
	s_wait_alu 0xfffe
	v_mul_hi_u32 v22, v16, s0
	s_cmp_lg_u32 s14, 0
	v_mad_co_u64_u32 v[12:13], null, v17, s0, 0
	s_add_co_ci_u32 s14, s53, s55
	s_wait_alu 0xfffe
	v_mad_co_u64_u32 v[10:11], null, v16, s14, 0
	v_mad_co_u64_u32 v[14:15], null, v17, s14, 0
	s_delay_alu instid0(VALU_DEP_2) | instskip(SKIP_1) | instid1(VALU_DEP_3)
	v_add_co_u32 v10, vcc_lo, v22, v10
	s_wait_alu 0xfffd
	v_add_co_ci_u32_e64 v11, null, 0, v11, vcc_lo
	s_delay_alu instid0(VALU_DEP_2) | instskip(SKIP_1) | instid1(VALU_DEP_2)
	v_add_co_u32 v10, vcc_lo, v10, v12
	s_wait_alu 0xfffd
	v_add_co_ci_u32_e32 v10, vcc_lo, v11, v13, vcc_lo
	s_wait_alu 0xfffd
	v_add_co_ci_u32_e32 v11, vcc_lo, 0, v15, vcc_lo
	s_delay_alu instid0(VALU_DEP_2) | instskip(SKIP_1) | instid1(VALU_DEP_2)
	v_add_co_u32 v12, vcc_lo, v10, v14
	s_wait_alu 0xfffd
	v_add_co_ci_u32_e64 v13, null, 0, v11, vcc_lo
	s_delay_alu instid0(VALU_DEP_2) | instskip(SKIP_1) | instid1(VALU_DEP_3)
	v_mul_lo_u32 v14, s51, v12
	v_mad_co_u64_u32 v[10:11], null, s50, v12, 0
	v_mul_lo_u32 v15, s50, v13
	s_delay_alu instid0(VALU_DEP_2) | instskip(NEXT) | instid1(VALU_DEP_2)
	v_sub_co_u32 v10, vcc_lo, v16, v10
	v_add3_u32 v11, v11, v15, v14
	v_add_co_u32 v15, s0, v12, 2
	s_wait_alu 0xf1ff
	v_add_co_ci_u32_e64 v16, null, 0, v13, s0
	s_delay_alu instid0(VALU_DEP_3) | instskip(SKIP_3) | instid1(VALU_DEP_3)
	v_sub_nc_u32_e32 v14, v17, v11
	v_sub_co_u32 v22, s0, v10, s50
	s_wait_alu 0xfffd
	v_sub_co_ci_u32_e64 v11, null, v17, v11, vcc_lo
	v_subrev_co_ci_u32_e64 v14, null, s51, v14, vcc_lo
	s_delay_alu instid0(VALU_DEP_3) | instskip(SKIP_1) | instid1(VALU_DEP_2)
	v_cmp_le_u32_e32 vcc_lo, s50, v22
	s_wait_alu 0xf1ff
	v_subrev_co_ci_u32_e64 v14, null, 0, v14, s0
	s_wait_alu 0xfffd
	v_cndmask_b32_e64 v17, 0, -1, vcc_lo
	s_delay_alu instid0(VALU_DEP_2)
	v_cmp_le_u32_e32 vcc_lo, s51, v14
	s_wait_alu 0xfffd
	v_cndmask_b32_e64 v22, 0, -1, vcc_lo
	v_cmp_le_u32_e32 vcc_lo, s50, v10
	s_wait_alu 0xfffd
	v_cndmask_b32_e64 v10, 0, -1, vcc_lo
	;; [unrolled: 3-line block ×3, first 2 shown]
	v_cmp_eq_u32_e32 vcc_lo, s51, v14
	s_wait_alu 0xfffd
	v_cndmask_b32_e32 v14, v22, v17, vcc_lo
	v_add_co_u32 v17, vcc_lo, v12, 1
	s_wait_alu 0xfffd
	v_add_co_ci_u32_e64 v22, null, 0, v13, vcc_lo
	v_cmp_eq_u32_e32 vcc_lo, s51, v11
	s_wait_alu 0xfffd
	v_cndmask_b32_e32 v10, v23, v10, vcc_lo
	v_cmp_ne_u32_e32 vcc_lo, 0, v14
	s_wait_alu 0xfffd
	v_cndmask_b32_e32 v11, v22, v16, vcc_lo
	s_delay_alu instid0(VALU_DEP_3) | instskip(SKIP_2) | instid1(VALU_DEP_2)
	v_cmp_ne_u32_e64 s0, 0, v10
	v_cndmask_b32_e32 v10, v17, v15, vcc_lo
	s_wait_alu 0xf1ff
	v_cndmask_b32_e64 v11, v13, v11, s0
	s_delay_alu instid0(VALU_DEP_2) | instskip(NEXT) | instid1(VALU_DEP_2)
	v_cndmask_b32_e64 v10, v12, v10, s0
	v_xor_b32_e32 v11, v11, v3
	s_delay_alu instid0(VALU_DEP_2) | instskip(NEXT) | instid1(VALU_DEP_1)
	v_xor_b32_e32 v10, v10, v3
	v_sub_co_u32 v10, vcc_lo, v10, v3
	s_wait_alu 0xfffd
	s_delay_alu instid0(VALU_DEP_3)
	v_sub_co_ci_u32_e64 v11, null, v11, v3, vcc_lo
.LBB90_19:                              ;   in Loop: Header=BB90_17 Depth=2
	s_wait_alu 0xfffe
	s_and_not1_saveexec_b32 s0, s1
	s_cbranch_execz .LBB90_16
; %bb.20:                               ;   in Loop: Header=BB90_17 Depth=2
	v_cvt_f32_u32_e32 v3, s46
	s_sub_co_i32 s1, 0, s46
	s_delay_alu instid0(VALU_DEP_1) | instskip(NEXT) | instid1(TRANS32_DEP_1)
	v_rcp_iflag_f32_e32 v3, v3
	v_mul_f32_e32 v3, 0x4f7ffffe, v3
	s_delay_alu instid0(VALU_DEP_1) | instskip(SKIP_1) | instid1(VALU_DEP_1)
	v_cvt_u32_f32_e32 v3, v3
	s_wait_alu 0xfffe
	v_mul_lo_u32 v10, s1, v3
	s_delay_alu instid0(VALU_DEP_1) | instskip(NEXT) | instid1(VALU_DEP_1)
	v_mul_hi_u32 v10, v3, v10
	v_add_nc_u32_e32 v3, v3, v10
	s_delay_alu instid0(VALU_DEP_1) | instskip(NEXT) | instid1(VALU_DEP_1)
	v_mul_hi_u32 v3, v8, v3
	v_mul_lo_u32 v10, v3, s46
	v_add_nc_u32_e32 v11, 1, v3
	s_delay_alu instid0(VALU_DEP_2) | instskip(NEXT) | instid1(VALU_DEP_1)
	v_sub_nc_u32_e32 v10, v8, v10
	v_subrev_nc_u32_e32 v12, s46, v10
	v_cmp_le_u32_e32 vcc_lo, s46, v10
	s_wait_alu 0xfffd
	s_delay_alu instid0(VALU_DEP_2) | instskip(NEXT) | instid1(VALU_DEP_1)
	v_dual_cndmask_b32 v10, v10, v12 :: v_dual_cndmask_b32 v3, v3, v11
	v_cmp_le_u32_e32 vcc_lo, s46, v10
	s_delay_alu instid0(VALU_DEP_2) | instskip(SKIP_1) | instid1(VALU_DEP_1)
	v_add_nc_u32_e32 v11, 1, v3
	s_wait_alu 0xfffd
	v_dual_cndmask_b32 v10, v3, v11 :: v_dual_mov_b32 v11, v2
	s_branch .LBB90_16
.LBB90_21:                              ;   in Loop: Header=BB90_22 Depth=2
	s_wait_alu 0xfffe
	s_or_b32 exec_lo, exec_lo, s0
	v_mul_lo_u32 v3, v11, s44
	v_mul_lo_u32 v26, v10, s45
	v_mad_co_u64_u32 v[22:23], null, v10, s44, 0
	v_mul_lo_u32 v27, v13, s48
	v_mul_lo_u32 v28, v12, s49
	v_mad_co_u64_u32 v[24:25], null, v12, s48, 0
	s_load_b64 s[0:1], s[38:39], 0x0
	s_add_nc_u64 s[42:43], s[42:43], -4
	v_add3_u32 v3, v23, v26, v3
	v_sub_co_u32 v8, vcc_lo, v8, v22
	v_mul_lo_u32 v22, v15, s52
	v_add3_u32 v23, v25, v28, v27
	s_wait_alu 0xfffd
	v_sub_co_ci_u32_e64 v3, null, v9, v3, vcc_lo
	v_mul_lo_u32 v25, s47, v8
	v_mad_co_u64_u32 v[6:7], null, s46, v8, v[6:7]
	s_delay_alu instid0(VALU_DEP_3)
	v_mul_lo_u32 v3, s46, v3
	v_mul_lo_u32 v26, v14, s53
	v_mad_co_u64_u32 v[8:9], null, v14, s52, 0
	v_sub_co_u32 v10, vcc_lo, v10, v24
	s_wait_alu 0xfffd
	v_sub_co_ci_u32_e64 v11, null, v11, v23, vcc_lo
	v_add3_u32 v7, v25, v7, v3
	s_add_nc_u64 s[38:39], s[38:39], s[18:19]
	s_delay_alu instid0(VALU_DEP_4)
	v_add3_u32 v3, v9, v26, v22
	v_mul_lo_u32 v22, s51, v10
	v_mul_lo_u32 v11, s50, v11
	v_mad_co_u64_u32 v[6:7], null, s50, v10, v[6:7]
	v_sub_co_u32 v10, vcc_lo, v12, v8
	s_wait_alu 0xfffd
	v_sub_co_ci_u32_e64 v3, null, v13, v3, vcc_lo
	v_mul_lo_u32 v12, v17, s56
	v_mul_lo_u32 v13, v16, s57
	v_mad_co_u64_u32 v[8:9], null, v16, s56, 0
	v_add3_u32 v7, v22, v7, v11
	v_mul_lo_u32 v3, s54, v3
	s_cmp_eq_u64 s[42:43], 0
	s_add_nc_u64 s[40:41], s[40:41], s[18:19]
	s_delay_alu instid0(VALU_DEP_2) | instskip(SKIP_4) | instid1(VALU_DEP_2)
	v_mad_co_u64_u32 v[6:7], null, s54, v10, v[6:7]
	v_mul_lo_u32 v10, s55, v10
	v_add3_u32 v9, v9, v13, v12
	v_sub_co_u32 v8, vcc_lo, v14, v8
	s_wait_alu 0xfffd
	v_sub_co_ci_u32_e64 v9, null, v15, v9, vcc_lo
	s_delay_alu instid0(VALU_DEP_4) | instskip(SKIP_1) | instid1(VALU_DEP_2)
	v_add3_u32 v7, v10, v7, v3
	s_wait_kmcnt 0x0
	v_mul_lo_u32 v3, s0, v9
	v_mul_lo_u32 v9, s1, v8
	s_delay_alu instid0(VALU_DEP_3) | instskip(NEXT) | instid1(VALU_DEP_1)
	v_mad_co_u64_u32 v[6:7], null, s0, v8, v[6:7]
	v_add3_u32 v7, v9, v7, v3
	v_dual_mov_b32 v8, v16 :: v_dual_mov_b32 v9, v17
	s_cbranch_scc1 .LBB90_38
.LBB90_22:                              ;   Parent Loop BB90_3 Depth=1
                                        ; =>  This Inner Loop Header: Depth=2
	s_load_b64 s[44:45], s[40:41], 0x18
                                        ; implicit-def: $vgpr10_vgpr11
	s_mov_b32 s0, exec_lo
	s_wait_kmcnt 0x0
	v_or_b32_e32 v3, s45, v9
	s_delay_alu instid0(VALU_DEP_1)
	v_cmpx_ne_u64_e32 0, v[2:3]
	s_wait_alu 0xfffe
	s_xor_b32 s1, exec_lo, s0
	s_cbranch_execz .LBB90_24
; %bb.23:                               ;   in Loop: Header=BB90_22 Depth=2
	s_ashr_i32 s46, s45, 31
	v_ashrrev_i32_e32 v3, 31, v9
	s_wait_alu 0xfffe
	s_mov_b32 s47, s46
	s_wait_alu 0xfffe
	s_add_nc_u64 s[48:49], s[44:45], s[46:47]
	v_add_co_u32 v10, vcc_lo, v8, v3
	s_wait_alu 0xfffe
	s_xor_b64 s[48:49], s[48:49], s[46:47]
	s_wait_alu 0xfffd
	v_add_co_ci_u32_e64 v11, null, v9, v3, vcc_lo
	s_wait_alu 0xfffe
	s_cvt_f32_u32 s0, s48
	s_cvt_f32_u32 s14, s49
	s_sub_nc_u64 s[52:53], 0, s[48:49]
	v_xor_b32_e32 v16, v10, v3
	v_xor_b32_e32 v17, v11, v3
	s_wait_alu 0xfffe
	s_fmamk_f32 s0, s14, 0x4f800000, s0
	v_xor_b32_e32 v3, s46, v3
	s_wait_alu 0xfffe
	s_delay_alu instid0(SALU_CYCLE_1) | instskip(NEXT) | instid1(TRANS32_DEP_1)
	v_s_rcp_f32 s0, s0
	s_mul_f32 s0, s0, 0x5f7ffffc
	s_wait_alu 0xfffe
	s_delay_alu instid0(SALU_CYCLE_2) | instskip(SKIP_1) | instid1(SALU_CYCLE_2)
	s_mul_f32 s14, s0, 0x2f800000
	s_wait_alu 0xfffe
	s_trunc_f32 s14, s14
	s_wait_alu 0xfffe
	s_delay_alu instid0(SALU_CYCLE_2) | instskip(SKIP_2) | instid1(SALU_CYCLE_1)
	s_fmamk_f32 s0, s14, 0xcf800000, s0
	s_cvt_u32_f32 s51, s14
	s_wait_alu 0xfffe
	s_cvt_u32_f32 s50, s0
	s_wait_alu 0xfffe
	s_delay_alu instid0(SALU_CYCLE_2)
	s_mul_u64 s[54:55], s[52:53], s[50:51]
	s_wait_alu 0xfffe
	s_mul_hi_u32 s57, s50, s55
	s_mul_i32 s56, s50, s55
	s_mul_hi_u32 s14, s50, s54
	s_mul_i32 s47, s51, s54
	s_wait_alu 0xfffe
	s_add_nc_u64 s[56:57], s[14:15], s[56:57]
	s_mul_hi_u32 s0, s51, s54
	s_mul_hi_u32 s58, s51, s55
	s_wait_alu 0xfffe
	s_add_co_u32 s14, s56, s47
	s_add_co_ci_u32 s14, s57, s0
	s_mul_i32 s54, s51, s55
	s_add_co_ci_u32 s55, s58, 0
	s_wait_alu 0xfffe
	s_add_nc_u64 s[54:55], s[14:15], s[54:55]
	s_wait_alu 0xfffe
	s_add_co_u32 s50, s50, s54
	s_cselect_b32 s0, -1, 0
	s_wait_alu 0xfffe
	s_cmp_lg_u32 s0, 0
	s_add_co_ci_u32 s51, s51, s55
	s_wait_alu 0xfffe
	s_mul_u64 s[52:53], s[52:53], s[50:51]
	s_wait_alu 0xfffe
	s_mul_hi_u32 s55, s50, s53
	s_mul_i32 s54, s50, s53
	s_mul_hi_u32 s14, s50, s52
	s_mul_i32 s47, s51, s52
	s_wait_alu 0xfffe
	s_add_nc_u64 s[54:55], s[14:15], s[54:55]
	s_mul_hi_u32 s0, s51, s52
	s_mul_hi_u32 s56, s51, s53
	s_wait_alu 0xfffe
	s_add_co_u32 s14, s54, s47
	s_add_co_ci_u32 s14, s55, s0
	s_mul_i32 s52, s51, s53
	s_add_co_ci_u32 s53, s56, 0
	s_wait_alu 0xfffe
	s_add_nc_u64 s[52:53], s[14:15], s[52:53]
	s_wait_alu 0xfffe
	s_add_co_u32 s0, s50, s52
	s_cselect_b32 s14, -1, 0
	s_wait_alu 0xfffe
	v_mul_hi_u32 v22, v16, s0
	s_cmp_lg_u32 s14, 0
	v_mad_co_u64_u32 v[12:13], null, v17, s0, 0
	s_add_co_ci_u32 s14, s51, s53
	s_wait_alu 0xfffe
	v_mad_co_u64_u32 v[10:11], null, v16, s14, 0
	v_mad_co_u64_u32 v[14:15], null, v17, s14, 0
	s_delay_alu instid0(VALU_DEP_2) | instskip(SKIP_1) | instid1(VALU_DEP_3)
	v_add_co_u32 v10, vcc_lo, v22, v10
	s_wait_alu 0xfffd
	v_add_co_ci_u32_e64 v11, null, 0, v11, vcc_lo
	s_delay_alu instid0(VALU_DEP_2) | instskip(SKIP_1) | instid1(VALU_DEP_2)
	v_add_co_u32 v10, vcc_lo, v10, v12
	s_wait_alu 0xfffd
	v_add_co_ci_u32_e32 v10, vcc_lo, v11, v13, vcc_lo
	s_wait_alu 0xfffd
	v_add_co_ci_u32_e32 v11, vcc_lo, 0, v15, vcc_lo
	s_delay_alu instid0(VALU_DEP_2) | instskip(SKIP_1) | instid1(VALU_DEP_2)
	v_add_co_u32 v12, vcc_lo, v10, v14
	s_wait_alu 0xfffd
	v_add_co_ci_u32_e64 v13, null, 0, v11, vcc_lo
	s_delay_alu instid0(VALU_DEP_2) | instskip(SKIP_1) | instid1(VALU_DEP_3)
	v_mul_lo_u32 v14, s49, v12
	v_mad_co_u64_u32 v[10:11], null, s48, v12, 0
	v_mul_lo_u32 v15, s48, v13
	s_delay_alu instid0(VALU_DEP_2) | instskip(NEXT) | instid1(VALU_DEP_2)
	v_sub_co_u32 v10, vcc_lo, v16, v10
	v_add3_u32 v11, v11, v15, v14
	v_add_co_u32 v15, s0, v12, 2
	s_wait_alu 0xf1ff
	v_add_co_ci_u32_e64 v16, null, 0, v13, s0
	s_delay_alu instid0(VALU_DEP_3) | instskip(SKIP_3) | instid1(VALU_DEP_3)
	v_sub_nc_u32_e32 v14, v17, v11
	v_sub_co_u32 v22, s0, v10, s48
	s_wait_alu 0xfffd
	v_sub_co_ci_u32_e64 v11, null, v17, v11, vcc_lo
	v_subrev_co_ci_u32_e64 v14, null, s49, v14, vcc_lo
	s_delay_alu instid0(VALU_DEP_3) | instskip(SKIP_1) | instid1(VALU_DEP_2)
	v_cmp_le_u32_e32 vcc_lo, s48, v22
	s_wait_alu 0xf1ff
	v_subrev_co_ci_u32_e64 v14, null, 0, v14, s0
	s_wait_alu 0xfffd
	v_cndmask_b32_e64 v17, 0, -1, vcc_lo
	s_delay_alu instid0(VALU_DEP_2)
	v_cmp_le_u32_e32 vcc_lo, s49, v14
	s_wait_alu 0xfffd
	v_cndmask_b32_e64 v22, 0, -1, vcc_lo
	v_cmp_le_u32_e32 vcc_lo, s48, v10
	s_wait_alu 0xfffd
	v_cndmask_b32_e64 v10, 0, -1, vcc_lo
	;; [unrolled: 3-line block ×3, first 2 shown]
	v_cmp_eq_u32_e32 vcc_lo, s49, v14
	s_wait_alu 0xfffd
	v_cndmask_b32_e32 v14, v22, v17, vcc_lo
	v_add_co_u32 v17, vcc_lo, v12, 1
	s_wait_alu 0xfffd
	v_add_co_ci_u32_e64 v22, null, 0, v13, vcc_lo
	v_cmp_eq_u32_e32 vcc_lo, s49, v11
	s_wait_alu 0xfffd
	v_cndmask_b32_e32 v10, v23, v10, vcc_lo
	v_cmp_ne_u32_e32 vcc_lo, 0, v14
	s_wait_alu 0xfffd
	v_cndmask_b32_e32 v11, v22, v16, vcc_lo
	s_delay_alu instid0(VALU_DEP_3) | instskip(SKIP_2) | instid1(VALU_DEP_2)
	v_cmp_ne_u32_e64 s0, 0, v10
	v_cndmask_b32_e32 v10, v17, v15, vcc_lo
	s_wait_alu 0xf1ff
	v_cndmask_b32_e64 v11, v13, v11, s0
	s_delay_alu instid0(VALU_DEP_2) | instskip(NEXT) | instid1(VALU_DEP_2)
	v_cndmask_b32_e64 v10, v12, v10, s0
	v_xor_b32_e32 v11, v11, v3
	s_delay_alu instid0(VALU_DEP_2) | instskip(NEXT) | instid1(VALU_DEP_1)
	v_xor_b32_e32 v10, v10, v3
	v_sub_co_u32 v10, vcc_lo, v10, v3
	s_wait_alu 0xfffd
	s_delay_alu instid0(VALU_DEP_3)
	v_sub_co_ci_u32_e64 v11, null, v11, v3, vcc_lo
.LBB90_24:                              ;   in Loop: Header=BB90_22 Depth=2
	s_wait_alu 0xfffe
	s_and_not1_saveexec_b32 s0, s1
	s_cbranch_execz .LBB90_26
; %bb.25:                               ;   in Loop: Header=BB90_22 Depth=2
	v_cvt_f32_u32_e32 v3, s44
	s_sub_co_i32 s1, 0, s44
	s_delay_alu instid0(VALU_DEP_1) | instskip(NEXT) | instid1(TRANS32_DEP_1)
	v_rcp_iflag_f32_e32 v3, v3
	v_mul_f32_e32 v3, 0x4f7ffffe, v3
	s_delay_alu instid0(VALU_DEP_1) | instskip(SKIP_1) | instid1(VALU_DEP_1)
	v_cvt_u32_f32_e32 v3, v3
	s_wait_alu 0xfffe
	v_mul_lo_u32 v10, s1, v3
	s_delay_alu instid0(VALU_DEP_1) | instskip(NEXT) | instid1(VALU_DEP_1)
	v_mul_hi_u32 v10, v3, v10
	v_add_nc_u32_e32 v3, v3, v10
	s_delay_alu instid0(VALU_DEP_1) | instskip(NEXT) | instid1(VALU_DEP_1)
	v_mul_hi_u32 v3, v8, v3
	v_mul_lo_u32 v10, v3, s44
	v_add_nc_u32_e32 v11, 1, v3
	s_delay_alu instid0(VALU_DEP_2) | instskip(NEXT) | instid1(VALU_DEP_1)
	v_sub_nc_u32_e32 v10, v8, v10
	v_subrev_nc_u32_e32 v12, s44, v10
	v_cmp_le_u32_e32 vcc_lo, s44, v10
	s_wait_alu 0xfffd
	s_delay_alu instid0(VALU_DEP_2) | instskip(NEXT) | instid1(VALU_DEP_1)
	v_dual_cndmask_b32 v10, v10, v12 :: v_dual_cndmask_b32 v3, v3, v11
	v_cmp_le_u32_e32 vcc_lo, s44, v10
	s_delay_alu instid0(VALU_DEP_2) | instskip(SKIP_1) | instid1(VALU_DEP_1)
	v_add_nc_u32_e32 v11, 1, v3
	s_wait_alu 0xfffd
	v_dual_cndmask_b32 v10, v3, v11 :: v_dual_mov_b32 v11, v2
.LBB90_26:                              ;   in Loop: Header=BB90_22 Depth=2
	s_wait_alu 0xfffe
	s_or_b32 exec_lo, exec_lo, s0
	s_load_b64 s[48:49], s[40:41], 0x10
	s_load_b64 s[46:47], s[38:39], 0x18
                                        ; implicit-def: $vgpr12_vgpr13
	s_mov_b32 s0, exec_lo
	s_wait_kmcnt 0x0
	v_or_b32_e32 v3, s49, v11
	s_delay_alu instid0(VALU_DEP_1)
	v_cmpx_ne_u64_e32 0, v[2:3]
	s_wait_alu 0xfffe
	s_xor_b32 s1, exec_lo, s0
	s_cbranch_execz .LBB90_28
; %bb.27:                               ;   in Loop: Header=BB90_22 Depth=2
	s_ashr_i32 s50, s49, 31
	v_ashrrev_i32_e32 v3, 31, v11
	s_wait_alu 0xfffe
	s_mov_b32 s51, s50
	s_wait_alu 0xfffe
	s_add_nc_u64 s[52:53], s[48:49], s[50:51]
	v_add_co_u32 v12, vcc_lo, v10, v3
	s_wait_alu 0xfffe
	s_xor_b64 s[52:53], s[52:53], s[50:51]
	s_wait_alu 0xfffd
	v_add_co_ci_u32_e64 v13, null, v11, v3, vcc_lo
	s_wait_alu 0xfffe
	s_cvt_f32_u32 s0, s52
	s_cvt_f32_u32 s14, s53
	s_sub_nc_u64 s[56:57], 0, s[52:53]
	v_xor_b32_e32 v22, v12, v3
	v_xor_b32_e32 v23, v13, v3
	s_wait_alu 0xfffe
	s_fmamk_f32 s0, s14, 0x4f800000, s0
	v_xor_b32_e32 v3, s50, v3
	s_wait_alu 0xfffe
	s_delay_alu instid0(SALU_CYCLE_1) | instskip(NEXT) | instid1(TRANS32_DEP_1)
	v_s_rcp_f32 s0, s0
	s_mul_f32 s0, s0, 0x5f7ffffc
	s_wait_alu 0xfffe
	s_delay_alu instid0(SALU_CYCLE_2) | instskip(SKIP_1) | instid1(SALU_CYCLE_2)
	s_mul_f32 s14, s0, 0x2f800000
	s_wait_alu 0xfffe
	s_trunc_f32 s14, s14
	s_wait_alu 0xfffe
	s_delay_alu instid0(SALU_CYCLE_2) | instskip(SKIP_2) | instid1(SALU_CYCLE_1)
	s_fmamk_f32 s0, s14, 0xcf800000, s0
	s_cvt_u32_f32 s55, s14
	s_wait_alu 0xfffe
	s_cvt_u32_f32 s54, s0
	s_wait_alu 0xfffe
	s_delay_alu instid0(SALU_CYCLE_2)
	s_mul_u64 s[58:59], s[56:57], s[54:55]
	s_wait_alu 0xfffe
	s_mul_hi_u32 s61, s54, s59
	s_mul_i32 s60, s54, s59
	s_mul_hi_u32 s14, s54, s58
	s_mul_i32 s51, s55, s58
	s_wait_alu 0xfffe
	s_add_nc_u64 s[60:61], s[14:15], s[60:61]
	s_mul_hi_u32 s0, s55, s58
	s_mul_hi_u32 s66, s55, s59
	s_wait_alu 0xfffe
	s_add_co_u32 s14, s60, s51
	s_add_co_ci_u32 s14, s61, s0
	s_mul_i32 s58, s55, s59
	s_add_co_ci_u32 s59, s66, 0
	s_wait_alu 0xfffe
	s_add_nc_u64 s[58:59], s[14:15], s[58:59]
	s_wait_alu 0xfffe
	s_add_co_u32 s54, s54, s58
	s_cselect_b32 s0, -1, 0
	s_wait_alu 0xfffe
	s_cmp_lg_u32 s0, 0
	s_add_co_ci_u32 s55, s55, s59
	s_wait_alu 0xfffe
	s_mul_u64 s[56:57], s[56:57], s[54:55]
	s_wait_alu 0xfffe
	s_mul_hi_u32 s59, s54, s57
	s_mul_i32 s58, s54, s57
	s_mul_hi_u32 s14, s54, s56
	s_mul_i32 s51, s55, s56
	s_wait_alu 0xfffe
	s_add_nc_u64 s[58:59], s[14:15], s[58:59]
	s_mul_hi_u32 s0, s55, s56
	s_mul_hi_u32 s60, s55, s57
	s_wait_alu 0xfffe
	s_add_co_u32 s14, s58, s51
	s_add_co_ci_u32 s14, s59, s0
	s_mul_i32 s56, s55, s57
	s_add_co_ci_u32 s57, s60, 0
	s_wait_alu 0xfffe
	s_add_nc_u64 s[56:57], s[14:15], s[56:57]
	s_wait_alu 0xfffe
	s_add_co_u32 s0, s54, s56
	s_cselect_b32 s14, -1, 0
	s_wait_alu 0xfffe
	v_mul_hi_u32 v24, v22, s0
	s_cmp_lg_u32 s14, 0
	v_mad_co_u64_u32 v[14:15], null, v23, s0, 0
	s_add_co_ci_u32 s14, s55, s57
	s_wait_alu 0xfffe
	v_mad_co_u64_u32 v[12:13], null, v22, s14, 0
	v_mad_co_u64_u32 v[16:17], null, v23, s14, 0
	s_delay_alu instid0(VALU_DEP_2) | instskip(SKIP_1) | instid1(VALU_DEP_3)
	v_add_co_u32 v12, vcc_lo, v24, v12
	s_wait_alu 0xfffd
	v_add_co_ci_u32_e64 v13, null, 0, v13, vcc_lo
	s_delay_alu instid0(VALU_DEP_2) | instskip(SKIP_1) | instid1(VALU_DEP_2)
	v_add_co_u32 v12, vcc_lo, v12, v14
	s_wait_alu 0xfffd
	v_add_co_ci_u32_e32 v12, vcc_lo, v13, v15, vcc_lo
	s_wait_alu 0xfffd
	v_add_co_ci_u32_e32 v13, vcc_lo, 0, v17, vcc_lo
	s_delay_alu instid0(VALU_DEP_2) | instskip(SKIP_1) | instid1(VALU_DEP_2)
	v_add_co_u32 v14, vcc_lo, v12, v16
	s_wait_alu 0xfffd
	v_add_co_ci_u32_e64 v15, null, 0, v13, vcc_lo
	s_delay_alu instid0(VALU_DEP_2) | instskip(SKIP_1) | instid1(VALU_DEP_3)
	v_mul_lo_u32 v16, s53, v14
	v_mad_co_u64_u32 v[12:13], null, s52, v14, 0
	v_mul_lo_u32 v17, s52, v15
	s_delay_alu instid0(VALU_DEP_2) | instskip(NEXT) | instid1(VALU_DEP_2)
	v_sub_co_u32 v12, vcc_lo, v22, v12
	v_add3_u32 v13, v13, v17, v16
	v_add_co_u32 v17, s0, v14, 2
	s_wait_alu 0xf1ff
	v_add_co_ci_u32_e64 v22, null, 0, v15, s0
	s_delay_alu instid0(VALU_DEP_3) | instskip(SKIP_3) | instid1(VALU_DEP_3)
	v_sub_nc_u32_e32 v16, v23, v13
	v_sub_co_u32 v24, s0, v12, s52
	s_wait_alu 0xfffd
	v_sub_co_ci_u32_e64 v13, null, v23, v13, vcc_lo
	v_subrev_co_ci_u32_e64 v16, null, s53, v16, vcc_lo
	s_delay_alu instid0(VALU_DEP_3) | instskip(SKIP_1) | instid1(VALU_DEP_2)
	v_cmp_le_u32_e32 vcc_lo, s52, v24
	s_wait_alu 0xf1ff
	v_subrev_co_ci_u32_e64 v16, null, 0, v16, s0
	s_wait_alu 0xfffd
	v_cndmask_b32_e64 v23, 0, -1, vcc_lo
	s_delay_alu instid0(VALU_DEP_2)
	v_cmp_le_u32_e32 vcc_lo, s53, v16
	s_wait_alu 0xfffd
	v_cndmask_b32_e64 v24, 0, -1, vcc_lo
	v_cmp_le_u32_e32 vcc_lo, s52, v12
	s_wait_alu 0xfffd
	v_cndmask_b32_e64 v12, 0, -1, vcc_lo
	;; [unrolled: 3-line block ×3, first 2 shown]
	v_cmp_eq_u32_e32 vcc_lo, s53, v16
	s_wait_alu 0xfffd
	v_cndmask_b32_e32 v16, v24, v23, vcc_lo
	v_add_co_u32 v23, vcc_lo, v14, 1
	s_wait_alu 0xfffd
	v_add_co_ci_u32_e64 v24, null, 0, v15, vcc_lo
	v_cmp_eq_u32_e32 vcc_lo, s53, v13
	s_wait_alu 0xfffd
	v_cndmask_b32_e32 v12, v25, v12, vcc_lo
	v_cmp_ne_u32_e32 vcc_lo, 0, v16
	s_wait_alu 0xfffd
	v_cndmask_b32_e32 v13, v24, v22, vcc_lo
	s_delay_alu instid0(VALU_DEP_3) | instskip(SKIP_2) | instid1(VALU_DEP_2)
	v_cmp_ne_u32_e64 s0, 0, v12
	v_cndmask_b32_e32 v12, v23, v17, vcc_lo
	s_wait_alu 0xf1ff
	v_cndmask_b32_e64 v13, v15, v13, s0
	s_delay_alu instid0(VALU_DEP_2) | instskip(NEXT) | instid1(VALU_DEP_2)
	v_cndmask_b32_e64 v12, v14, v12, s0
	v_xor_b32_e32 v13, v13, v3
	s_delay_alu instid0(VALU_DEP_2) | instskip(NEXT) | instid1(VALU_DEP_1)
	v_xor_b32_e32 v12, v12, v3
	v_sub_co_u32 v12, vcc_lo, v12, v3
	s_wait_alu 0xfffd
	s_delay_alu instid0(VALU_DEP_3)
	v_sub_co_ci_u32_e64 v13, null, v13, v3, vcc_lo
.LBB90_28:                              ;   in Loop: Header=BB90_22 Depth=2
	s_wait_alu 0xfffe
	s_and_not1_saveexec_b32 s0, s1
	s_cbranch_execz .LBB90_30
; %bb.29:                               ;   in Loop: Header=BB90_22 Depth=2
	v_cvt_f32_u32_e32 v3, s48
	s_sub_co_i32 s1, 0, s48
	s_delay_alu instid0(VALU_DEP_1) | instskip(NEXT) | instid1(TRANS32_DEP_1)
	v_rcp_iflag_f32_e32 v3, v3
	v_mul_f32_e32 v3, 0x4f7ffffe, v3
	s_delay_alu instid0(VALU_DEP_1) | instskip(SKIP_1) | instid1(VALU_DEP_1)
	v_cvt_u32_f32_e32 v3, v3
	s_wait_alu 0xfffe
	v_mul_lo_u32 v12, s1, v3
	s_delay_alu instid0(VALU_DEP_1) | instskip(NEXT) | instid1(VALU_DEP_1)
	v_mul_hi_u32 v12, v3, v12
	v_add_nc_u32_e32 v3, v3, v12
	s_delay_alu instid0(VALU_DEP_1) | instskip(NEXT) | instid1(VALU_DEP_1)
	v_mul_hi_u32 v3, v10, v3
	v_mul_lo_u32 v12, v3, s48
	v_add_nc_u32_e32 v13, 1, v3
	s_delay_alu instid0(VALU_DEP_2) | instskip(NEXT) | instid1(VALU_DEP_1)
	v_sub_nc_u32_e32 v12, v10, v12
	v_subrev_nc_u32_e32 v14, s48, v12
	v_cmp_le_u32_e32 vcc_lo, s48, v12
	s_wait_alu 0xfffd
	s_delay_alu instid0(VALU_DEP_2) | instskip(NEXT) | instid1(VALU_DEP_1)
	v_dual_cndmask_b32 v12, v12, v14 :: v_dual_cndmask_b32 v3, v3, v13
	v_cmp_le_u32_e32 vcc_lo, s48, v12
	s_delay_alu instid0(VALU_DEP_2) | instskip(SKIP_1) | instid1(VALU_DEP_1)
	v_add_nc_u32_e32 v13, 1, v3
	s_wait_alu 0xfffd
	v_dual_cndmask_b32 v12, v3, v13 :: v_dual_mov_b32 v13, v2
.LBB90_30:                              ;   in Loop: Header=BB90_22 Depth=2
	s_wait_alu 0xfffe
	s_or_b32 exec_lo, exec_lo, s0
	s_load_b64 s[52:53], s[40:41], 0x8
	s_load_b64 s[50:51], s[38:39], 0x10
                                        ; implicit-def: $vgpr14_vgpr15
	s_mov_b32 s0, exec_lo
	s_wait_kmcnt 0x0
	v_or_b32_e32 v3, s53, v13
	s_delay_alu instid0(VALU_DEP_1)
	v_cmpx_ne_u64_e32 0, v[2:3]
	s_wait_alu 0xfffe
	s_xor_b32 s1, exec_lo, s0
	s_cbranch_execz .LBB90_32
; %bb.31:                               ;   in Loop: Header=BB90_22 Depth=2
	s_ashr_i32 s54, s53, 31
	v_ashrrev_i32_e32 v3, 31, v13
	s_wait_alu 0xfffe
	s_mov_b32 s55, s54
	s_wait_alu 0xfffe
	s_add_nc_u64 s[56:57], s[52:53], s[54:55]
	v_add_co_u32 v14, vcc_lo, v12, v3
	s_wait_alu 0xfffe
	s_xor_b64 s[56:57], s[56:57], s[54:55]
	s_wait_alu 0xfffd
	v_add_co_ci_u32_e64 v15, null, v13, v3, vcc_lo
	s_wait_alu 0xfffe
	s_cvt_f32_u32 s0, s56
	s_cvt_f32_u32 s14, s57
	s_sub_nc_u64 s[60:61], 0, s[56:57]
	v_xor_b32_e32 v24, v14, v3
	v_xor_b32_e32 v25, v15, v3
	s_wait_alu 0xfffe
	s_fmamk_f32 s0, s14, 0x4f800000, s0
	v_xor_b32_e32 v3, s54, v3
	s_wait_alu 0xfffe
	s_delay_alu instid0(SALU_CYCLE_1) | instskip(NEXT) | instid1(TRANS32_DEP_1)
	v_s_rcp_f32 s0, s0
	s_mul_f32 s0, s0, 0x5f7ffffc
	s_wait_alu 0xfffe
	s_delay_alu instid0(SALU_CYCLE_2) | instskip(SKIP_1) | instid1(SALU_CYCLE_2)
	s_mul_f32 s14, s0, 0x2f800000
	s_wait_alu 0xfffe
	s_trunc_f32 s14, s14
	s_wait_alu 0xfffe
	s_delay_alu instid0(SALU_CYCLE_2) | instskip(SKIP_2) | instid1(SALU_CYCLE_1)
	s_fmamk_f32 s0, s14, 0xcf800000, s0
	s_cvt_u32_f32 s59, s14
	s_wait_alu 0xfffe
	s_cvt_u32_f32 s58, s0
	s_wait_alu 0xfffe
	s_delay_alu instid0(SALU_CYCLE_2) | instskip(NEXT) | instid1(SALU_CYCLE_1)
	s_mul_u64 s[66:67], s[60:61], s[58:59]
	s_mul_hi_u32 s69, s58, s67
	s_mul_i32 s68, s58, s67
	s_mul_hi_u32 s14, s58, s66
	s_mul_i32 s55, s59, s66
	s_wait_alu 0xfffe
	s_add_nc_u64 s[68:69], s[14:15], s[68:69]
	s_mul_hi_u32 s0, s59, s66
	s_mul_hi_u32 s70, s59, s67
	s_add_co_u32 s14, s68, s55
	s_wait_alu 0xfffe
	s_add_co_ci_u32 s14, s69, s0
	s_mul_i32 s66, s59, s67
	s_add_co_ci_u32 s67, s70, 0
	s_wait_alu 0xfffe
	s_add_nc_u64 s[66:67], s[14:15], s[66:67]
	s_delay_alu instid0(SALU_CYCLE_1)
	s_add_co_u32 s58, s58, s66
	s_cselect_b32 s0, -1, 0
	s_wait_alu 0xfffe
	s_cmp_lg_u32 s0, 0
	s_add_co_ci_u32 s59, s59, s67
	s_wait_alu 0xfffe
	s_mul_u64 s[60:61], s[60:61], s[58:59]
	s_wait_alu 0xfffe
	s_mul_hi_u32 s67, s58, s61
	s_mul_i32 s66, s58, s61
	s_mul_hi_u32 s14, s58, s60
	s_mul_i32 s55, s59, s60
	s_wait_alu 0xfffe
	s_add_nc_u64 s[66:67], s[14:15], s[66:67]
	s_mul_hi_u32 s0, s59, s60
	s_mul_hi_u32 s68, s59, s61
	s_add_co_u32 s14, s66, s55
	s_wait_alu 0xfffe
	s_add_co_ci_u32 s14, s67, s0
	s_mul_i32 s60, s59, s61
	s_add_co_ci_u32 s61, s68, 0
	s_wait_alu 0xfffe
	s_add_nc_u64 s[60:61], s[14:15], s[60:61]
	s_wait_alu 0xfffe
	s_add_co_u32 s0, s58, s60
	s_cselect_b32 s14, -1, 0
	s_wait_alu 0xfffe
	v_mul_hi_u32 v26, v24, s0
	s_cmp_lg_u32 s14, 0
	v_mad_co_u64_u32 v[16:17], null, v25, s0, 0
	s_add_co_ci_u32 s14, s59, s61
	s_wait_alu 0xfffe
	v_mad_co_u64_u32 v[14:15], null, v24, s14, 0
	v_mad_co_u64_u32 v[22:23], null, v25, s14, 0
	s_delay_alu instid0(VALU_DEP_2) | instskip(SKIP_1) | instid1(VALU_DEP_3)
	v_add_co_u32 v14, vcc_lo, v26, v14
	s_wait_alu 0xfffd
	v_add_co_ci_u32_e64 v15, null, 0, v15, vcc_lo
	s_delay_alu instid0(VALU_DEP_2) | instskip(SKIP_1) | instid1(VALU_DEP_2)
	v_add_co_u32 v14, vcc_lo, v14, v16
	s_wait_alu 0xfffd
	v_add_co_ci_u32_e32 v14, vcc_lo, v15, v17, vcc_lo
	s_wait_alu 0xfffd
	v_add_co_ci_u32_e32 v15, vcc_lo, 0, v23, vcc_lo
	s_delay_alu instid0(VALU_DEP_2) | instskip(SKIP_1) | instid1(VALU_DEP_2)
	v_add_co_u32 v16, vcc_lo, v14, v22
	s_wait_alu 0xfffd
	v_add_co_ci_u32_e64 v17, null, 0, v15, vcc_lo
	s_delay_alu instid0(VALU_DEP_2) | instskip(SKIP_1) | instid1(VALU_DEP_3)
	v_mul_lo_u32 v22, s57, v16
	v_mad_co_u64_u32 v[14:15], null, s56, v16, 0
	v_mul_lo_u32 v23, s56, v17
	s_delay_alu instid0(VALU_DEP_2) | instskip(NEXT) | instid1(VALU_DEP_2)
	v_sub_co_u32 v14, vcc_lo, v24, v14
	v_add3_u32 v15, v15, v23, v22
	v_add_co_u32 v23, s0, v16, 2
	s_wait_alu 0xf1ff
	v_add_co_ci_u32_e64 v24, null, 0, v17, s0
	s_delay_alu instid0(VALU_DEP_3) | instskip(SKIP_3) | instid1(VALU_DEP_3)
	v_sub_nc_u32_e32 v22, v25, v15
	v_sub_co_u32 v26, s0, v14, s56
	s_wait_alu 0xfffd
	v_sub_co_ci_u32_e64 v15, null, v25, v15, vcc_lo
	v_subrev_co_ci_u32_e64 v22, null, s57, v22, vcc_lo
	s_delay_alu instid0(VALU_DEP_3) | instskip(SKIP_1) | instid1(VALU_DEP_2)
	v_cmp_le_u32_e32 vcc_lo, s56, v26
	s_wait_alu 0xf1ff
	v_subrev_co_ci_u32_e64 v22, null, 0, v22, s0
	s_wait_alu 0xfffd
	v_cndmask_b32_e64 v25, 0, -1, vcc_lo
	s_delay_alu instid0(VALU_DEP_2)
	v_cmp_le_u32_e32 vcc_lo, s57, v22
	s_wait_alu 0xfffd
	v_cndmask_b32_e64 v26, 0, -1, vcc_lo
	v_cmp_le_u32_e32 vcc_lo, s56, v14
	s_wait_alu 0xfffd
	v_cndmask_b32_e64 v14, 0, -1, vcc_lo
	;; [unrolled: 3-line block ×3, first 2 shown]
	v_cmp_eq_u32_e32 vcc_lo, s57, v22
	s_wait_alu 0xfffd
	v_cndmask_b32_e32 v22, v26, v25, vcc_lo
	v_add_co_u32 v25, vcc_lo, v16, 1
	s_wait_alu 0xfffd
	v_add_co_ci_u32_e64 v26, null, 0, v17, vcc_lo
	v_cmp_eq_u32_e32 vcc_lo, s57, v15
	s_wait_alu 0xfffd
	v_cndmask_b32_e32 v14, v27, v14, vcc_lo
	v_cmp_ne_u32_e32 vcc_lo, 0, v22
	s_wait_alu 0xfffd
	v_cndmask_b32_e32 v15, v26, v24, vcc_lo
	s_delay_alu instid0(VALU_DEP_3) | instskip(SKIP_2) | instid1(VALU_DEP_2)
	v_cmp_ne_u32_e64 s0, 0, v14
	v_cndmask_b32_e32 v14, v25, v23, vcc_lo
	s_wait_alu 0xf1ff
	v_cndmask_b32_e64 v15, v17, v15, s0
	s_delay_alu instid0(VALU_DEP_2) | instskip(NEXT) | instid1(VALU_DEP_2)
	v_cndmask_b32_e64 v14, v16, v14, s0
	v_xor_b32_e32 v15, v15, v3
	s_delay_alu instid0(VALU_DEP_2) | instskip(NEXT) | instid1(VALU_DEP_1)
	v_xor_b32_e32 v14, v14, v3
	v_sub_co_u32 v14, vcc_lo, v14, v3
	s_wait_alu 0xfffd
	s_delay_alu instid0(VALU_DEP_3)
	v_sub_co_ci_u32_e64 v15, null, v15, v3, vcc_lo
.LBB90_32:                              ;   in Loop: Header=BB90_22 Depth=2
	s_wait_alu 0xfffe
	s_and_not1_saveexec_b32 s0, s1
	s_cbranch_execz .LBB90_34
; %bb.33:                               ;   in Loop: Header=BB90_22 Depth=2
	v_cvt_f32_u32_e32 v3, s52
	s_sub_co_i32 s1, 0, s52
	s_delay_alu instid0(VALU_DEP_1) | instskip(NEXT) | instid1(TRANS32_DEP_1)
	v_rcp_iflag_f32_e32 v3, v3
	v_mul_f32_e32 v3, 0x4f7ffffe, v3
	s_delay_alu instid0(VALU_DEP_1) | instskip(SKIP_1) | instid1(VALU_DEP_1)
	v_cvt_u32_f32_e32 v3, v3
	s_wait_alu 0xfffe
	v_mul_lo_u32 v14, s1, v3
	s_delay_alu instid0(VALU_DEP_1) | instskip(NEXT) | instid1(VALU_DEP_1)
	v_mul_hi_u32 v14, v3, v14
	v_add_nc_u32_e32 v3, v3, v14
	s_delay_alu instid0(VALU_DEP_1) | instskip(NEXT) | instid1(VALU_DEP_1)
	v_mul_hi_u32 v3, v12, v3
	v_mul_lo_u32 v14, v3, s52
	v_add_nc_u32_e32 v15, 1, v3
	s_delay_alu instid0(VALU_DEP_2) | instskip(NEXT) | instid1(VALU_DEP_1)
	v_sub_nc_u32_e32 v14, v12, v14
	v_subrev_nc_u32_e32 v16, s52, v14
	v_cmp_le_u32_e32 vcc_lo, s52, v14
	s_wait_alu 0xfffd
	s_delay_alu instid0(VALU_DEP_2) | instskip(NEXT) | instid1(VALU_DEP_1)
	v_dual_cndmask_b32 v14, v14, v16 :: v_dual_cndmask_b32 v3, v3, v15
	v_cmp_le_u32_e32 vcc_lo, s52, v14
	s_delay_alu instid0(VALU_DEP_2) | instskip(SKIP_1) | instid1(VALU_DEP_1)
	v_add_nc_u32_e32 v15, 1, v3
	s_wait_alu 0xfffd
	v_dual_cndmask_b32 v14, v3, v15 :: v_dual_mov_b32 v15, v2
.LBB90_34:                              ;   in Loop: Header=BB90_22 Depth=2
	s_wait_alu 0xfffe
	s_or_b32 exec_lo, exec_lo, s0
	s_load_b64 s[56:57], s[40:41], 0x0
	s_load_b64 s[54:55], s[38:39], 0x8
                                        ; implicit-def: $vgpr16_vgpr17
	s_mov_b32 s0, exec_lo
	s_wait_kmcnt 0x0
	v_or_b32_e32 v3, s57, v15
	s_delay_alu instid0(VALU_DEP_1)
	v_cmpx_ne_u64_e32 0, v[2:3]
	s_wait_alu 0xfffe
	s_xor_b32 s1, exec_lo, s0
	s_cbranch_execz .LBB90_36
; %bb.35:                               ;   in Loop: Header=BB90_22 Depth=2
	s_ashr_i32 s58, s57, 31
	v_ashrrev_i32_e32 v3, 31, v15
	s_wait_alu 0xfffe
	s_mov_b32 s59, s58
	s_wait_alu 0xfffe
	s_add_nc_u64 s[60:61], s[56:57], s[58:59]
	v_add_co_u32 v16, vcc_lo, v14, v3
	s_wait_alu 0xfffe
	s_xor_b64 s[60:61], s[60:61], s[58:59]
	s_wait_alu 0xfffd
	v_add_co_ci_u32_e64 v17, null, v15, v3, vcc_lo
	s_wait_alu 0xfffe
	s_cvt_f32_u32 s0, s60
	s_cvt_f32_u32 s14, s61
	s_sub_nc_u64 s[68:69], 0, s[60:61]
	v_xor_b32_e32 v26, v16, v3
	v_xor_b32_e32 v27, v17, v3
	s_wait_alu 0xfffe
	s_fmamk_f32 s0, s14, 0x4f800000, s0
	v_xor_b32_e32 v3, s58, v3
	s_wait_alu 0xfffe
	s_delay_alu instid0(SALU_CYCLE_1) | instskip(NEXT) | instid1(TRANS32_DEP_1)
	v_s_rcp_f32 s0, s0
	s_mul_f32 s0, s0, 0x5f7ffffc
	s_wait_alu 0xfffe
	s_delay_alu instid0(SALU_CYCLE_2) | instskip(SKIP_1) | instid1(SALU_CYCLE_2)
	s_mul_f32 s14, s0, 0x2f800000
	s_wait_alu 0xfffe
	s_trunc_f32 s14, s14
	s_wait_alu 0xfffe
	s_delay_alu instid0(SALU_CYCLE_2) | instskip(SKIP_2) | instid1(SALU_CYCLE_1)
	s_fmamk_f32 s0, s14, 0xcf800000, s0
	s_cvt_u32_f32 s67, s14
	s_wait_alu 0xfffe
	s_cvt_u32_f32 s66, s0
	s_delay_alu instid0(SALU_CYCLE_3) | instskip(NEXT) | instid1(SALU_CYCLE_1)
	s_mul_u64 s[70:71], s[68:69], s[66:67]
	s_mul_hi_u32 s73, s66, s71
	s_mul_i32 s72, s66, s71
	s_mul_hi_u32 s14, s66, s70
	s_mul_i32 s59, s67, s70
	s_wait_alu 0xfffe
	s_add_nc_u64 s[72:73], s[14:15], s[72:73]
	s_mul_hi_u32 s0, s67, s70
	s_mul_hi_u32 s74, s67, s71
	s_add_co_u32 s14, s72, s59
	s_wait_alu 0xfffe
	s_add_co_ci_u32 s14, s73, s0
	s_mul_i32 s70, s67, s71
	s_add_co_ci_u32 s71, s74, 0
	s_wait_alu 0xfffe
	s_add_nc_u64 s[70:71], s[14:15], s[70:71]
	s_delay_alu instid0(SALU_CYCLE_1) | instskip(SKIP_4) | instid1(SALU_CYCLE_1)
	s_add_co_u32 s66, s66, s70
	s_cselect_b32 s0, -1, 0
	s_wait_alu 0xfffe
	s_cmp_lg_u32 s0, 0
	s_add_co_ci_u32 s67, s67, s71
	s_mul_u64 s[68:69], s[68:69], s[66:67]
	s_delay_alu instid0(SALU_CYCLE_1)
	s_mul_hi_u32 s71, s66, s69
	s_mul_i32 s70, s66, s69
	s_mul_hi_u32 s14, s66, s68
	s_mul_i32 s59, s67, s68
	s_wait_alu 0xfffe
	s_add_nc_u64 s[70:71], s[14:15], s[70:71]
	s_mul_hi_u32 s0, s67, s68
	s_mul_hi_u32 s72, s67, s69
	s_add_co_u32 s14, s70, s59
	s_wait_alu 0xfffe
	s_add_co_ci_u32 s14, s71, s0
	s_mul_i32 s68, s67, s69
	s_add_co_ci_u32 s69, s72, 0
	s_wait_alu 0xfffe
	s_add_nc_u64 s[68:69], s[14:15], s[68:69]
	s_delay_alu instid0(SALU_CYCLE_1)
	s_add_co_u32 s0, s66, s68
	s_cselect_b32 s14, -1, 0
	s_wait_alu 0xfffe
	v_mul_hi_u32 v28, v26, s0
	s_cmp_lg_u32 s14, 0
	v_mad_co_u64_u32 v[22:23], null, v27, s0, 0
	s_add_co_ci_u32 s14, s67, s69
	s_wait_alu 0xfffe
	v_mad_co_u64_u32 v[16:17], null, v26, s14, 0
	v_mad_co_u64_u32 v[24:25], null, v27, s14, 0
	s_delay_alu instid0(VALU_DEP_2) | instskip(SKIP_1) | instid1(VALU_DEP_3)
	v_add_co_u32 v16, vcc_lo, v28, v16
	s_wait_alu 0xfffd
	v_add_co_ci_u32_e64 v17, null, 0, v17, vcc_lo
	s_delay_alu instid0(VALU_DEP_2) | instskip(SKIP_1) | instid1(VALU_DEP_2)
	v_add_co_u32 v16, vcc_lo, v16, v22
	s_wait_alu 0xfffd
	v_add_co_ci_u32_e32 v16, vcc_lo, v17, v23, vcc_lo
	s_wait_alu 0xfffd
	v_add_co_ci_u32_e32 v17, vcc_lo, 0, v25, vcc_lo
	s_delay_alu instid0(VALU_DEP_2) | instskip(SKIP_1) | instid1(VALU_DEP_2)
	v_add_co_u32 v22, vcc_lo, v16, v24
	s_wait_alu 0xfffd
	v_add_co_ci_u32_e64 v23, null, 0, v17, vcc_lo
	s_delay_alu instid0(VALU_DEP_2) | instskip(SKIP_1) | instid1(VALU_DEP_3)
	v_mul_lo_u32 v24, s61, v22
	v_mad_co_u64_u32 v[16:17], null, s60, v22, 0
	v_mul_lo_u32 v25, s60, v23
	s_delay_alu instid0(VALU_DEP_2) | instskip(NEXT) | instid1(VALU_DEP_2)
	v_sub_co_u32 v16, vcc_lo, v26, v16
	v_add3_u32 v17, v17, v25, v24
	v_add_co_u32 v25, s0, v22, 2
	s_wait_alu 0xf1ff
	v_add_co_ci_u32_e64 v26, null, 0, v23, s0
	s_delay_alu instid0(VALU_DEP_3) | instskip(SKIP_3) | instid1(VALU_DEP_3)
	v_sub_nc_u32_e32 v24, v27, v17
	v_sub_co_u32 v28, s0, v16, s60
	s_wait_alu 0xfffd
	v_sub_co_ci_u32_e64 v17, null, v27, v17, vcc_lo
	v_subrev_co_ci_u32_e64 v24, null, s61, v24, vcc_lo
	s_delay_alu instid0(VALU_DEP_3) | instskip(SKIP_1) | instid1(VALU_DEP_2)
	v_cmp_le_u32_e32 vcc_lo, s60, v28
	s_wait_alu 0xf1ff
	v_subrev_co_ci_u32_e64 v24, null, 0, v24, s0
	s_wait_alu 0xfffd
	v_cndmask_b32_e64 v27, 0, -1, vcc_lo
	s_delay_alu instid0(VALU_DEP_2)
	v_cmp_le_u32_e32 vcc_lo, s61, v24
	s_wait_alu 0xfffd
	v_cndmask_b32_e64 v28, 0, -1, vcc_lo
	v_cmp_le_u32_e32 vcc_lo, s60, v16
	s_wait_alu 0xfffd
	v_cndmask_b32_e64 v16, 0, -1, vcc_lo
	;; [unrolled: 3-line block ×3, first 2 shown]
	v_cmp_eq_u32_e32 vcc_lo, s61, v24
	s_wait_alu 0xfffd
	v_cndmask_b32_e32 v24, v28, v27, vcc_lo
	v_add_co_u32 v27, vcc_lo, v22, 1
	s_wait_alu 0xfffd
	v_add_co_ci_u32_e64 v28, null, 0, v23, vcc_lo
	v_cmp_eq_u32_e32 vcc_lo, s61, v17
	s_wait_alu 0xfffd
	v_cndmask_b32_e32 v16, v29, v16, vcc_lo
	v_cmp_ne_u32_e32 vcc_lo, 0, v24
	s_wait_alu 0xfffd
	v_cndmask_b32_e32 v17, v28, v26, vcc_lo
	s_delay_alu instid0(VALU_DEP_3) | instskip(SKIP_2) | instid1(VALU_DEP_2)
	v_cmp_ne_u32_e64 s0, 0, v16
	v_cndmask_b32_e32 v16, v27, v25, vcc_lo
	s_wait_alu 0xf1ff
	v_cndmask_b32_e64 v17, v23, v17, s0
	s_delay_alu instid0(VALU_DEP_2) | instskip(NEXT) | instid1(VALU_DEP_2)
	v_cndmask_b32_e64 v16, v22, v16, s0
	v_xor_b32_e32 v17, v17, v3
	s_delay_alu instid0(VALU_DEP_2) | instskip(NEXT) | instid1(VALU_DEP_1)
	v_xor_b32_e32 v16, v16, v3
	v_sub_co_u32 v16, vcc_lo, v16, v3
	s_wait_alu 0xfffd
	s_delay_alu instid0(VALU_DEP_3)
	v_sub_co_ci_u32_e64 v17, null, v17, v3, vcc_lo
.LBB90_36:                              ;   in Loop: Header=BB90_22 Depth=2
	s_wait_alu 0xfffe
	s_and_not1_saveexec_b32 s0, s1
	s_cbranch_execz .LBB90_21
; %bb.37:                               ;   in Loop: Header=BB90_22 Depth=2
	v_cvt_f32_u32_e32 v3, s56
	s_sub_co_i32 s1, 0, s56
	s_delay_alu instid0(VALU_DEP_1) | instskip(NEXT) | instid1(TRANS32_DEP_1)
	v_rcp_iflag_f32_e32 v3, v3
	v_mul_f32_e32 v3, 0x4f7ffffe, v3
	s_delay_alu instid0(VALU_DEP_1) | instskip(SKIP_1) | instid1(VALU_DEP_1)
	v_cvt_u32_f32_e32 v3, v3
	s_wait_alu 0xfffe
	v_mul_lo_u32 v16, s1, v3
	s_delay_alu instid0(VALU_DEP_1) | instskip(NEXT) | instid1(VALU_DEP_1)
	v_mul_hi_u32 v16, v3, v16
	v_add_nc_u32_e32 v3, v3, v16
	s_delay_alu instid0(VALU_DEP_1) | instskip(NEXT) | instid1(VALU_DEP_1)
	v_mul_hi_u32 v3, v14, v3
	v_mul_lo_u32 v16, v3, s56
	v_add_nc_u32_e32 v17, 1, v3
	s_delay_alu instid0(VALU_DEP_2) | instskip(NEXT) | instid1(VALU_DEP_1)
	v_sub_nc_u32_e32 v16, v14, v16
	v_subrev_nc_u32_e32 v22, s56, v16
	v_cmp_le_u32_e32 vcc_lo, s56, v16
	s_wait_alu 0xfffd
	s_delay_alu instid0(VALU_DEP_2) | instskip(NEXT) | instid1(VALU_DEP_1)
	v_dual_cndmask_b32 v16, v16, v22 :: v_dual_cndmask_b32 v3, v3, v17
	v_cmp_le_u32_e32 vcc_lo, s56, v16
	s_delay_alu instid0(VALU_DEP_2) | instskip(SKIP_1) | instid1(VALU_DEP_1)
	v_add_nc_u32_e32 v17, 1, v3
	s_wait_alu 0xfffd
	v_dual_cndmask_b32 v16, v3, v17 :: v_dual_mov_b32 v17, v2
	s_branch .LBB90_21
.LBB90_38:                              ;   in Loop: Header=BB90_3 Depth=1
	s_load_b64 s[0:1], s[24:25], 0x0
	s_wait_kmcnt 0x0
	v_cmp_gt_i64_e32 vcc_lo, s[0:1], v[4:5]
	s_and_b32 exec_lo, exec_lo, vcc_lo
	s_cbranch_execz .LBB90_2
; %bb.39:                               ;   in Loop: Header=BB90_3 Depth=1
	v_add_co_u32 v3, vcc_lo, v4, 1
	s_wait_alu 0xfffd
	v_add_co_ci_u32_e64 v4, null, 0, v5, vcc_lo
	v_lshlrev_b64_e32 v[5:6], 2, v[6:7]
	s_delay_alu instid0(VALU_DEP_3) | instskip(SKIP_1) | instid1(VALU_DEP_3)
	v_sub_co_u32 v8, vcc_lo, v3, v20
	s_wait_alu 0xfffd
	v_sub_co_ci_u32_e64 v9, null, v4, v21, vcc_lo
	v_cmp_gt_i64_e32 vcc_lo, s[0:1], v[3:4]
	s_delay_alu instid0(VALU_DEP_4) | instskip(NEXT) | instid1(VALU_DEP_3)
	v_add_co_u32 v3, s1, s10, v5
	v_cmp_gt_i64_e64 s0, s[4:5], v[8:9]
	s_wait_alu 0xf1ff
	v_add_co_ci_u32_e64 v4, null, s11, v6, s1
	global_store_b32 v[3:4], v2, off
	s_and_b32 s0, vcc_lo, s0
	s_wait_alu 0xfffe
	s_and_b32 exec_lo, exec_lo, s0
	s_cbranch_execz .LBB90_2
; %bb.40:                               ;   in Loop: Header=BB90_3 Depth=1
	s_lshl_b64 s[0:1], s[2:3], 2
	s_wait_alu 0xfffe
	v_add_co_u32 v3, vcc_lo, v3, s0
	s_wait_alu 0xfffd
	v_add_co_ci_u32_e64 v4, null, s1, v4, vcc_lo
	global_store_b32 v[3:4], v2, off
	s_branch .LBB90_2
.LBB90_41:
	s_endpgm
	.section	.rodata,"a",@progbits
	.p2align	6, 0x0
	.amdhsa_kernel _ZN2at6native16triu_tril_kernelIN3c107complexINS2_4HalfEEElLb1ELi2ELb1EEEvNS_4cuda6detail10TensorInfoIT_T0_EENS8_IKS9_SA_EEllSA_
		.amdhsa_group_segment_fixed_size 0
		.amdhsa_private_segment_fixed_size 0
		.amdhsa_kernarg_size 1112
		.amdhsa_user_sgpr_count 2
		.amdhsa_user_sgpr_dispatch_ptr 0
		.amdhsa_user_sgpr_queue_ptr 0
		.amdhsa_user_sgpr_kernarg_segment_ptr 1
		.amdhsa_user_sgpr_dispatch_id 0
		.amdhsa_user_sgpr_private_segment_size 0
		.amdhsa_wavefront_size32 1
		.amdhsa_uses_dynamic_stack 0
		.amdhsa_enable_private_segment 0
		.amdhsa_system_sgpr_workgroup_id_x 1
		.amdhsa_system_sgpr_workgroup_id_y 0
		.amdhsa_system_sgpr_workgroup_id_z 0
		.amdhsa_system_sgpr_workgroup_info 0
		.amdhsa_system_vgpr_workitem_id 0
		.amdhsa_next_free_vgpr 30
		.amdhsa_next_free_sgpr 75
		.amdhsa_reserve_vcc 1
		.amdhsa_float_round_mode_32 0
		.amdhsa_float_round_mode_16_64 0
		.amdhsa_float_denorm_mode_32 3
		.amdhsa_float_denorm_mode_16_64 3
		.amdhsa_fp16_overflow 0
		.amdhsa_workgroup_processor_mode 1
		.amdhsa_memory_ordered 1
		.amdhsa_forward_progress 1
		.amdhsa_inst_pref_size 65
		.amdhsa_round_robin_scheduling 0
		.amdhsa_exception_fp_ieee_invalid_op 0
		.amdhsa_exception_fp_denorm_src 0
		.amdhsa_exception_fp_ieee_div_zero 0
		.amdhsa_exception_fp_ieee_overflow 0
		.amdhsa_exception_fp_ieee_underflow 0
		.amdhsa_exception_fp_ieee_inexact 0
		.amdhsa_exception_int_div_zero 0
	.end_amdhsa_kernel
	.section	.text._ZN2at6native16triu_tril_kernelIN3c107complexINS2_4HalfEEElLb1ELi2ELb1EEEvNS_4cuda6detail10TensorInfoIT_T0_EENS8_IKS9_SA_EEllSA_,"axG",@progbits,_ZN2at6native16triu_tril_kernelIN3c107complexINS2_4HalfEEElLb1ELi2ELb1EEEvNS_4cuda6detail10TensorInfoIT_T0_EENS8_IKS9_SA_EEllSA_,comdat
.Lfunc_end90:
	.size	_ZN2at6native16triu_tril_kernelIN3c107complexINS2_4HalfEEElLb1ELi2ELb1EEEvNS_4cuda6detail10TensorInfoIT_T0_EENS8_IKS9_SA_EEllSA_, .Lfunc_end90-_ZN2at6native16triu_tril_kernelIN3c107complexINS2_4HalfEEElLb1ELi2ELb1EEEvNS_4cuda6detail10TensorInfoIT_T0_EENS8_IKS9_SA_EEllSA_
                                        ; -- End function
	.set _ZN2at6native16triu_tril_kernelIN3c107complexINS2_4HalfEEElLb1ELi2ELb1EEEvNS_4cuda6detail10TensorInfoIT_T0_EENS8_IKS9_SA_EEllSA_.num_vgpr, 30
	.set _ZN2at6native16triu_tril_kernelIN3c107complexINS2_4HalfEEElLb1ELi2ELb1EEEvNS_4cuda6detail10TensorInfoIT_T0_EENS8_IKS9_SA_EEllSA_.num_agpr, 0
	.set _ZN2at6native16triu_tril_kernelIN3c107complexINS2_4HalfEEElLb1ELi2ELb1EEEvNS_4cuda6detail10TensorInfoIT_T0_EENS8_IKS9_SA_EEllSA_.numbered_sgpr, 75
	.set _ZN2at6native16triu_tril_kernelIN3c107complexINS2_4HalfEEElLb1ELi2ELb1EEEvNS_4cuda6detail10TensorInfoIT_T0_EENS8_IKS9_SA_EEllSA_.num_named_barrier, 0
	.set _ZN2at6native16triu_tril_kernelIN3c107complexINS2_4HalfEEElLb1ELi2ELb1EEEvNS_4cuda6detail10TensorInfoIT_T0_EENS8_IKS9_SA_EEllSA_.private_seg_size, 0
	.set _ZN2at6native16triu_tril_kernelIN3c107complexINS2_4HalfEEElLb1ELi2ELb1EEEvNS_4cuda6detail10TensorInfoIT_T0_EENS8_IKS9_SA_EEllSA_.uses_vcc, 1
	.set _ZN2at6native16triu_tril_kernelIN3c107complexINS2_4HalfEEElLb1ELi2ELb1EEEvNS_4cuda6detail10TensorInfoIT_T0_EENS8_IKS9_SA_EEllSA_.uses_flat_scratch, 0
	.set _ZN2at6native16triu_tril_kernelIN3c107complexINS2_4HalfEEElLb1ELi2ELb1EEEvNS_4cuda6detail10TensorInfoIT_T0_EENS8_IKS9_SA_EEllSA_.has_dyn_sized_stack, 0
	.set _ZN2at6native16triu_tril_kernelIN3c107complexINS2_4HalfEEElLb1ELi2ELb1EEEvNS_4cuda6detail10TensorInfoIT_T0_EENS8_IKS9_SA_EEllSA_.has_recursion, 0
	.set _ZN2at6native16triu_tril_kernelIN3c107complexINS2_4HalfEEElLb1ELi2ELb1EEEvNS_4cuda6detail10TensorInfoIT_T0_EENS8_IKS9_SA_EEllSA_.has_indirect_call, 0
	.section	.AMDGPU.csdata,"",@progbits
; Kernel info:
; codeLenInByte = 8312
; TotalNumSgprs: 77
; NumVgprs: 30
; ScratchSize: 0
; MemoryBound: 0
; FloatMode: 240
; IeeeMode: 1
; LDSByteSize: 0 bytes/workgroup (compile time only)
; SGPRBlocks: 0
; VGPRBlocks: 3
; NumSGPRsForWavesPerEU: 77
; NumVGPRsForWavesPerEU: 30
; Occupancy: 16
; WaveLimiterHint : 0
; COMPUTE_PGM_RSRC2:SCRATCH_EN: 0
; COMPUTE_PGM_RSRC2:USER_SGPR: 2
; COMPUTE_PGM_RSRC2:TRAP_HANDLER: 0
; COMPUTE_PGM_RSRC2:TGID_X_EN: 1
; COMPUTE_PGM_RSRC2:TGID_Y_EN: 0
; COMPUTE_PGM_RSRC2:TGID_Z_EN: 0
; COMPUTE_PGM_RSRC2:TIDIG_COMP_CNT: 0
	.section	.text._ZN2at6native16triu_tril_kernelIN3c107complexINS2_4HalfEEElLb1ELi2ELb0EEEvNS_4cuda6detail10TensorInfoIT_T0_EENS8_IKS9_SA_EEllSA_,"axG",@progbits,_ZN2at6native16triu_tril_kernelIN3c107complexINS2_4HalfEEElLb1ELi2ELb0EEEvNS_4cuda6detail10TensorInfoIT_T0_EENS8_IKS9_SA_EEllSA_,comdat
	.protected	_ZN2at6native16triu_tril_kernelIN3c107complexINS2_4HalfEEElLb1ELi2ELb0EEEvNS_4cuda6detail10TensorInfoIT_T0_EENS8_IKS9_SA_EEllSA_ ; -- Begin function _ZN2at6native16triu_tril_kernelIN3c107complexINS2_4HalfEEElLb1ELi2ELb0EEEvNS_4cuda6detail10TensorInfoIT_T0_EENS8_IKS9_SA_EEllSA_
	.globl	_ZN2at6native16triu_tril_kernelIN3c107complexINS2_4HalfEEElLb1ELi2ELb0EEEvNS_4cuda6detail10TensorInfoIT_T0_EENS8_IKS9_SA_EEllSA_
	.p2align	8
	.type	_ZN2at6native16triu_tril_kernelIN3c107complexINS2_4HalfEEElLb1ELi2ELb0EEEvNS_4cuda6detail10TensorInfoIT_T0_EENS8_IKS9_SA_EEllSA_,@function
_ZN2at6native16triu_tril_kernelIN3c107complexINS2_4HalfEEElLb1ELi2ELb0EEEvNS_4cuda6detail10TensorInfoIT_T0_EENS8_IKS9_SA_EEllSA_: ; @_ZN2at6native16triu_tril_kernelIN3c107complexINS2_4HalfEEElLb1ELi2ELb0EEEvNS_4cuda6detail10TensorInfoIT_T0_EENS8_IKS9_SA_EEllSA_
; %bb.0:
	s_clause 0x1
	s_load_b32 s2, s[0:1], 0x364
	s_load_b128 s[4:7], s[0:1], 0x340
	v_mov_b32_e32 v2, 0
	s_delay_alu instid0(VALU_DEP_1) | instskip(SKIP_3) | instid1(VALU_DEP_1)
	v_mov_b32_e32 v1, v2
	s_wait_kmcnt 0x0
	s_and_b32 s16, s2, 0xffff
	s_mov_b32 s2, exec_lo
	v_mad_co_u64_u32 v[0:1], null, s16, ttmp9, v[0:1]
	s_delay_alu instid0(VALU_DEP_1) | instskip(NEXT) | instid1(VALU_DEP_1)
	v_lshlrev_b64_e32 v[0:1], 1, v[0:1]
	v_cmpx_gt_i64_e64 s[6:7], v[0:1]
	s_cbranch_execz .LBB91_38
; %bb.1:
	s_clause 0x1
	s_load_b32 s38, s[0:1], 0x338
	s_load_b64 s[2:3], s[0:1], 0x1a0
	s_add_nc_u64 s[20:21], s[0:1], 0x1a0
	s_load_b64 s[22:23], s[0:1], 0x350
	s_add_nc_u64 s[14:15], s[0:1], 0x358
	s_mov_b32 s27, 0
	s_mov_b32 s63, 0
	s_wait_kmcnt 0x0
	s_ashr_i32 s39, s38, 31
	s_add_co_i32 s28, s38, -3
	s_lshl_b64 s[18:19], s[38:39], 3
	s_ashr_i32 s29, s28, 31
	s_add_nc_u64 s[12:13], s[20:21], s[18:19]
	v_cmp_gt_i64_e64 s62, s[38:39], 2
	s_add_nc_u64 s[8:9], s[12:13], -8
	s_add_nc_u64 s[30:31], s[28:29], -1
	s_load_b128 s[8:11], s[8:9], 0x0
	s_load_b32 s17, s[14:15], 0x0
	s_clause 0x1
	s_load_b64 s[24:25], s[0:1], 0x0
	s_load_b128 s[12:15], s[12:13], 0xc0
	v_cvt_f32_u32_e32 v3, s22
	s_add_nc_u64 s[38:39], s[0:1], 0xc8
	s_delay_alu instid0(VALU_DEP_1)
	v_rcp_iflag_f32_e32 v3, v3
	s_wait_kmcnt 0x0
	v_cvt_f32_u32_e32 v4, s8
	s_mul_i32 s26, s17, s16
	s_add_nc_u64 s[16:17], s[0:1], s[18:19]
	s_lshl_b32 s33, s26, 1
	s_load_b128 s[16:19], s[16:17], 0xc0
	v_rcp_iflag_f32_e32 v4, v4
	s_delay_alu instid0(TRANS32_DEP_2)
	v_mul_f32_e32 v3, 0x4f7ffffe, v3
	s_bitcmp0_b32 s28, 0
	s_cselect_b32 s60, -1, 0
	s_lshl_b64 s[36:37], s[28:29], 3
	s_cmp_lg_u32 s28, 0
	s_add_nc_u64 s[34:35], s[20:21], s[36:37]
	s_add_nc_u64 s[36:37], s[0:1], s[36:37]
	s_cselect_b32 s61, -1, 0
	s_delay_alu instid0(TRANS32_DEP_1) | instskip(SKIP_2) | instid1(VALU_DEP_2)
	v_mul_f32_e32 v4, 0x4f7ffffe, v4
	v_cvt_u32_f32_e32 v16, v3
	s_ashr_i32 s40, s23, 31
	v_cvt_u32_f32_e32 v17, v4
	s_branch .LBB91_3
.LBB91_2:                               ;   in Loop: Header=BB91_3 Depth=1
	s_wait_alu 0xfffe
	s_or_b32 exec_lo, exec_lo, s0
	v_add_co_u32 v0, vcc_lo, v0, s33
	s_wait_alu 0xfffd
	v_add_co_ci_u32_e64 v1, null, 0, v1, vcc_lo
	s_delay_alu instid0(VALU_DEP_1) | instskip(SKIP_1) | instid1(SALU_CYCLE_1)
	v_cmp_le_i64_e32 vcc_lo, s[6:7], v[0:1]
	s_or_b32 s63, vcc_lo, s63
	s_and_not1_b32 exec_lo, exec_lo, s63
	s_cbranch_execz .LBB91_38
.LBB91_3:                               ; =>This Loop Header: Depth=1
                                        ;     Child Loop BB91_21 Depth 2
	v_or_b32_e32 v3, s23, v1
                                        ; implicit-def: $vgpr6_vgpr7
	s_mov_b32 s0, exec_lo
	s_delay_alu instid0(VALU_DEP_1)
	v_cmpx_ne_u64_e32 0, v[2:3]
	s_wait_alu 0xfffe
	s_xor_b32 s1, exec_lo, s0
	s_cbranch_execz .LBB91_5
; %bb.4:                                ;   in Loop: Header=BB91_3 Depth=1
	s_mov_b32 s41, s40
	v_ashrrev_i32_e32 v9, 31, v1
	s_wait_alu 0xfffe
	s_add_nc_u64 s[42:43], s[22:23], s[40:41]
	s_wait_alu 0xfffe
	s_xor_b64 s[42:43], s[42:43], s[40:41]
	v_add_co_u32 v3, vcc_lo, v0, v9
	s_wait_alu 0xfffe
	s_cvt_f32_u32 s0, s42
	s_cvt_f32_u32 s26, s43
	s_sub_nc_u64 s[46:47], 0, s[42:43]
	s_wait_alu 0xfffd
	v_add_co_ci_u32_e64 v4, null, v1, v9, vcc_lo
	s_wait_alu 0xfffe
	s_fmamk_f32 s0, s26, 0x4f800000, s0
	v_xor_b32_e32 v10, v3, v9
	s_delay_alu instid0(VALU_DEP_2) | instskip(SKIP_2) | instid1(TRANS32_DEP_1)
	v_xor_b32_e32 v11, v4, v9
	s_wait_alu 0xfffe
	v_s_rcp_f32 s0, s0
	s_mul_f32 s0, s0, 0x5f7ffffc
	s_wait_alu 0xfffe
	s_delay_alu instid0(SALU_CYCLE_2) | instskip(SKIP_1) | instid1(SALU_CYCLE_2)
	s_mul_f32 s26, s0, 0x2f800000
	s_wait_alu 0xfffe
	s_trunc_f32 s26, s26
	s_wait_alu 0xfffe
	s_delay_alu instid0(SALU_CYCLE_2) | instskip(SKIP_2) | instid1(SALU_CYCLE_1)
	s_fmamk_f32 s0, s26, 0xcf800000, s0
	s_cvt_u32_f32 s45, s26
	s_wait_alu 0xfffe
	s_cvt_u32_f32 s44, s0
	s_wait_alu 0xfffe
	s_delay_alu instid0(SALU_CYCLE_2)
	s_mul_u64 s[48:49], s[46:47], s[44:45]
	s_wait_alu 0xfffe
	s_mul_hi_u32 s51, s44, s49
	s_mul_i32 s50, s44, s49
	s_mul_hi_u32 s26, s44, s48
	s_mul_i32 s41, s45, s48
	s_wait_alu 0xfffe
	s_add_nc_u64 s[50:51], s[26:27], s[50:51]
	s_mul_hi_u32 s0, s45, s48
	s_mul_hi_u32 s52, s45, s49
	s_wait_alu 0xfffe
	s_add_co_u32 s26, s50, s41
	s_add_co_ci_u32 s26, s51, s0
	s_mul_i32 s48, s45, s49
	s_add_co_ci_u32 s49, s52, 0
	s_wait_alu 0xfffe
	s_add_nc_u64 s[48:49], s[26:27], s[48:49]
	s_wait_alu 0xfffe
	s_add_co_u32 s44, s44, s48
	s_cselect_b32 s0, -1, 0
	s_wait_alu 0xfffe
	s_cmp_lg_u32 s0, 0
	s_add_co_ci_u32 s45, s45, s49
	s_wait_alu 0xfffe
	s_mul_u64 s[46:47], s[46:47], s[44:45]
	s_wait_alu 0xfffe
	s_mul_hi_u32 s49, s44, s47
	s_mul_i32 s48, s44, s47
	s_mul_hi_u32 s26, s44, s46
	s_mul_i32 s41, s45, s46
	s_wait_alu 0xfffe
	s_add_nc_u64 s[48:49], s[26:27], s[48:49]
	s_mul_hi_u32 s0, s45, s46
	s_mul_hi_u32 s50, s45, s47
	s_wait_alu 0xfffe
	s_add_co_u32 s26, s48, s41
	s_add_co_ci_u32 s26, s49, s0
	s_mul_i32 s46, s45, s47
	s_add_co_ci_u32 s47, s50, 0
	s_wait_alu 0xfffe
	s_add_nc_u64 s[46:47], s[26:27], s[46:47]
	s_wait_alu 0xfffe
	s_add_co_u32 s0, s44, s46
	s_cselect_b32 s26, -1, 0
	s_wait_alu 0xfffe
	v_mul_hi_u32 v12, v10, s0
	s_cmp_lg_u32 s26, 0
	v_mad_co_u64_u32 v[5:6], null, v11, s0, 0
	s_add_co_ci_u32 s26, s45, s47
	s_wait_alu 0xfffe
	v_mad_co_u64_u32 v[3:4], null, v10, s26, 0
	v_mad_co_u64_u32 v[7:8], null, v11, s26, 0
	s_delay_alu instid0(VALU_DEP_2) | instskip(SKIP_1) | instid1(VALU_DEP_3)
	v_add_co_u32 v3, vcc_lo, v12, v3
	s_wait_alu 0xfffd
	v_add_co_ci_u32_e64 v4, null, 0, v4, vcc_lo
	s_delay_alu instid0(VALU_DEP_2) | instskip(SKIP_1) | instid1(VALU_DEP_2)
	v_add_co_u32 v3, vcc_lo, v3, v5
	s_wait_alu 0xfffd
	v_add_co_ci_u32_e32 v3, vcc_lo, v4, v6, vcc_lo
	s_wait_alu 0xfffd
	v_add_co_ci_u32_e32 v4, vcc_lo, 0, v8, vcc_lo
	s_delay_alu instid0(VALU_DEP_2) | instskip(SKIP_1) | instid1(VALU_DEP_2)
	v_add_co_u32 v5, vcc_lo, v3, v7
	s_wait_alu 0xfffd
	v_add_co_ci_u32_e64 v6, null, 0, v4, vcc_lo
	s_delay_alu instid0(VALU_DEP_2) | instskip(SKIP_1) | instid1(VALU_DEP_3)
	v_mul_lo_u32 v7, s43, v5
	v_mad_co_u64_u32 v[3:4], null, s42, v5, 0
	v_mul_lo_u32 v8, s42, v6
	s_delay_alu instid0(VALU_DEP_2) | instskip(NEXT) | instid1(VALU_DEP_2)
	v_sub_co_u32 v3, vcc_lo, v10, v3
	v_add3_u32 v4, v4, v8, v7
	v_add_co_u32 v8, s0, v5, 2
	s_wait_alu 0xf1ff
	v_add_co_ci_u32_e64 v10, null, 0, v6, s0
	s_delay_alu instid0(VALU_DEP_3) | instskip(SKIP_3) | instid1(VALU_DEP_3)
	v_sub_nc_u32_e32 v7, v11, v4
	v_sub_co_u32 v12, s0, v3, s42
	s_wait_alu 0xfffd
	v_sub_co_ci_u32_e64 v4, null, v11, v4, vcc_lo
	v_subrev_co_ci_u32_e64 v7, null, s43, v7, vcc_lo
	s_delay_alu instid0(VALU_DEP_3) | instskip(SKIP_1) | instid1(VALU_DEP_2)
	v_cmp_le_u32_e32 vcc_lo, s42, v12
	s_wait_alu 0xf1ff
	v_subrev_co_ci_u32_e64 v7, null, 0, v7, s0
	s_wait_alu 0xfffd
	v_cndmask_b32_e64 v11, 0, -1, vcc_lo
	s_delay_alu instid0(VALU_DEP_2)
	v_cmp_le_u32_e32 vcc_lo, s43, v7
	s_wait_alu 0xfffd
	v_cndmask_b32_e64 v12, 0, -1, vcc_lo
	v_cmp_le_u32_e32 vcc_lo, s42, v3
	s_wait_alu 0xfffd
	v_cndmask_b32_e64 v3, 0, -1, vcc_lo
	;; [unrolled: 3-line block ×3, first 2 shown]
	v_cmp_eq_u32_e32 vcc_lo, s43, v7
	s_wait_alu 0xfffd
	v_cndmask_b32_e32 v7, v12, v11, vcc_lo
	v_add_co_u32 v11, vcc_lo, v5, 1
	s_wait_alu 0xfffd
	v_add_co_ci_u32_e64 v12, null, 0, v6, vcc_lo
	v_cmp_eq_u32_e32 vcc_lo, s43, v4
	s_wait_alu 0xfffd
	v_cndmask_b32_e32 v3, v13, v3, vcc_lo
	v_cmp_ne_u32_e32 vcc_lo, 0, v7
	v_xor_b32_e32 v7, s40, v9
	s_wait_alu 0xfffd
	v_cndmask_b32_e32 v4, v12, v10, vcc_lo
	v_cmp_ne_u32_e64 s0, 0, v3
	v_cndmask_b32_e32 v3, v11, v8, vcc_lo
	s_wait_alu 0xf1ff
	s_delay_alu instid0(VALU_DEP_2) | instskip(NEXT) | instid1(VALU_DEP_2)
	v_cndmask_b32_e64 v4, v6, v4, s0
	v_cndmask_b32_e64 v3, v5, v3, s0
	s_delay_alu instid0(VALU_DEP_2) | instskip(NEXT) | instid1(VALU_DEP_2)
	v_xor_b32_e32 v4, v4, v7
	v_xor_b32_e32 v3, v3, v7
	s_delay_alu instid0(VALU_DEP_1) | instskip(SKIP_1) | instid1(VALU_DEP_3)
	v_sub_co_u32 v6, vcc_lo, v3, v7
	s_wait_alu 0xfffd
	v_sub_co_ci_u32_e64 v7, null, v4, v7, vcc_lo
.LBB91_5:                               ;   in Loop: Header=BB91_3 Depth=1
	s_wait_alu 0xfffe
	s_and_not1_saveexec_b32 s0, s1
	s_cbranch_execz .LBB91_7
; %bb.6:                                ;   in Loop: Header=BB91_3 Depth=1
	s_sub_co_i32 s1, 0, s22
	v_mov_b32_e32 v7, v2
	s_wait_alu 0xfffe
	v_mul_lo_u32 v3, s1, v16
	s_delay_alu instid0(VALU_DEP_1) | instskip(NEXT) | instid1(VALU_DEP_1)
	v_mul_hi_u32 v3, v16, v3
	v_add_nc_u32_e32 v3, v16, v3
	s_delay_alu instid0(VALU_DEP_1) | instskip(NEXT) | instid1(VALU_DEP_1)
	v_mul_hi_u32 v3, v0, v3
	v_mul_lo_u32 v4, v3, s22
	s_delay_alu instid0(VALU_DEP_1) | instskip(NEXT) | instid1(VALU_DEP_1)
	v_sub_nc_u32_e32 v4, v0, v4
	v_subrev_nc_u32_e32 v6, s22, v4
	v_cmp_le_u32_e32 vcc_lo, s22, v4
	s_wait_alu 0xfffd
	s_delay_alu instid0(VALU_DEP_2) | instskip(NEXT) | instid1(VALU_DEP_1)
	v_dual_cndmask_b32 v4, v4, v6 :: v_dual_add_nc_u32 v5, 1, v3
	v_cndmask_b32_e32 v3, v3, v5, vcc_lo
	s_delay_alu instid0(VALU_DEP_2) | instskip(NEXT) | instid1(VALU_DEP_2)
	v_cmp_le_u32_e32 vcc_lo, s22, v4
	v_add_nc_u32_e32 v5, 1, v3
	s_wait_alu 0xfffd
	s_delay_alu instid0(VALU_DEP_1)
	v_cndmask_b32_e32 v6, v3, v5, vcc_lo
.LBB91_7:                               ;   in Loop: Header=BB91_3 Depth=1
	s_wait_alu 0xfffe
	s_or_b32 exec_lo, exec_lo, s0
	v_or_b32_e32 v3, s9, v7
                                        ; implicit-def: $vgpr10_vgpr11
	s_mov_b32 s0, exec_lo
	s_delay_alu instid0(VALU_DEP_1)
	v_cmpx_ne_u64_e32 0, v[2:3]
	s_wait_alu 0xfffe
	s_xor_b32 s1, exec_lo, s0
	s_cbranch_execz .LBB91_9
; %bb.8:                                ;   in Loop: Header=BB91_3 Depth=1
	s_ashr_i32 s42, s9, 31
	v_ashrrev_i32_e32 v5, 31, v7
	s_wait_alu 0xfffe
	s_mov_b32 s43, s42
	s_wait_alu 0xfffe
	s_add_nc_u64 s[44:45], s[8:9], s[42:43]
	v_add_co_u32 v3, vcc_lo, v6, v5
	s_wait_alu 0xfffe
	s_xor_b64 s[44:45], s[44:45], s[42:43]
	s_wait_alu 0xfffd
	v_add_co_ci_u32_e64 v4, null, v7, v5, vcc_lo
	s_wait_alu 0xfffe
	s_cvt_f32_u32 s0, s44
	s_cvt_f32_u32 s26, s45
	s_sub_nc_u64 s[48:49], 0, s[44:45]
	v_xor_b32_e32 v12, v3, v5
	v_xor_b32_e32 v13, v4, v5
	s_wait_alu 0xfffe
	s_fmamk_f32 s0, s26, 0x4f800000, s0
	v_xor_b32_e32 v5, s42, v5
	s_wait_alu 0xfffe
	s_delay_alu instid0(SALU_CYCLE_1) | instskip(NEXT) | instid1(TRANS32_DEP_1)
	v_s_rcp_f32 s0, s0
	s_mul_f32 s0, s0, 0x5f7ffffc
	s_wait_alu 0xfffe
	s_delay_alu instid0(SALU_CYCLE_2) | instskip(SKIP_1) | instid1(SALU_CYCLE_2)
	s_mul_f32 s26, s0, 0x2f800000
	s_wait_alu 0xfffe
	s_trunc_f32 s26, s26
	s_wait_alu 0xfffe
	s_delay_alu instid0(SALU_CYCLE_2) | instskip(SKIP_2) | instid1(SALU_CYCLE_1)
	s_fmamk_f32 s0, s26, 0xcf800000, s0
	s_cvt_u32_f32 s47, s26
	s_wait_alu 0xfffe
	s_cvt_u32_f32 s46, s0
	s_wait_alu 0xfffe
	s_delay_alu instid0(SALU_CYCLE_2)
	s_mul_u64 s[50:51], s[48:49], s[46:47]
	s_wait_alu 0xfffe
	s_mul_hi_u32 s53, s46, s51
	s_mul_i32 s52, s46, s51
	s_mul_hi_u32 s26, s46, s50
	s_mul_i32 s41, s47, s50
	s_wait_alu 0xfffe
	s_add_nc_u64 s[52:53], s[26:27], s[52:53]
	s_mul_hi_u32 s0, s47, s50
	s_mul_hi_u32 s43, s47, s51
	s_wait_alu 0xfffe
	s_add_co_u32 s26, s52, s41
	s_add_co_ci_u32 s26, s53, s0
	s_mul_i32 s50, s47, s51
	s_add_co_ci_u32 s51, s43, 0
	s_wait_alu 0xfffe
	s_add_nc_u64 s[50:51], s[26:27], s[50:51]
	s_wait_alu 0xfffe
	s_add_co_u32 s46, s46, s50
	s_cselect_b32 s0, -1, 0
	s_wait_alu 0xfffe
	s_cmp_lg_u32 s0, 0
	s_add_co_ci_u32 s47, s47, s51
	s_wait_alu 0xfffe
	s_mul_u64 s[48:49], s[48:49], s[46:47]
	s_wait_alu 0xfffe
	s_mul_hi_u32 s51, s46, s49
	s_mul_i32 s50, s46, s49
	s_mul_hi_u32 s26, s46, s48
	s_mul_i32 s41, s47, s48
	s_wait_alu 0xfffe
	s_add_nc_u64 s[50:51], s[26:27], s[50:51]
	s_mul_hi_u32 s0, s47, s48
	s_mul_hi_u32 s43, s47, s49
	s_wait_alu 0xfffe
	s_add_co_u32 s26, s50, s41
	s_add_co_ci_u32 s26, s51, s0
	s_mul_i32 s48, s47, s49
	s_add_co_ci_u32 s49, s43, 0
	s_wait_alu 0xfffe
	s_add_nc_u64 s[48:49], s[26:27], s[48:49]
	s_wait_alu 0xfffe
	s_add_co_u32 s0, s46, s48
	s_cselect_b32 s26, -1, 0
	s_wait_alu 0xfffe
	v_mul_hi_u32 v14, v12, s0
	s_cmp_lg_u32 s26, 0
	v_mad_co_u64_u32 v[8:9], null, v13, s0, 0
	s_add_co_ci_u32 s26, s47, s49
	s_wait_alu 0xfffe
	v_mad_co_u64_u32 v[3:4], null, v12, s26, 0
	v_mad_co_u64_u32 v[10:11], null, v13, s26, 0
	s_delay_alu instid0(VALU_DEP_2) | instskip(SKIP_1) | instid1(VALU_DEP_3)
	v_add_co_u32 v3, vcc_lo, v14, v3
	s_wait_alu 0xfffd
	v_add_co_ci_u32_e64 v4, null, 0, v4, vcc_lo
	s_delay_alu instid0(VALU_DEP_2) | instskip(SKIP_1) | instid1(VALU_DEP_2)
	v_add_co_u32 v3, vcc_lo, v3, v8
	s_wait_alu 0xfffd
	v_add_co_ci_u32_e32 v3, vcc_lo, v4, v9, vcc_lo
	s_wait_alu 0xfffd
	v_add_co_ci_u32_e32 v4, vcc_lo, 0, v11, vcc_lo
	s_delay_alu instid0(VALU_DEP_2) | instskip(SKIP_1) | instid1(VALU_DEP_2)
	v_add_co_u32 v8, vcc_lo, v3, v10
	s_wait_alu 0xfffd
	v_add_co_ci_u32_e64 v9, null, 0, v4, vcc_lo
	s_delay_alu instid0(VALU_DEP_2) | instskip(SKIP_1) | instid1(VALU_DEP_3)
	v_mul_lo_u32 v10, s45, v8
	v_mad_co_u64_u32 v[3:4], null, s44, v8, 0
	v_mul_lo_u32 v11, s44, v9
	s_delay_alu instid0(VALU_DEP_2) | instskip(NEXT) | instid1(VALU_DEP_2)
	v_sub_co_u32 v3, vcc_lo, v12, v3
	v_add3_u32 v4, v4, v11, v10
	v_add_co_u32 v11, s0, v8, 2
	s_wait_alu 0xf1ff
	v_add_co_ci_u32_e64 v12, null, 0, v9, s0
	s_delay_alu instid0(VALU_DEP_3) | instskip(SKIP_3) | instid1(VALU_DEP_3)
	v_sub_nc_u32_e32 v10, v13, v4
	v_sub_co_u32 v14, s0, v3, s44
	s_wait_alu 0xfffd
	v_sub_co_ci_u32_e64 v4, null, v13, v4, vcc_lo
	v_subrev_co_ci_u32_e64 v10, null, s45, v10, vcc_lo
	s_delay_alu instid0(VALU_DEP_3) | instskip(SKIP_1) | instid1(VALU_DEP_2)
	v_cmp_le_u32_e32 vcc_lo, s44, v14
	s_wait_alu 0xf1ff
	v_subrev_co_ci_u32_e64 v10, null, 0, v10, s0
	s_wait_alu 0xfffd
	v_cndmask_b32_e64 v13, 0, -1, vcc_lo
	s_delay_alu instid0(VALU_DEP_2)
	v_cmp_le_u32_e32 vcc_lo, s45, v10
	s_wait_alu 0xfffd
	v_cndmask_b32_e64 v14, 0, -1, vcc_lo
	v_cmp_le_u32_e32 vcc_lo, s44, v3
	s_wait_alu 0xfffd
	v_cndmask_b32_e64 v3, 0, -1, vcc_lo
	;; [unrolled: 3-line block ×3, first 2 shown]
	v_cmp_eq_u32_e32 vcc_lo, s45, v10
	s_wait_alu 0xfffd
	v_cndmask_b32_e32 v10, v14, v13, vcc_lo
	v_add_co_u32 v13, vcc_lo, v8, 1
	s_wait_alu 0xfffd
	v_add_co_ci_u32_e64 v14, null, 0, v9, vcc_lo
	v_cmp_eq_u32_e32 vcc_lo, s45, v4
	s_wait_alu 0xfffd
	v_cndmask_b32_e32 v3, v15, v3, vcc_lo
	v_cmp_ne_u32_e32 vcc_lo, 0, v10
	s_delay_alu instid0(VALU_DEP_2) | instskip(SKIP_3) | instid1(VALU_DEP_1)
	v_cmp_ne_u32_e64 s0, 0, v3
	s_wait_alu 0xfffd
	v_dual_cndmask_b32 v4, v14, v12 :: v_dual_cndmask_b32 v3, v13, v11
	s_wait_alu 0xf1ff
	v_cndmask_b32_e64 v4, v9, v4, s0
	s_delay_alu instid0(VALU_DEP_2) | instskip(NEXT) | instid1(VALU_DEP_2)
	v_cndmask_b32_e64 v3, v8, v3, s0
	v_xor_b32_e32 v4, v4, v5
	s_delay_alu instid0(VALU_DEP_2) | instskip(NEXT) | instid1(VALU_DEP_1)
	v_xor_b32_e32 v3, v3, v5
	v_sub_co_u32 v10, vcc_lo, v3, v5
	s_wait_alu 0xfffd
	s_delay_alu instid0(VALU_DEP_3)
	v_sub_co_ci_u32_e64 v11, null, v4, v5, vcc_lo
.LBB91_9:                               ;   in Loop: Header=BB91_3 Depth=1
	s_wait_alu 0xfffe
	s_and_not1_saveexec_b32 s0, s1
	s_cbranch_execz .LBB91_11
; %bb.10:                               ;   in Loop: Header=BB91_3 Depth=1
	s_sub_co_i32 s1, 0, s8
	v_mov_b32_e32 v11, v2
	s_wait_alu 0xfffe
	v_mul_lo_u32 v3, s1, v17
	s_delay_alu instid0(VALU_DEP_1) | instskip(NEXT) | instid1(VALU_DEP_1)
	v_mul_hi_u32 v3, v17, v3
	v_add_nc_u32_e32 v3, v17, v3
	s_delay_alu instid0(VALU_DEP_1) | instskip(NEXT) | instid1(VALU_DEP_1)
	v_mul_hi_u32 v3, v6, v3
	v_mul_lo_u32 v4, v3, s8
	v_add_nc_u32_e32 v5, 1, v3
	s_delay_alu instid0(VALU_DEP_2) | instskip(NEXT) | instid1(VALU_DEP_1)
	v_sub_nc_u32_e32 v4, v6, v4
	v_subrev_nc_u32_e32 v8, s8, v4
	v_cmp_le_u32_e32 vcc_lo, s8, v4
	s_wait_alu 0xfffd
	s_delay_alu instid0(VALU_DEP_2) | instskip(NEXT) | instid1(VALU_DEP_1)
	v_dual_cndmask_b32 v4, v4, v8 :: v_dual_cndmask_b32 v3, v3, v5
	v_cmp_le_u32_e32 vcc_lo, s8, v4
	s_delay_alu instid0(VALU_DEP_2) | instskip(SKIP_1) | instid1(VALU_DEP_1)
	v_add_nc_u32_e32 v5, 1, v3
	s_wait_alu 0xfffd
	v_cndmask_b32_e32 v10, v3, v5, vcc_lo
.LBB91_11:                              ;   in Loop: Header=BB91_3 Depth=1
	s_wait_alu 0xfffe
	s_or_b32 exec_lo, exec_lo, s0
	v_mul_lo_u32 v5, v7, s22
	v_mul_lo_u32 v12, v6, s23
	v_mad_co_u64_u32 v[3:4], null, v6, s22, 0
	v_mul_lo_u32 v13, v11, s8
	v_mul_lo_u32 v14, v10, s9
	v_mad_co_u64_u32 v[8:9], null, v10, s8, 0
	s_delay_alu instid0(VALU_DEP_4) | instskip(SKIP_1) | instid1(VALU_DEP_3)
	v_add3_u32 v5, v4, v12, v5
	v_sub_co_u32 v4, vcc_lo, v0, v3
	v_add3_u32 v3, v9, v14, v13
	s_wait_alu 0xfffd
	s_delay_alu instid0(VALU_DEP_3) | instskip(NEXT) | instid1(VALU_DEP_3)
	v_sub_co_ci_u32_e64 v5, null, v1, v5, vcc_lo
	v_mul_lo_u32 v9, s15, v4
	v_mad_co_u64_u32 v[12:13], null, s14, v4, 0
	s_wait_kmcnt 0x0
	v_mul_lo_u32 v20, s19, v4
	v_mul_lo_u32 v21, s14, v5
	v_mul_lo_u32 v22, s18, v5
	v_mad_co_u64_u32 v[14:15], null, s18, v4, 0
	v_sub_co_u32 v18, vcc_lo, v6, v8
	s_wait_alu 0xfffd
	v_sub_co_ci_u32_e64 v19, null, v7, v3, vcc_lo
	v_add3_u32 v13, v13, v21, v9
	s_delay_alu instid0(VALU_DEP_3) | instskip(SKIP_1) | instid1(VALU_DEP_4)
	v_mul_lo_u32 v3, s13, v18
	v_add3_u32 v15, v15, v22, v20
	v_mul_lo_u32 v21, s12, v19
	s_and_not1_b32 vcc_lo, exec_lo, s62
	v_mad_co_u64_u32 v[8:9], null, s12, v18, v[12:13]
	v_mul_lo_u32 v12, s16, v19
	v_mul_lo_u32 v13, s17, v18
	v_mad_co_u64_u32 v[6:7], null, s16, v18, v[14:15]
	s_delay_alu instid0(VALU_DEP_4) | instskip(NEXT) | instid1(VALU_DEP_2)
	v_add3_u32 v9, v3, v9, v21
	v_add3_u32 v7, v13, v7, v12
	s_wait_alu 0xfffe
	s_cbranch_vccnz .LBB91_29
; %bb.12:                               ;   in Loop: Header=BB91_3 Depth=1
	s_and_not1_b32 vcc_lo, exec_lo, s60
	s_wait_alu 0xfffe
	s_cbranch_vccnz .LBB91_18
; %bb.13:                               ;   in Loop: Header=BB91_3 Depth=1
	s_load_b64 s[42:43], s[34:35], 0x8
                                        ; implicit-def: $vgpr12_vgpr13
	s_mov_b32 s0, exec_lo
	s_wait_kmcnt 0x0
	v_or_b32_e32 v3, s43, v11
	s_delay_alu instid0(VALU_DEP_1)
	v_cmpx_ne_u64_e32 0, v[2:3]
	s_wait_alu 0xfffe
	s_xor_b32 s1, exec_lo, s0
	s_cbranch_execz .LBB91_15
; %bb.14:                               ;   in Loop: Header=BB91_3 Depth=1
	s_ashr_i32 s44, s43, 31
	v_ashrrev_i32_e32 v3, 31, v11
	s_wait_alu 0xfffe
	s_mov_b32 s45, s44
	s_wait_alu 0xfffe
	s_add_nc_u64 s[46:47], s[42:43], s[44:45]
	v_add_co_u32 v12, vcc_lo, v10, v3
	s_wait_alu 0xfffe
	s_xor_b64 s[46:47], s[46:47], s[44:45]
	s_wait_alu 0xfffd
	v_add_co_ci_u32_e64 v13, null, v11, v3, vcc_lo
	s_wait_alu 0xfffe
	s_cvt_f32_u32 s0, s46
	s_cvt_f32_u32 s26, s47
	s_sub_nc_u64 s[50:51], 0, s[46:47]
	v_xor_b32_e32 v22, v12, v3
	v_xor_b32_e32 v23, v13, v3
	s_wait_alu 0xfffe
	s_fmamk_f32 s0, s26, 0x4f800000, s0
	v_xor_b32_e32 v3, s44, v3
	s_wait_alu 0xfffe
	s_delay_alu instid0(SALU_CYCLE_1) | instskip(NEXT) | instid1(TRANS32_DEP_1)
	v_s_rcp_f32 s0, s0
	s_mul_f32 s0, s0, 0x5f7ffffc
	s_wait_alu 0xfffe
	s_delay_alu instid0(SALU_CYCLE_2) | instskip(SKIP_1) | instid1(SALU_CYCLE_2)
	s_mul_f32 s26, s0, 0x2f800000
	s_wait_alu 0xfffe
	s_trunc_f32 s26, s26
	s_wait_alu 0xfffe
	s_delay_alu instid0(SALU_CYCLE_2) | instskip(SKIP_2) | instid1(SALU_CYCLE_1)
	s_fmamk_f32 s0, s26, 0xcf800000, s0
	s_cvt_u32_f32 s49, s26
	s_wait_alu 0xfffe
	s_cvt_u32_f32 s48, s0
	s_wait_alu 0xfffe
	s_delay_alu instid0(SALU_CYCLE_2)
	s_mul_u64 s[52:53], s[50:51], s[48:49]
	s_wait_alu 0xfffe
	s_mul_hi_u32 s55, s48, s53
	s_mul_i32 s54, s48, s53
	s_mul_hi_u32 s26, s48, s52
	s_mul_i32 s41, s49, s52
	s_wait_alu 0xfffe
	s_add_nc_u64 s[54:55], s[26:27], s[54:55]
	s_mul_hi_u32 s0, s49, s52
	s_mul_hi_u32 s45, s49, s53
	s_wait_alu 0xfffe
	s_add_co_u32 s26, s54, s41
	s_add_co_ci_u32 s26, s55, s0
	s_mul_i32 s52, s49, s53
	s_add_co_ci_u32 s53, s45, 0
	s_wait_alu 0xfffe
	s_add_nc_u64 s[52:53], s[26:27], s[52:53]
	s_wait_alu 0xfffe
	s_add_co_u32 s48, s48, s52
	s_cselect_b32 s0, -1, 0
	s_wait_alu 0xfffe
	s_cmp_lg_u32 s0, 0
	s_add_co_ci_u32 s49, s49, s53
	s_wait_alu 0xfffe
	s_mul_u64 s[50:51], s[50:51], s[48:49]
	s_wait_alu 0xfffe
	s_mul_hi_u32 s53, s48, s51
	s_mul_i32 s52, s48, s51
	s_mul_hi_u32 s26, s48, s50
	s_mul_i32 s41, s49, s50
	s_wait_alu 0xfffe
	s_add_nc_u64 s[52:53], s[26:27], s[52:53]
	s_mul_hi_u32 s0, s49, s50
	s_mul_hi_u32 s45, s49, s51
	s_wait_alu 0xfffe
	s_add_co_u32 s26, s52, s41
	s_add_co_ci_u32 s26, s53, s0
	s_mul_i32 s50, s49, s51
	s_add_co_ci_u32 s51, s45, 0
	s_wait_alu 0xfffe
	s_add_nc_u64 s[50:51], s[26:27], s[50:51]
	s_wait_alu 0xfffe
	s_add_co_u32 s0, s48, s50
	s_cselect_b32 s26, -1, 0
	s_wait_alu 0xfffe
	v_mul_hi_u32 v24, v22, s0
	s_cmp_lg_u32 s26, 0
	v_mad_co_u64_u32 v[14:15], null, v23, s0, 0
	s_add_co_ci_u32 s26, s49, s51
	s_wait_alu 0xfffe
	v_mad_co_u64_u32 v[12:13], null, v22, s26, 0
	v_mad_co_u64_u32 v[20:21], null, v23, s26, 0
	s_delay_alu instid0(VALU_DEP_2) | instskip(SKIP_1) | instid1(VALU_DEP_3)
	v_add_co_u32 v12, vcc_lo, v24, v12
	s_wait_alu 0xfffd
	v_add_co_ci_u32_e64 v13, null, 0, v13, vcc_lo
	s_delay_alu instid0(VALU_DEP_2) | instskip(SKIP_1) | instid1(VALU_DEP_2)
	v_add_co_u32 v12, vcc_lo, v12, v14
	s_wait_alu 0xfffd
	v_add_co_ci_u32_e32 v12, vcc_lo, v13, v15, vcc_lo
	s_wait_alu 0xfffd
	v_add_co_ci_u32_e32 v13, vcc_lo, 0, v21, vcc_lo
	s_delay_alu instid0(VALU_DEP_2) | instskip(SKIP_1) | instid1(VALU_DEP_2)
	v_add_co_u32 v14, vcc_lo, v12, v20
	s_wait_alu 0xfffd
	v_add_co_ci_u32_e64 v15, null, 0, v13, vcc_lo
	s_delay_alu instid0(VALU_DEP_2) | instskip(SKIP_1) | instid1(VALU_DEP_3)
	v_mul_lo_u32 v20, s47, v14
	v_mad_co_u64_u32 v[12:13], null, s46, v14, 0
	v_mul_lo_u32 v21, s46, v15
	s_delay_alu instid0(VALU_DEP_2) | instskip(NEXT) | instid1(VALU_DEP_2)
	v_sub_co_u32 v12, vcc_lo, v22, v12
	v_add3_u32 v13, v13, v21, v20
	v_add_co_u32 v21, s0, v14, 2
	s_wait_alu 0xf1ff
	v_add_co_ci_u32_e64 v22, null, 0, v15, s0
	s_delay_alu instid0(VALU_DEP_3) | instskip(SKIP_3) | instid1(VALU_DEP_3)
	v_sub_nc_u32_e32 v20, v23, v13
	v_sub_co_u32 v24, s0, v12, s46
	s_wait_alu 0xfffd
	v_sub_co_ci_u32_e64 v13, null, v23, v13, vcc_lo
	v_subrev_co_ci_u32_e64 v20, null, s47, v20, vcc_lo
	s_delay_alu instid0(VALU_DEP_3) | instskip(SKIP_1) | instid1(VALU_DEP_2)
	v_cmp_le_u32_e32 vcc_lo, s46, v24
	s_wait_alu 0xf1ff
	v_subrev_co_ci_u32_e64 v20, null, 0, v20, s0
	s_wait_alu 0xfffd
	v_cndmask_b32_e64 v23, 0, -1, vcc_lo
	s_delay_alu instid0(VALU_DEP_2)
	v_cmp_le_u32_e32 vcc_lo, s47, v20
	s_wait_alu 0xfffd
	v_cndmask_b32_e64 v24, 0, -1, vcc_lo
	v_cmp_le_u32_e32 vcc_lo, s46, v12
	s_wait_alu 0xfffd
	v_cndmask_b32_e64 v12, 0, -1, vcc_lo
	;; [unrolled: 3-line block ×3, first 2 shown]
	v_cmp_eq_u32_e32 vcc_lo, s47, v20
	s_wait_alu 0xfffd
	v_cndmask_b32_e32 v20, v24, v23, vcc_lo
	v_add_co_u32 v23, vcc_lo, v14, 1
	s_wait_alu 0xfffd
	v_add_co_ci_u32_e64 v24, null, 0, v15, vcc_lo
	v_cmp_eq_u32_e32 vcc_lo, s47, v13
	s_wait_alu 0xfffd
	v_cndmask_b32_e32 v12, v25, v12, vcc_lo
	v_cmp_ne_u32_e32 vcc_lo, 0, v20
	s_wait_alu 0xfffd
	v_cndmask_b32_e32 v13, v24, v22, vcc_lo
	s_delay_alu instid0(VALU_DEP_3) | instskip(SKIP_2) | instid1(VALU_DEP_2)
	v_cmp_ne_u32_e64 s0, 0, v12
	v_cndmask_b32_e32 v12, v23, v21, vcc_lo
	s_wait_alu 0xf1ff
	v_cndmask_b32_e64 v13, v15, v13, s0
	s_delay_alu instid0(VALU_DEP_2) | instskip(NEXT) | instid1(VALU_DEP_2)
	v_cndmask_b32_e64 v12, v14, v12, s0
	v_xor_b32_e32 v13, v13, v3
	s_delay_alu instid0(VALU_DEP_2) | instskip(NEXT) | instid1(VALU_DEP_1)
	v_xor_b32_e32 v12, v12, v3
	v_sub_co_u32 v12, vcc_lo, v12, v3
	s_wait_alu 0xfffd
	s_delay_alu instid0(VALU_DEP_3)
	v_sub_co_ci_u32_e64 v13, null, v13, v3, vcc_lo
.LBB91_15:                              ;   in Loop: Header=BB91_3 Depth=1
	s_wait_alu 0xfffe
	s_and_not1_saveexec_b32 s0, s1
	s_cbranch_execz .LBB91_17
; %bb.16:                               ;   in Loop: Header=BB91_3 Depth=1
	v_cvt_f32_u32_e32 v3, s42
	s_sub_co_i32 s1, 0, s42
	s_delay_alu instid0(VALU_DEP_1) | instskip(NEXT) | instid1(TRANS32_DEP_1)
	v_rcp_iflag_f32_e32 v3, v3
	v_mul_f32_e32 v3, 0x4f7ffffe, v3
	s_delay_alu instid0(VALU_DEP_1) | instskip(SKIP_1) | instid1(VALU_DEP_1)
	v_cvt_u32_f32_e32 v3, v3
	s_wait_alu 0xfffe
	v_mul_lo_u32 v12, s1, v3
	s_delay_alu instid0(VALU_DEP_1) | instskip(NEXT) | instid1(VALU_DEP_1)
	v_mul_hi_u32 v12, v3, v12
	v_add_nc_u32_e32 v3, v3, v12
	s_delay_alu instid0(VALU_DEP_1) | instskip(NEXT) | instid1(VALU_DEP_1)
	v_mul_hi_u32 v3, v10, v3
	v_mul_lo_u32 v12, v3, s42
	v_add_nc_u32_e32 v13, 1, v3
	s_delay_alu instid0(VALU_DEP_2) | instskip(NEXT) | instid1(VALU_DEP_1)
	v_sub_nc_u32_e32 v12, v10, v12
	v_subrev_nc_u32_e32 v14, s42, v12
	v_cmp_le_u32_e32 vcc_lo, s42, v12
	s_wait_alu 0xfffd
	s_delay_alu instid0(VALU_DEP_2) | instskip(NEXT) | instid1(VALU_DEP_1)
	v_dual_cndmask_b32 v12, v12, v14 :: v_dual_cndmask_b32 v3, v3, v13
	v_cmp_le_u32_e32 vcc_lo, s42, v12
	s_delay_alu instid0(VALU_DEP_2) | instskip(SKIP_1) | instid1(VALU_DEP_1)
	v_add_nc_u32_e32 v13, 1, v3
	s_wait_alu 0xfffd
	v_dual_cndmask_b32 v12, v3, v13 :: v_dual_mov_b32 v13, v2
.LBB91_17:                              ;   in Loop: Header=BB91_3 Depth=1
	s_wait_alu 0xfffe
	s_or_b32 exec_lo, exec_lo, s0
	s_delay_alu instid0(VALU_DEP_1) | instskip(NEXT) | instid1(VALU_DEP_2)
	v_mul_lo_u32 v3, v13, s42
	v_mul_lo_u32 v20, v12, s43
	s_load_b64 s[0:1], s[34:35], 0xd0
	v_mad_co_u64_u32 v[14:15], null, v12, s42, 0
	s_load_b64 s[42:43], s[36:37], 0xd0
	v_add3_u32 v3, v15, v20, v3
	v_sub_co_u32 v10, vcc_lo, v10, v14
	s_wait_alu 0xfffd
	s_delay_alu instid0(VALU_DEP_2) | instskip(SKIP_1) | instid1(VALU_DEP_1)
	v_sub_co_ci_u32_e64 v3, null, v11, v3, vcc_lo
	s_wait_kmcnt 0x0
	v_mul_lo_u32 v11, s0, v3
	v_mul_lo_u32 v14, s1, v10
	v_mad_co_u64_u32 v[8:9], null, s0, v10, v[8:9]
	v_mul_lo_u32 v3, s42, v3
	v_mul_lo_u32 v15, s43, v10
	v_mad_co_u64_u32 v[6:7], null, s42, v10, v[6:7]
	s_mov_b64 s[0:1], s[30:31]
	v_add3_u32 v9, v14, v9, v11
	v_dual_mov_b32 v10, v12 :: v_dual_mov_b32 v11, v13
	v_add3_u32 v7, v15, v7, v3
	s_and_not1_b32 vcc_lo, exec_lo, s61
	s_wait_alu 0xfffe
	s_cbranch_vccz .LBB91_19
	s_branch .LBB91_29
.LBB91_18:                              ;   in Loop: Header=BB91_3 Depth=1
	s_mov_b64 s[0:1], s[28:29]
	s_and_not1_b32 vcc_lo, exec_lo, s61
	s_wait_alu 0xfffe
	s_cbranch_vccnz .LBB91_29
.LBB91_19:                              ;   in Loop: Header=BB91_3 Depth=1
	s_lshl_b64 s[44:45], s[0:1], 3
	s_add_nc_u64 s[46:47], s[0:1], 1
	s_wait_alu 0xfffe
	s_add_nc_u64 s[42:43], s[38:39], s[44:45]
	s_add_nc_u64 s[44:45], s[20:21], s[44:45]
	s_branch .LBB91_21
.LBB91_20:                              ;   in Loop: Header=BB91_21 Depth=2
	s_wait_alu 0xfffe
	s_or_b32 exec_lo, exec_lo, s0
	v_mul_lo_u32 v3, v13, s48
	v_mul_lo_u32 v24, v12, s49
	v_mad_co_u64_u32 v[20:21], null, v12, s48, 0
	s_load_b64 s[0:1], s[44:45], 0xc8
	s_load_b64 s[48:49], s[42:43], 0x0
	v_mul_lo_u32 v25, v15, s54
	v_mul_lo_u32 v26, v14, s55
	v_mad_co_u64_u32 v[22:23], null, v14, s54, 0
	v_add3_u32 v3, v21, v24, v3
	v_sub_co_u32 v10, vcc_lo, v10, v20
	s_add_nc_u64 s[46:47], s[46:47], -2
	s_add_nc_u64 s[42:43], s[42:43], -16
	s_wait_alu 0xfffd
	v_sub_co_ci_u32_e64 v3, null, v11, v3, vcc_lo
	v_mul_lo_u32 v11, s53, v10
	v_mad_co_u64_u32 v[8:9], null, s52, v10, v[8:9]
	s_delay_alu instid0(VALU_DEP_3)
	v_mul_lo_u32 v20, s52, v3
	v_mul_lo_u32 v21, s51, v10
	v_mad_co_u64_u32 v[6:7], null, s50, v10, v[6:7]
	v_mul_lo_u32 v3, s50, v3
	v_add3_u32 v10, v23, v26, v25
	s_wait_alu 0xfffe
	s_cmp_eq_u64 s[46:47], 0
	s_add_nc_u64 s[44:45], s[44:45], -16
	v_add3_u32 v9, v11, v9, v20
	v_sub_co_u32 v11, vcc_lo, v12, v22
	s_wait_alu 0xfffd
	v_sub_co_ci_u32_e64 v10, null, v13, v10, vcc_lo
	v_add3_u32 v7, v21, v7, v3
	s_wait_kmcnt 0x0
	v_mad_co_u64_u32 v[8:9], null, s0, v11, v[8:9]
	s_delay_alu instid0(VALU_DEP_3) | instskip(SKIP_4) | instid1(VALU_DEP_4)
	v_mul_lo_u32 v3, s0, v10
	v_mul_lo_u32 v12, s1, v11
	;; [unrolled: 1-line block ×4, first 2 shown]
	v_mad_co_u64_u32 v[6:7], null, s48, v11, v[6:7]
	v_add3_u32 v9, v12, v9, v3
	s_delay_alu instid0(VALU_DEP_2)
	v_add3_u32 v7, v13, v7, v10
	v_dual_mov_b32 v10, v14 :: v_dual_mov_b32 v11, v15
	s_cbranch_scc1 .LBB91_29
.LBB91_21:                              ;   Parent Loop BB91_3 Depth=1
                                        ; =>  This Inner Loop Header: Depth=2
	s_load_b64 s[48:49], s[44:45], 0x8
                                        ; implicit-def: $vgpr12_vgpr13
	s_mov_b32 s0, exec_lo
	s_wait_kmcnt 0x0
	v_or_b32_e32 v3, s49, v11
	s_delay_alu instid0(VALU_DEP_1)
	v_cmpx_ne_u64_e32 0, v[2:3]
	s_wait_alu 0xfffe
	s_xor_b32 s1, exec_lo, s0
	s_cbranch_execz .LBB91_23
; %bb.22:                               ;   in Loop: Header=BB91_21 Depth=2
	s_ashr_i32 s50, s49, 31
	v_ashrrev_i32_e32 v3, 31, v11
	s_wait_alu 0xfffe
	s_mov_b32 s51, s50
	s_wait_alu 0xfffe
	s_add_nc_u64 s[52:53], s[48:49], s[50:51]
	v_add_co_u32 v12, vcc_lo, v10, v3
	s_wait_alu 0xfffe
	s_xor_b64 s[52:53], s[52:53], s[50:51]
	s_wait_alu 0xfffd
	v_add_co_ci_u32_e64 v13, null, v11, v3, vcc_lo
	s_wait_alu 0xfffe
	s_cvt_f32_u32 s0, s52
	s_cvt_f32_u32 s26, s53
	s_sub_nc_u64 s[56:57], 0, s[52:53]
	v_xor_b32_e32 v22, v12, v3
	v_xor_b32_e32 v23, v13, v3
	s_wait_alu 0xfffe
	s_fmamk_f32 s0, s26, 0x4f800000, s0
	v_xor_b32_e32 v3, s50, v3
	s_wait_alu 0xfffe
	s_delay_alu instid0(SALU_CYCLE_1) | instskip(NEXT) | instid1(TRANS32_DEP_1)
	v_s_rcp_f32 s0, s0
	s_mul_f32 s0, s0, 0x5f7ffffc
	s_wait_alu 0xfffe
	s_delay_alu instid0(SALU_CYCLE_2) | instskip(SKIP_1) | instid1(SALU_CYCLE_2)
	s_mul_f32 s26, s0, 0x2f800000
	s_wait_alu 0xfffe
	s_trunc_f32 s26, s26
	s_wait_alu 0xfffe
	s_delay_alu instid0(SALU_CYCLE_2) | instskip(SKIP_2) | instid1(SALU_CYCLE_1)
	s_fmamk_f32 s0, s26, 0xcf800000, s0
	s_cvt_u32_f32 s55, s26
	s_wait_alu 0xfffe
	s_cvt_u32_f32 s54, s0
	s_wait_alu 0xfffe
	s_delay_alu instid0(SALU_CYCLE_2)
	s_mul_u64 s[58:59], s[56:57], s[54:55]
	s_wait_alu 0xfffe
	s_mul_hi_u32 s65, s54, s59
	s_mul_i32 s64, s54, s59
	s_mul_hi_u32 s26, s54, s58
	s_mul_i32 s41, s55, s58
	s_wait_alu 0xfffe
	s_add_nc_u64 s[64:65], s[26:27], s[64:65]
	s_mul_hi_u32 s0, s55, s58
	s_mul_hi_u32 s51, s55, s59
	s_add_co_u32 s26, s64, s41
	s_wait_alu 0xfffe
	s_add_co_ci_u32 s26, s65, s0
	s_mul_i32 s58, s55, s59
	s_add_co_ci_u32 s59, s51, 0
	s_wait_alu 0xfffe
	s_add_nc_u64 s[58:59], s[26:27], s[58:59]
	s_wait_alu 0xfffe
	s_add_co_u32 s54, s54, s58
	s_cselect_b32 s0, -1, 0
	s_wait_alu 0xfffe
	s_cmp_lg_u32 s0, 0
	s_add_co_ci_u32 s55, s55, s59
	s_wait_alu 0xfffe
	s_mul_u64 s[56:57], s[56:57], s[54:55]
	s_wait_alu 0xfffe
	s_mul_hi_u32 s59, s54, s57
	s_mul_i32 s58, s54, s57
	s_mul_hi_u32 s26, s54, s56
	s_mul_i32 s41, s55, s56
	s_wait_alu 0xfffe
	s_add_nc_u64 s[58:59], s[26:27], s[58:59]
	s_mul_hi_u32 s0, s55, s56
	s_mul_hi_u32 s51, s55, s57
	s_wait_alu 0xfffe
	s_add_co_u32 s26, s58, s41
	s_add_co_ci_u32 s26, s59, s0
	s_mul_i32 s56, s55, s57
	s_add_co_ci_u32 s57, s51, 0
	s_wait_alu 0xfffe
	s_add_nc_u64 s[56:57], s[26:27], s[56:57]
	s_wait_alu 0xfffe
	s_add_co_u32 s0, s54, s56
	s_cselect_b32 s26, -1, 0
	s_wait_alu 0xfffe
	v_mul_hi_u32 v24, v22, s0
	s_cmp_lg_u32 s26, 0
	v_mad_co_u64_u32 v[14:15], null, v23, s0, 0
	s_add_co_ci_u32 s26, s55, s57
	s_wait_alu 0xfffe
	v_mad_co_u64_u32 v[12:13], null, v22, s26, 0
	v_mad_co_u64_u32 v[20:21], null, v23, s26, 0
	s_delay_alu instid0(VALU_DEP_2) | instskip(SKIP_1) | instid1(VALU_DEP_3)
	v_add_co_u32 v12, vcc_lo, v24, v12
	s_wait_alu 0xfffd
	v_add_co_ci_u32_e64 v13, null, 0, v13, vcc_lo
	s_delay_alu instid0(VALU_DEP_2) | instskip(SKIP_1) | instid1(VALU_DEP_2)
	v_add_co_u32 v12, vcc_lo, v12, v14
	s_wait_alu 0xfffd
	v_add_co_ci_u32_e32 v12, vcc_lo, v13, v15, vcc_lo
	s_wait_alu 0xfffd
	v_add_co_ci_u32_e32 v13, vcc_lo, 0, v21, vcc_lo
	s_delay_alu instid0(VALU_DEP_2) | instskip(SKIP_1) | instid1(VALU_DEP_2)
	v_add_co_u32 v14, vcc_lo, v12, v20
	s_wait_alu 0xfffd
	v_add_co_ci_u32_e64 v15, null, 0, v13, vcc_lo
	s_delay_alu instid0(VALU_DEP_2) | instskip(SKIP_1) | instid1(VALU_DEP_3)
	v_mul_lo_u32 v20, s53, v14
	v_mad_co_u64_u32 v[12:13], null, s52, v14, 0
	v_mul_lo_u32 v21, s52, v15
	s_delay_alu instid0(VALU_DEP_2) | instskip(NEXT) | instid1(VALU_DEP_2)
	v_sub_co_u32 v12, vcc_lo, v22, v12
	v_add3_u32 v13, v13, v21, v20
	v_add_co_u32 v21, s0, v14, 2
	s_wait_alu 0xf1ff
	v_add_co_ci_u32_e64 v22, null, 0, v15, s0
	s_delay_alu instid0(VALU_DEP_3) | instskip(SKIP_3) | instid1(VALU_DEP_3)
	v_sub_nc_u32_e32 v20, v23, v13
	v_sub_co_u32 v24, s0, v12, s52
	s_wait_alu 0xfffd
	v_sub_co_ci_u32_e64 v13, null, v23, v13, vcc_lo
	v_subrev_co_ci_u32_e64 v20, null, s53, v20, vcc_lo
	s_delay_alu instid0(VALU_DEP_3) | instskip(SKIP_1) | instid1(VALU_DEP_2)
	v_cmp_le_u32_e32 vcc_lo, s52, v24
	s_wait_alu 0xf1ff
	v_subrev_co_ci_u32_e64 v20, null, 0, v20, s0
	s_wait_alu 0xfffd
	v_cndmask_b32_e64 v23, 0, -1, vcc_lo
	s_delay_alu instid0(VALU_DEP_2)
	v_cmp_le_u32_e32 vcc_lo, s53, v20
	s_wait_alu 0xfffd
	v_cndmask_b32_e64 v24, 0, -1, vcc_lo
	v_cmp_le_u32_e32 vcc_lo, s52, v12
	s_wait_alu 0xfffd
	v_cndmask_b32_e64 v12, 0, -1, vcc_lo
	;; [unrolled: 3-line block ×3, first 2 shown]
	v_cmp_eq_u32_e32 vcc_lo, s53, v20
	s_wait_alu 0xfffd
	v_cndmask_b32_e32 v20, v24, v23, vcc_lo
	v_add_co_u32 v23, vcc_lo, v14, 1
	s_wait_alu 0xfffd
	v_add_co_ci_u32_e64 v24, null, 0, v15, vcc_lo
	v_cmp_eq_u32_e32 vcc_lo, s53, v13
	s_wait_alu 0xfffd
	v_cndmask_b32_e32 v12, v25, v12, vcc_lo
	v_cmp_ne_u32_e32 vcc_lo, 0, v20
	s_wait_alu 0xfffd
	v_cndmask_b32_e32 v13, v24, v22, vcc_lo
	s_delay_alu instid0(VALU_DEP_3) | instskip(SKIP_2) | instid1(VALU_DEP_2)
	v_cmp_ne_u32_e64 s0, 0, v12
	v_cndmask_b32_e32 v12, v23, v21, vcc_lo
	s_wait_alu 0xf1ff
	v_cndmask_b32_e64 v13, v15, v13, s0
	s_delay_alu instid0(VALU_DEP_2) | instskip(NEXT) | instid1(VALU_DEP_2)
	v_cndmask_b32_e64 v12, v14, v12, s0
	v_xor_b32_e32 v13, v13, v3
	s_delay_alu instid0(VALU_DEP_2) | instskip(NEXT) | instid1(VALU_DEP_1)
	v_xor_b32_e32 v12, v12, v3
	v_sub_co_u32 v12, vcc_lo, v12, v3
	s_wait_alu 0xfffd
	s_delay_alu instid0(VALU_DEP_3)
	v_sub_co_ci_u32_e64 v13, null, v13, v3, vcc_lo
.LBB91_23:                              ;   in Loop: Header=BB91_21 Depth=2
	s_wait_alu 0xfffe
	s_and_not1_saveexec_b32 s0, s1
	s_cbranch_execz .LBB91_25
; %bb.24:                               ;   in Loop: Header=BB91_21 Depth=2
	v_cvt_f32_u32_e32 v3, s48
	s_sub_co_i32 s1, 0, s48
	s_delay_alu instid0(VALU_DEP_1) | instskip(NEXT) | instid1(TRANS32_DEP_1)
	v_rcp_iflag_f32_e32 v3, v3
	v_mul_f32_e32 v3, 0x4f7ffffe, v3
	s_delay_alu instid0(VALU_DEP_1) | instskip(SKIP_1) | instid1(VALU_DEP_1)
	v_cvt_u32_f32_e32 v3, v3
	s_wait_alu 0xfffe
	v_mul_lo_u32 v12, s1, v3
	s_delay_alu instid0(VALU_DEP_1) | instskip(NEXT) | instid1(VALU_DEP_1)
	v_mul_hi_u32 v12, v3, v12
	v_add_nc_u32_e32 v3, v3, v12
	s_delay_alu instid0(VALU_DEP_1) | instskip(NEXT) | instid1(VALU_DEP_1)
	v_mul_hi_u32 v3, v10, v3
	v_mul_lo_u32 v12, v3, s48
	v_add_nc_u32_e32 v13, 1, v3
	s_delay_alu instid0(VALU_DEP_2) | instskip(NEXT) | instid1(VALU_DEP_1)
	v_sub_nc_u32_e32 v12, v10, v12
	v_subrev_nc_u32_e32 v14, s48, v12
	v_cmp_le_u32_e32 vcc_lo, s48, v12
	s_wait_alu 0xfffd
	s_delay_alu instid0(VALU_DEP_2) | instskip(NEXT) | instid1(VALU_DEP_1)
	v_dual_cndmask_b32 v12, v12, v14 :: v_dual_cndmask_b32 v3, v3, v13
	v_cmp_le_u32_e32 vcc_lo, s48, v12
	s_delay_alu instid0(VALU_DEP_2) | instskip(SKIP_1) | instid1(VALU_DEP_1)
	v_add_nc_u32_e32 v13, 1, v3
	s_wait_alu 0xfffd
	v_dual_cndmask_b32 v12, v3, v13 :: v_dual_mov_b32 v13, v2
.LBB91_25:                              ;   in Loop: Header=BB91_21 Depth=2
	s_wait_alu 0xfffe
	s_or_b32 exec_lo, exec_lo, s0
	s_clause 0x1
	s_load_b64 s[54:55], s[44:45], 0x0
	s_load_b64 s[52:53], s[44:45], 0xd0
	;; [unrolled: 1-line block ×3, first 2 shown]
                                        ; implicit-def: $vgpr14_vgpr15
	s_mov_b32 s0, exec_lo
	s_wait_kmcnt 0x0
	v_or_b32_e32 v3, s55, v13
	s_delay_alu instid0(VALU_DEP_1)
	v_cmpx_ne_u64_e32 0, v[2:3]
	s_wait_alu 0xfffe
	s_xor_b32 s1, exec_lo, s0
	s_cbranch_execz .LBB91_27
; %bb.26:                               ;   in Loop: Header=BB91_21 Depth=2
	s_ashr_i32 s56, s55, 31
	v_ashrrev_i32_e32 v3, 31, v13
	s_wait_alu 0xfffe
	s_mov_b32 s57, s56
	s_wait_alu 0xfffe
	s_add_nc_u64 s[58:59], s[54:55], s[56:57]
	v_add_co_u32 v14, vcc_lo, v12, v3
	s_wait_alu 0xfffe
	s_xor_b64 s[58:59], s[58:59], s[56:57]
	s_wait_alu 0xfffd
	v_add_co_ci_u32_e64 v15, null, v13, v3, vcc_lo
	s_wait_alu 0xfffe
	s_cvt_f32_u32 s0, s58
	s_cvt_f32_u32 s26, s59
	s_sub_nc_u64 s[66:67], 0, s[58:59]
	v_xor_b32_e32 v24, v14, v3
	v_xor_b32_e32 v25, v15, v3
	s_wait_alu 0xfffe
	s_fmamk_f32 s0, s26, 0x4f800000, s0
	v_xor_b32_e32 v3, s56, v3
	s_wait_alu 0xfffe
	s_delay_alu instid0(SALU_CYCLE_1) | instskip(NEXT) | instid1(TRANS32_DEP_1)
	v_s_rcp_f32 s0, s0
	s_mul_f32 s0, s0, 0x5f7ffffc
	s_wait_alu 0xfffe
	s_delay_alu instid0(SALU_CYCLE_2) | instskip(SKIP_1) | instid1(SALU_CYCLE_2)
	s_mul_f32 s26, s0, 0x2f800000
	s_wait_alu 0xfffe
	s_trunc_f32 s26, s26
	s_wait_alu 0xfffe
	s_delay_alu instid0(SALU_CYCLE_2) | instskip(SKIP_2) | instid1(SALU_CYCLE_1)
	s_fmamk_f32 s0, s26, 0xcf800000, s0
	s_cvt_u32_f32 s65, s26
	s_wait_alu 0xfffe
	s_cvt_u32_f32 s64, s0
	s_delay_alu instid0(SALU_CYCLE_3) | instskip(NEXT) | instid1(SALU_CYCLE_1)
	s_mul_u64 s[68:69], s[66:67], s[64:65]
	s_mul_hi_u32 s71, s64, s69
	s_mul_i32 s70, s64, s69
	s_mul_hi_u32 s26, s64, s68
	s_mul_i32 s41, s65, s68
	s_wait_alu 0xfffe
	s_add_nc_u64 s[70:71], s[26:27], s[70:71]
	s_mul_hi_u32 s0, s65, s68
	s_mul_hi_u32 s57, s65, s69
	s_add_co_u32 s26, s70, s41
	s_wait_alu 0xfffe
	s_add_co_ci_u32 s26, s71, s0
	s_mul_i32 s68, s65, s69
	s_add_co_ci_u32 s69, s57, 0
	s_wait_alu 0xfffe
	s_add_nc_u64 s[68:69], s[26:27], s[68:69]
	s_delay_alu instid0(SALU_CYCLE_1) | instskip(SKIP_4) | instid1(SALU_CYCLE_1)
	s_add_co_u32 s64, s64, s68
	s_cselect_b32 s0, -1, 0
	s_wait_alu 0xfffe
	s_cmp_lg_u32 s0, 0
	s_add_co_ci_u32 s65, s65, s69
	s_mul_u64 s[66:67], s[66:67], s[64:65]
	s_delay_alu instid0(SALU_CYCLE_1)
	s_mul_hi_u32 s69, s64, s67
	s_mul_i32 s68, s64, s67
	s_mul_hi_u32 s26, s64, s66
	s_mul_i32 s41, s65, s66
	s_wait_alu 0xfffe
	s_add_nc_u64 s[68:69], s[26:27], s[68:69]
	s_mul_hi_u32 s0, s65, s66
	s_mul_hi_u32 s57, s65, s67
	s_add_co_u32 s26, s68, s41
	s_wait_alu 0xfffe
	s_add_co_ci_u32 s26, s69, s0
	s_mul_i32 s66, s65, s67
	s_add_co_ci_u32 s67, s57, 0
	s_wait_alu 0xfffe
	s_add_nc_u64 s[66:67], s[26:27], s[66:67]
	s_delay_alu instid0(SALU_CYCLE_1)
	s_add_co_u32 s0, s64, s66
	s_cselect_b32 s26, -1, 0
	s_wait_alu 0xfffe
	v_mul_hi_u32 v26, v24, s0
	s_cmp_lg_u32 s26, 0
	v_mad_co_u64_u32 v[20:21], null, v25, s0, 0
	s_add_co_ci_u32 s26, s65, s67
	s_wait_alu 0xfffe
	v_mad_co_u64_u32 v[14:15], null, v24, s26, 0
	v_mad_co_u64_u32 v[22:23], null, v25, s26, 0
	s_delay_alu instid0(VALU_DEP_2) | instskip(SKIP_1) | instid1(VALU_DEP_3)
	v_add_co_u32 v14, vcc_lo, v26, v14
	s_wait_alu 0xfffd
	v_add_co_ci_u32_e64 v15, null, 0, v15, vcc_lo
	s_delay_alu instid0(VALU_DEP_2) | instskip(SKIP_1) | instid1(VALU_DEP_2)
	v_add_co_u32 v14, vcc_lo, v14, v20
	s_wait_alu 0xfffd
	v_add_co_ci_u32_e32 v14, vcc_lo, v15, v21, vcc_lo
	s_wait_alu 0xfffd
	v_add_co_ci_u32_e32 v15, vcc_lo, 0, v23, vcc_lo
	s_delay_alu instid0(VALU_DEP_2) | instskip(SKIP_1) | instid1(VALU_DEP_2)
	v_add_co_u32 v20, vcc_lo, v14, v22
	s_wait_alu 0xfffd
	v_add_co_ci_u32_e64 v21, null, 0, v15, vcc_lo
	s_delay_alu instid0(VALU_DEP_2) | instskip(SKIP_1) | instid1(VALU_DEP_3)
	v_mul_lo_u32 v22, s59, v20
	v_mad_co_u64_u32 v[14:15], null, s58, v20, 0
	v_mul_lo_u32 v23, s58, v21
	s_delay_alu instid0(VALU_DEP_2) | instskip(NEXT) | instid1(VALU_DEP_2)
	v_sub_co_u32 v14, vcc_lo, v24, v14
	v_add3_u32 v15, v15, v23, v22
	v_add_co_u32 v23, s0, v20, 2
	s_wait_alu 0xf1ff
	v_add_co_ci_u32_e64 v24, null, 0, v21, s0
	s_delay_alu instid0(VALU_DEP_3) | instskip(SKIP_3) | instid1(VALU_DEP_3)
	v_sub_nc_u32_e32 v22, v25, v15
	v_sub_co_u32 v26, s0, v14, s58
	s_wait_alu 0xfffd
	v_sub_co_ci_u32_e64 v15, null, v25, v15, vcc_lo
	v_subrev_co_ci_u32_e64 v22, null, s59, v22, vcc_lo
	s_delay_alu instid0(VALU_DEP_3) | instskip(SKIP_1) | instid1(VALU_DEP_2)
	v_cmp_le_u32_e32 vcc_lo, s58, v26
	s_wait_alu 0xf1ff
	v_subrev_co_ci_u32_e64 v22, null, 0, v22, s0
	s_wait_alu 0xfffd
	v_cndmask_b32_e64 v25, 0, -1, vcc_lo
	s_delay_alu instid0(VALU_DEP_2)
	v_cmp_le_u32_e32 vcc_lo, s59, v22
	s_wait_alu 0xfffd
	v_cndmask_b32_e64 v26, 0, -1, vcc_lo
	v_cmp_le_u32_e32 vcc_lo, s58, v14
	s_wait_alu 0xfffd
	v_cndmask_b32_e64 v14, 0, -1, vcc_lo
	;; [unrolled: 3-line block ×3, first 2 shown]
	v_cmp_eq_u32_e32 vcc_lo, s59, v22
	s_wait_alu 0xfffd
	v_cndmask_b32_e32 v22, v26, v25, vcc_lo
	v_add_co_u32 v25, vcc_lo, v20, 1
	s_wait_alu 0xfffd
	v_add_co_ci_u32_e64 v26, null, 0, v21, vcc_lo
	v_cmp_eq_u32_e32 vcc_lo, s59, v15
	s_wait_alu 0xfffd
	v_cndmask_b32_e32 v14, v27, v14, vcc_lo
	v_cmp_ne_u32_e32 vcc_lo, 0, v22
	s_wait_alu 0xfffd
	v_cndmask_b32_e32 v15, v26, v24, vcc_lo
	s_delay_alu instid0(VALU_DEP_3) | instskip(SKIP_2) | instid1(VALU_DEP_2)
	v_cmp_ne_u32_e64 s0, 0, v14
	v_cndmask_b32_e32 v14, v25, v23, vcc_lo
	s_wait_alu 0xf1ff
	v_cndmask_b32_e64 v15, v21, v15, s0
	s_delay_alu instid0(VALU_DEP_2) | instskip(NEXT) | instid1(VALU_DEP_2)
	v_cndmask_b32_e64 v14, v20, v14, s0
	v_xor_b32_e32 v15, v15, v3
	s_delay_alu instid0(VALU_DEP_2) | instskip(NEXT) | instid1(VALU_DEP_1)
	v_xor_b32_e32 v14, v14, v3
	v_sub_co_u32 v14, vcc_lo, v14, v3
	s_wait_alu 0xfffd
	s_delay_alu instid0(VALU_DEP_3)
	v_sub_co_ci_u32_e64 v15, null, v15, v3, vcc_lo
.LBB91_27:                              ;   in Loop: Header=BB91_21 Depth=2
	s_wait_alu 0xfffe
	s_and_not1_saveexec_b32 s0, s1
	s_cbranch_execz .LBB91_20
; %bb.28:                               ;   in Loop: Header=BB91_21 Depth=2
	v_cvt_f32_u32_e32 v3, s54
	s_sub_co_i32 s1, 0, s54
	s_delay_alu instid0(VALU_DEP_1) | instskip(NEXT) | instid1(TRANS32_DEP_1)
	v_rcp_iflag_f32_e32 v3, v3
	v_mul_f32_e32 v3, 0x4f7ffffe, v3
	s_delay_alu instid0(VALU_DEP_1) | instskip(SKIP_1) | instid1(VALU_DEP_1)
	v_cvt_u32_f32_e32 v3, v3
	s_wait_alu 0xfffe
	v_mul_lo_u32 v14, s1, v3
	s_delay_alu instid0(VALU_DEP_1) | instskip(NEXT) | instid1(VALU_DEP_1)
	v_mul_hi_u32 v14, v3, v14
	v_add_nc_u32_e32 v3, v3, v14
	s_delay_alu instid0(VALU_DEP_1) | instskip(NEXT) | instid1(VALU_DEP_1)
	v_mul_hi_u32 v3, v12, v3
	v_mul_lo_u32 v14, v3, s54
	v_add_nc_u32_e32 v15, 1, v3
	s_delay_alu instid0(VALU_DEP_2) | instskip(NEXT) | instid1(VALU_DEP_1)
	v_sub_nc_u32_e32 v14, v12, v14
	v_subrev_nc_u32_e32 v20, s54, v14
	v_cmp_le_u32_e32 vcc_lo, s54, v14
	s_wait_alu 0xfffd
	s_delay_alu instid0(VALU_DEP_2) | instskip(NEXT) | instid1(VALU_DEP_1)
	v_dual_cndmask_b32 v14, v14, v20 :: v_dual_cndmask_b32 v3, v3, v15
	v_cmp_le_u32_e32 vcc_lo, s54, v14
	s_delay_alu instid0(VALU_DEP_2) | instskip(SKIP_1) | instid1(VALU_DEP_1)
	v_add_nc_u32_e32 v15, 1, v3
	s_wait_alu 0xfffd
	v_dual_cndmask_b32 v14, v3, v15 :: v_dual_mov_b32 v15, v2
	s_branch .LBB91_20
.LBB91_29:                              ;   in Loop: Header=BB91_3 Depth=1
	v_sub_co_u32 v10, vcc_lo, v4, v18
	s_wait_alu 0xfffd
	v_sub_co_ci_u32_e64 v11, null, v5, v19, vcc_lo
	v_dual_mov_b32 v12, 0 :: v_dual_mov_b32 v13, 0
	s_delay_alu instid0(VALU_DEP_3) | instskip(SKIP_1) | instid1(VALU_DEP_3)
	v_add_co_u32 v14, vcc_lo, v10, 2
	s_wait_alu 0xfffd
	v_add_co_ci_u32_e64 v15, null, 0, v11, vcc_lo
	s_delay_alu instid0(VALU_DEP_1)
	v_cmp_le_i64_e32 vcc_lo, s[4:5], v[14:15]
	v_dual_mov_b32 v14, 0 :: v_dual_mov_b32 v15, 0
	s_and_saveexec_b32 s1, vcc_lo
	s_cbranch_execz .LBB91_35
; %bb.30:                               ;   in Loop: Header=BB91_3 Depth=1
	v_dual_mov_b32 v14, 0 :: v_dual_mov_b32 v3, 0
	v_dual_mov_b32 v13, 0 :: v_dual_mov_b32 v12, 0
	s_mov_b32 s0, exec_lo
	v_cmpx_gt_i64_e64 s[10:11], v[4:5]
	s_cbranch_execz .LBB91_34
; %bb.31:                               ;   in Loop: Header=BB91_3 Depth=1
	v_lshlrev_b64_e32 v[8:9], 2, v[8:9]
	s_delay_alu instid0(VALU_DEP_1) | instskip(SKIP_1) | instid1(VALU_DEP_2)
	v_add_co_u32 v8, vcc_lo, s2, v8
	s_wait_alu 0xfffd
	v_add_co_ci_u32_e64 v9, null, s3, v9, vcc_lo
	v_add_co_u32 v12, vcc_lo, v4, 1
	s_wait_alu 0xfffd
	v_add_co_ci_u32_e64 v13, null, 0, v5, vcc_lo
	global_load_b32 v3, v[8:9], off
	v_cmp_gt_i64_e32 vcc_lo, s[10:11], v[12:13]
	v_dual_mov_b32 v12, 0 :: v_dual_mov_b32 v13, 0
	s_and_saveexec_b32 s26, vcc_lo
	s_wait_alu 0xfffe
	s_xor_b32 s26, exec_lo, s26
	s_cbranch_execz .LBB91_33
; %bb.32:                               ;   in Loop: Header=BB91_3 Depth=1
	s_lshl_b64 s[42:43], s[14:15], 2
	s_wait_alu 0xfffe
	v_add_co_u32 v8, vcc_lo, v8, s42
	s_wait_alu 0xfffd
	v_add_co_ci_u32_e64 v9, null, s43, v9, vcc_lo
	global_load_b32 v8, v[8:9], off
	s_wait_loadcnt 0x0
	v_and_b32_e32 v13, 0xffff0000, v8
	v_and_b32_e32 v12, 0xffff, v8
.LBB91_33:                              ;   in Loop: Header=BB91_3 Depth=1
	s_wait_alu 0xfffe
	s_or_b32 exec_lo, exec_lo, s26
	s_wait_loadcnt 0x0
	v_lshrrev_b32_e32 v14, 16, v3
.LBB91_34:                              ;   in Loop: Header=BB91_3 Depth=1
	s_wait_alu 0xfffe
	s_or_b32 exec_lo, exec_lo, s0
	v_add_co_u32 v8, vcc_lo, v10, 1
	s_wait_alu 0xfffd
	v_add_co_ci_u32_e64 v9, null, 0, v11, vcc_lo
	v_cmp_gt_i64_e32 vcc_lo, s[4:5], v[10:11]
	v_and_b32_e32 v3, 0xffff, v3
	v_lshlrev_b32_e32 v10, 16, v14
	s_delay_alu instid0(VALU_DEP_4) | instskip(SKIP_1) | instid1(VALU_DEP_3)
	v_cmp_gt_i64_e64 s0, s[4:5], v[8:9]
	s_wait_alu 0xfffd
	v_cndmask_b32_e64 v14, v3, 0, vcc_lo
	s_delay_alu instid0(VALU_DEP_3) | instskip(SKIP_1) | instid1(VALU_DEP_3)
	v_cndmask_b32_e64 v15, v10, 0, vcc_lo
	s_wait_alu 0xf1ff
	v_cndmask_b32_e64 v12, v12, 0, s0
	v_cndmask_b32_e64 v13, v13, 0, s0
.LBB91_35:                              ;   in Loop: Header=BB91_3 Depth=1
	s_wait_alu 0xfffe
	s_or_b32 exec_lo, exec_lo, s1
	s_delay_alu instid0(SALU_CYCLE_1)
	s_mov_b32 s0, exec_lo
	v_cmpx_gt_i64_e64 s[10:11], v[4:5]
	s_cbranch_execz .LBB91_2
; %bb.36:                               ;   in Loop: Header=BB91_3 Depth=1
	v_lshlrev_b64_e32 v[6:7], 2, v[6:7]
	v_add_co_u32 v8, vcc_lo, v4, 1
	s_wait_alu 0xfffd
	v_add_co_ci_u32_e64 v9, null, 0, v5, vcc_lo
	v_or_b32_e32 v5, v15, v14
	s_delay_alu instid0(VALU_DEP_4)
	v_add_co_u32 v3, vcc_lo, s24, v6
	s_wait_alu 0xfffd
	v_add_co_ci_u32_e64 v4, null, s25, v7, vcc_lo
	s_mov_b32 s1, exec_lo
	global_store_b32 v[3:4], v5, off
	v_cmpx_gt_i64_e64 s[10:11], v[8:9]
	s_wait_alu 0xfffe
	s_xor_b32 s1, exec_lo, s1
	s_cbranch_execz .LBB91_2
; %bb.37:                               ;   in Loop: Header=BB91_3 Depth=1
	s_lshl_b64 s[42:43], s[18:19], 2
	v_or_b32_e32 v5, v13, v12
	s_wait_alu 0xfffe
	v_add_co_u32 v3, vcc_lo, v3, s42
	s_wait_alu 0xfffd
	v_add_co_ci_u32_e64 v4, null, s43, v4, vcc_lo
	global_store_b32 v[3:4], v5, off
	s_branch .LBB91_2
.LBB91_38:
	s_endpgm
	.section	.rodata,"a",@progbits
	.p2align	6, 0x0
	.amdhsa_kernel _ZN2at6native16triu_tril_kernelIN3c107complexINS2_4HalfEEElLb1ELi2ELb0EEEvNS_4cuda6detail10TensorInfoIT_T0_EENS8_IKS9_SA_EEllSA_
		.amdhsa_group_segment_fixed_size 0
		.amdhsa_private_segment_fixed_size 0
		.amdhsa_kernarg_size 1112
		.amdhsa_user_sgpr_count 2
		.amdhsa_user_sgpr_dispatch_ptr 0
		.amdhsa_user_sgpr_queue_ptr 0
		.amdhsa_user_sgpr_kernarg_segment_ptr 1
		.amdhsa_user_sgpr_dispatch_id 0
		.amdhsa_user_sgpr_private_segment_size 0
		.amdhsa_wavefront_size32 1
		.amdhsa_uses_dynamic_stack 0
		.amdhsa_enable_private_segment 0
		.amdhsa_system_sgpr_workgroup_id_x 1
		.amdhsa_system_sgpr_workgroup_id_y 0
		.amdhsa_system_sgpr_workgroup_id_z 0
		.amdhsa_system_sgpr_workgroup_info 0
		.amdhsa_system_vgpr_workitem_id 0
		.amdhsa_next_free_vgpr 28
		.amdhsa_next_free_sgpr 72
		.amdhsa_reserve_vcc 1
		.amdhsa_float_round_mode_32 0
		.amdhsa_float_round_mode_16_64 0
		.amdhsa_float_denorm_mode_32 3
		.amdhsa_float_denorm_mode_16_64 3
		.amdhsa_fp16_overflow 0
		.amdhsa_workgroup_processor_mode 1
		.amdhsa_memory_ordered 1
		.amdhsa_forward_progress 1
		.amdhsa_inst_pref_size 52
		.amdhsa_round_robin_scheduling 0
		.amdhsa_exception_fp_ieee_invalid_op 0
		.amdhsa_exception_fp_denorm_src 0
		.amdhsa_exception_fp_ieee_div_zero 0
		.amdhsa_exception_fp_ieee_overflow 0
		.amdhsa_exception_fp_ieee_underflow 0
		.amdhsa_exception_fp_ieee_inexact 0
		.amdhsa_exception_int_div_zero 0
	.end_amdhsa_kernel
	.section	.text._ZN2at6native16triu_tril_kernelIN3c107complexINS2_4HalfEEElLb1ELi2ELb0EEEvNS_4cuda6detail10TensorInfoIT_T0_EENS8_IKS9_SA_EEllSA_,"axG",@progbits,_ZN2at6native16triu_tril_kernelIN3c107complexINS2_4HalfEEElLb1ELi2ELb0EEEvNS_4cuda6detail10TensorInfoIT_T0_EENS8_IKS9_SA_EEllSA_,comdat
.Lfunc_end91:
	.size	_ZN2at6native16triu_tril_kernelIN3c107complexINS2_4HalfEEElLb1ELi2ELb0EEEvNS_4cuda6detail10TensorInfoIT_T0_EENS8_IKS9_SA_EEllSA_, .Lfunc_end91-_ZN2at6native16triu_tril_kernelIN3c107complexINS2_4HalfEEElLb1ELi2ELb0EEEvNS_4cuda6detail10TensorInfoIT_T0_EENS8_IKS9_SA_EEllSA_
                                        ; -- End function
	.set _ZN2at6native16triu_tril_kernelIN3c107complexINS2_4HalfEEElLb1ELi2ELb0EEEvNS_4cuda6detail10TensorInfoIT_T0_EENS8_IKS9_SA_EEllSA_.num_vgpr, 28
	.set _ZN2at6native16triu_tril_kernelIN3c107complexINS2_4HalfEEElLb1ELi2ELb0EEEvNS_4cuda6detail10TensorInfoIT_T0_EENS8_IKS9_SA_EEllSA_.num_agpr, 0
	.set _ZN2at6native16triu_tril_kernelIN3c107complexINS2_4HalfEEElLb1ELi2ELb0EEEvNS_4cuda6detail10TensorInfoIT_T0_EENS8_IKS9_SA_EEllSA_.numbered_sgpr, 72
	.set _ZN2at6native16triu_tril_kernelIN3c107complexINS2_4HalfEEElLb1ELi2ELb0EEEvNS_4cuda6detail10TensorInfoIT_T0_EENS8_IKS9_SA_EEllSA_.num_named_barrier, 0
	.set _ZN2at6native16triu_tril_kernelIN3c107complexINS2_4HalfEEElLb1ELi2ELb0EEEvNS_4cuda6detail10TensorInfoIT_T0_EENS8_IKS9_SA_EEllSA_.private_seg_size, 0
	.set _ZN2at6native16triu_tril_kernelIN3c107complexINS2_4HalfEEElLb1ELi2ELb0EEEvNS_4cuda6detail10TensorInfoIT_T0_EENS8_IKS9_SA_EEllSA_.uses_vcc, 1
	.set _ZN2at6native16triu_tril_kernelIN3c107complexINS2_4HalfEEElLb1ELi2ELb0EEEvNS_4cuda6detail10TensorInfoIT_T0_EENS8_IKS9_SA_EEllSA_.uses_flat_scratch, 0
	.set _ZN2at6native16triu_tril_kernelIN3c107complexINS2_4HalfEEElLb1ELi2ELb0EEEvNS_4cuda6detail10TensorInfoIT_T0_EENS8_IKS9_SA_EEllSA_.has_dyn_sized_stack, 0
	.set _ZN2at6native16triu_tril_kernelIN3c107complexINS2_4HalfEEElLb1ELi2ELb0EEEvNS_4cuda6detail10TensorInfoIT_T0_EENS8_IKS9_SA_EEllSA_.has_recursion, 0
	.set _ZN2at6native16triu_tril_kernelIN3c107complexINS2_4HalfEEElLb1ELi2ELb0EEEvNS_4cuda6detail10TensorInfoIT_T0_EENS8_IKS9_SA_EEllSA_.has_indirect_call, 0
	.section	.AMDGPU.csdata,"",@progbits
; Kernel info:
; codeLenInByte = 6600
; TotalNumSgprs: 74
; NumVgprs: 28
; ScratchSize: 0
; MemoryBound: 0
; FloatMode: 240
; IeeeMode: 1
; LDSByteSize: 0 bytes/workgroup (compile time only)
; SGPRBlocks: 0
; VGPRBlocks: 3
; NumSGPRsForWavesPerEU: 74
; NumVGPRsForWavesPerEU: 28
; Occupancy: 16
; WaveLimiterHint : 0
; COMPUTE_PGM_RSRC2:SCRATCH_EN: 0
; COMPUTE_PGM_RSRC2:USER_SGPR: 2
; COMPUTE_PGM_RSRC2:TRAP_HANDLER: 0
; COMPUTE_PGM_RSRC2:TGID_X_EN: 1
; COMPUTE_PGM_RSRC2:TGID_Y_EN: 0
; COMPUTE_PGM_RSRC2:TGID_Z_EN: 0
; COMPUTE_PGM_RSRC2:TIDIG_COMP_CNT: 0
	.section	.text._ZN2at6native16triu_tril_kernelIN3c104HalfEiLb1ELi4ELb1EEEvNS_4cuda6detail10TensorInfoIT_T0_EENS6_IKS7_S8_EEllS8_,"axG",@progbits,_ZN2at6native16triu_tril_kernelIN3c104HalfEiLb1ELi4ELb1EEEvNS_4cuda6detail10TensorInfoIT_T0_EENS6_IKS7_S8_EEllS8_,comdat
	.protected	_ZN2at6native16triu_tril_kernelIN3c104HalfEiLb1ELi4ELb1EEEvNS_4cuda6detail10TensorInfoIT_T0_EENS6_IKS7_S8_EEllS8_ ; -- Begin function _ZN2at6native16triu_tril_kernelIN3c104HalfEiLb1ELi4ELb1EEEvNS_4cuda6detail10TensorInfoIT_T0_EENS6_IKS7_S8_EEllS8_
	.globl	_ZN2at6native16triu_tril_kernelIN3c104HalfEiLb1ELi4ELb1EEEvNS_4cuda6detail10TensorInfoIT_T0_EENS6_IKS7_S8_EEllS8_
	.p2align	8
	.type	_ZN2at6native16triu_tril_kernelIN3c104HalfEiLb1ELi4ELb1EEEvNS_4cuda6detail10TensorInfoIT_T0_EENS6_IKS7_S8_EEllS8_,@function
_ZN2at6native16triu_tril_kernelIN3c104HalfEiLb1ELi4ELb1EEEvNS_4cuda6detail10TensorInfoIT_T0_EENS6_IKS7_S8_EEllS8_: ; @_ZN2at6native16triu_tril_kernelIN3c104HalfEiLb1ELi4ELb1EEEvNS_4cuda6detail10TensorInfoIT_T0_EENS6_IKS7_S8_EEllS8_
; %bb.0:
	s_clause 0x1
	s_load_b32 s2, s[0:1], 0x1d4
	s_load_b128 s[4:7], s[0:1], 0x1b0
	v_mov_b32_e32 v2, 0
	s_mov_b32 s3, exec_lo
	s_delay_alu instid0(VALU_DEP_1)
	v_mov_b32_e32 v1, v2
	s_wait_kmcnt 0x0
	s_and_b32 s2, s2, 0xffff
	s_delay_alu instid0(VALU_DEP_1) | instid1(SALU_CYCLE_1)
	v_mad_co_u64_u32 v[0:1], null, s2, ttmp9, v[0:1]
	s_delay_alu instid0(VALU_DEP_1) | instskip(NEXT) | instid1(VALU_DEP_1)
	v_lshlrev_b64_e32 v[0:1], 2, v[0:1]
	v_cmpx_gt_i64_e64 s[6:7], v[0:1]
	s_cbranch_execz .LBB92_66
; %bb.1:
	s_clause 0x1
	s_load_b32 s20, s[0:1], 0x1a8
	s_load_b32 s8, s[0:1], 0x1c0
	s_add_nc_u64 s[12:13], s[0:1], 0x1c8
	s_add_nc_u64 s[10:11], s[0:1], 0xd8
	s_load_b32 s3, s[12:13], 0x0
	s_mov_b32 s19, 0
	s_mov_b32 s57, 0
	s_wait_kmcnt 0x0
	s_ashr_i32 s21, s20, 31
	v_cvt_f32_u32_e32 v3, s8
	s_lshl_b64 s[22:23], s[20:21], 2
	s_add_co_i32 s9, s20, 6
	s_add_nc_u64 s[12:13], s[10:11], s[22:23]
	s_mul_i32 s3, s3, s2
	s_clause 0x1
	s_load_b32 s14, s[12:13], 0x0
	s_load_b64 s[16:17], s[0:1], 0x0
	v_rcp_iflag_f32_e32 v3, v3
	s_and_b32 s18, s20, 7
	s_add_co_i32 s33, s20, -3
	s_and_b32 s52, s9, 7
	s_lshl_b32 s53, s3, 2
	s_ashr_i32 s9, s8, 31
	v_cmp_gt_i64_e64 s56, s[20:21], 2
	s_add_nc_u64 s[20:21], s[0:1], s[22:23]
	s_wait_kmcnt 0x0
	v_cvt_f32_u32_e32 v4, s14
	s_ashr_i32 s15, s14, 31
	s_cmp_lg_u32 s18, 2
	s_cselect_b32 s54, -1, 0
	s_delay_alu instid0(VALU_DEP_1)
	v_rcp_iflag_f32_e32 v4, v4
	v_mul_f32_e32 v3, 0x4f7ffffe, v3
	s_cmp_gt_u32 s33, 6
	s_cselect_b32 s55, -1, 0
	s_sub_co_i32 s2, 0, s8
	s_wait_alu 0xfffe
	s_ashr_i32 s22, s9, 31
	s_ashr_i32 s24, s15, 31
	s_delay_alu instid0(TRANS32_DEP_1) | instskip(SKIP_1) | instid1(VALU_DEP_2)
	v_mul_f32_e32 v4, 0x4f7ffffe, v4
	v_cvt_u32_f32_e32 v3, v3
	v_cvt_u32_f32_e32 v24, v4
	s_delay_alu instid0(VALU_DEP_2) | instskip(NEXT) | instid1(VALU_DEP_1)
	v_mul_lo_u32 v5, s2, v3
	v_mul_hi_u32 v5, v3, v5
	s_delay_alu instid0(VALU_DEP_1)
	v_add_nc_u32_e32 v25, v3, v5
	s_branch .LBB92_3
.LBB92_2:                               ;   in Loop: Header=BB92_3 Depth=1
	s_wait_alu 0xfffe
	s_or_b32 exec_lo, exec_lo, s23
	v_add_co_u32 v0, vcc_lo, v0, s53
	s_wait_alu 0xfffd
	v_add_co_ci_u32_e64 v1, null, 0, v1, vcc_lo
	s_delay_alu instid0(VALU_DEP_1) | instskip(SKIP_1) | instid1(SALU_CYCLE_1)
	v_cmp_le_i64_e32 vcc_lo, s[6:7], v[0:1]
	s_or_b32 s57, vcc_lo, s57
	s_and_not1_b32 exec_lo, exec_lo, s57
	s_cbranch_execz .LBB92_66
.LBB92_3:                               ; =>This Loop Header: Depth=1
                                        ;     Child Loop BB92_16 Depth 2
                                        ;     Child Loop BB92_22 Depth 2
	v_or_b32_e32 v3, s9, v1
                                        ; implicit-def: $vgpr4_vgpr5
	s_mov_b32 s2, exec_lo
	s_delay_alu instid0(VALU_DEP_1)
	v_cmpx_ne_u64_e32 0, v[2:3]
	s_wait_alu 0xfffe
	s_xor_b32 s3, exec_lo, s2
	s_cbranch_execz .LBB92_5
; %bb.4:                                ;   in Loop: Header=BB92_3 Depth=1
	s_mov_b32 s23, s22
	v_ashrrev_i32_e32 v9, 31, v1
	s_wait_alu 0xfffe
	s_add_nc_u64 s[26:27], s[8:9], s[22:23]
	s_wait_alu 0xfffe
	s_xor_b64 s[26:27], s[26:27], s[22:23]
	v_add_co_u32 v3, vcc_lo, v0, v9
	s_wait_alu 0xfffe
	s_cvt_f32_u32 s2, s26
	s_cvt_f32_u32 s18, s27
	s_sub_nc_u64 s[30:31], 0, s[26:27]
	s_wait_alu 0xfffd
	v_add_co_ci_u32_e64 v4, null, v1, v9, vcc_lo
	s_wait_alu 0xfffe
	s_fmamk_f32 s2, s18, 0x4f800000, s2
	v_xor_b32_e32 v10, v3, v9
	s_delay_alu instid0(VALU_DEP_2) | instskip(SKIP_2) | instid1(TRANS32_DEP_1)
	v_xor_b32_e32 v11, v4, v9
	s_wait_alu 0xfffe
	v_s_rcp_f32 s2, s2
	s_mul_f32 s2, s2, 0x5f7ffffc
	s_wait_alu 0xfffe
	s_delay_alu instid0(SALU_CYCLE_2) | instskip(SKIP_1) | instid1(SALU_CYCLE_2)
	s_mul_f32 s18, s2, 0x2f800000
	s_wait_alu 0xfffe
	s_trunc_f32 s18, s18
	s_wait_alu 0xfffe
	s_delay_alu instid0(SALU_CYCLE_2) | instskip(SKIP_2) | instid1(SALU_CYCLE_1)
	s_fmamk_f32 s2, s18, 0xcf800000, s2
	s_cvt_u32_f32 s29, s18
	s_wait_alu 0xfffe
	s_cvt_u32_f32 s28, s2
	s_wait_alu 0xfffe
	s_delay_alu instid0(SALU_CYCLE_2)
	s_mul_u64 s[34:35], s[30:31], s[28:29]
	s_wait_alu 0xfffe
	s_mul_hi_u32 s37, s28, s35
	s_mul_i32 s36, s28, s35
	s_mul_hi_u32 s18, s28, s34
	s_mul_i32 s23, s29, s34
	s_wait_alu 0xfffe
	s_add_nc_u64 s[36:37], s[18:19], s[36:37]
	s_mul_hi_u32 s2, s29, s34
	s_mul_hi_u32 s25, s29, s35
	s_wait_alu 0xfffe
	s_add_co_u32 s18, s36, s23
	s_add_co_ci_u32 s18, s37, s2
	s_mul_i32 s34, s29, s35
	s_add_co_ci_u32 s35, s25, 0
	s_wait_alu 0xfffe
	s_add_nc_u64 s[34:35], s[18:19], s[34:35]
	s_wait_alu 0xfffe
	s_add_co_u32 s28, s28, s34
	s_cselect_b32 s2, -1, 0
	s_wait_alu 0xfffe
	s_cmp_lg_u32 s2, 0
	s_add_co_ci_u32 s29, s29, s35
	s_wait_alu 0xfffe
	s_mul_u64 s[30:31], s[30:31], s[28:29]
	s_wait_alu 0xfffe
	s_mul_hi_u32 s35, s28, s31
	s_mul_i32 s34, s28, s31
	s_mul_hi_u32 s18, s28, s30
	s_mul_i32 s23, s29, s30
	s_wait_alu 0xfffe
	s_add_nc_u64 s[34:35], s[18:19], s[34:35]
	s_mul_hi_u32 s2, s29, s30
	s_mul_hi_u32 s25, s29, s31
	s_wait_alu 0xfffe
	s_add_co_u32 s18, s34, s23
	s_add_co_ci_u32 s18, s35, s2
	s_mul_i32 s30, s29, s31
	s_add_co_ci_u32 s31, s25, 0
	s_wait_alu 0xfffe
	s_add_nc_u64 s[30:31], s[18:19], s[30:31]
	s_wait_alu 0xfffe
	s_add_co_u32 s2, s28, s30
	s_cselect_b32 s18, -1, 0
	s_wait_alu 0xfffe
	v_mul_hi_u32 v12, v10, s2
	s_cmp_lg_u32 s18, 0
	v_mad_co_u64_u32 v[5:6], null, v11, s2, 0
	s_add_co_ci_u32 s18, s29, s31
	s_wait_alu 0xfffe
	v_mad_co_u64_u32 v[3:4], null, v10, s18, 0
	v_mad_co_u64_u32 v[7:8], null, v11, s18, 0
	s_delay_alu instid0(VALU_DEP_2) | instskip(SKIP_1) | instid1(VALU_DEP_3)
	v_add_co_u32 v3, vcc_lo, v12, v3
	s_wait_alu 0xfffd
	v_add_co_ci_u32_e64 v4, null, 0, v4, vcc_lo
	s_delay_alu instid0(VALU_DEP_2) | instskip(SKIP_1) | instid1(VALU_DEP_2)
	v_add_co_u32 v3, vcc_lo, v3, v5
	s_wait_alu 0xfffd
	v_add_co_ci_u32_e32 v3, vcc_lo, v4, v6, vcc_lo
	s_wait_alu 0xfffd
	v_add_co_ci_u32_e32 v4, vcc_lo, 0, v8, vcc_lo
	s_delay_alu instid0(VALU_DEP_2) | instskip(SKIP_1) | instid1(VALU_DEP_2)
	v_add_co_u32 v5, vcc_lo, v3, v7
	s_wait_alu 0xfffd
	v_add_co_ci_u32_e64 v6, null, 0, v4, vcc_lo
	s_delay_alu instid0(VALU_DEP_2) | instskip(SKIP_1) | instid1(VALU_DEP_3)
	v_mul_lo_u32 v7, s27, v5
	v_mad_co_u64_u32 v[3:4], null, s26, v5, 0
	v_mul_lo_u32 v8, s26, v6
	s_delay_alu instid0(VALU_DEP_2) | instskip(NEXT) | instid1(VALU_DEP_2)
	v_sub_co_u32 v3, vcc_lo, v10, v3
	v_add3_u32 v4, v4, v8, v7
	v_add_co_u32 v8, s2, v5, 2
	s_wait_alu 0xf1ff
	v_add_co_ci_u32_e64 v10, null, 0, v6, s2
	s_delay_alu instid0(VALU_DEP_3) | instskip(SKIP_3) | instid1(VALU_DEP_3)
	v_sub_nc_u32_e32 v7, v11, v4
	v_sub_co_u32 v12, s2, v3, s26
	s_wait_alu 0xfffd
	v_sub_co_ci_u32_e64 v4, null, v11, v4, vcc_lo
	v_subrev_co_ci_u32_e64 v7, null, s27, v7, vcc_lo
	s_delay_alu instid0(VALU_DEP_3) | instskip(SKIP_1) | instid1(VALU_DEP_2)
	v_cmp_le_u32_e32 vcc_lo, s26, v12
	s_wait_alu 0xf1ff
	v_subrev_co_ci_u32_e64 v7, null, 0, v7, s2
	s_wait_alu 0xfffd
	v_cndmask_b32_e64 v11, 0, -1, vcc_lo
	s_delay_alu instid0(VALU_DEP_2)
	v_cmp_le_u32_e32 vcc_lo, s27, v7
	s_wait_alu 0xfffd
	v_cndmask_b32_e64 v12, 0, -1, vcc_lo
	v_cmp_le_u32_e32 vcc_lo, s26, v3
	s_wait_alu 0xfffd
	v_cndmask_b32_e64 v3, 0, -1, vcc_lo
	;; [unrolled: 3-line block ×3, first 2 shown]
	v_cmp_eq_u32_e32 vcc_lo, s27, v7
	s_wait_alu 0xfffd
	v_cndmask_b32_e32 v7, v12, v11, vcc_lo
	v_add_co_u32 v11, vcc_lo, v5, 1
	s_wait_alu 0xfffd
	v_add_co_ci_u32_e64 v12, null, 0, v6, vcc_lo
	v_cmp_eq_u32_e32 vcc_lo, s27, v4
	s_wait_alu 0xfffd
	v_cndmask_b32_e32 v3, v13, v3, vcc_lo
	v_cmp_ne_u32_e32 vcc_lo, 0, v7
	v_xor_b32_e32 v7, s22, v9
	s_wait_alu 0xfffd
	v_cndmask_b32_e32 v4, v12, v10, vcc_lo
	v_cmp_ne_u32_e64 s2, 0, v3
	v_cndmask_b32_e32 v3, v11, v8, vcc_lo
	s_wait_alu 0xf1ff
	s_delay_alu instid0(VALU_DEP_2) | instskip(NEXT) | instid1(VALU_DEP_2)
	v_cndmask_b32_e64 v4, v6, v4, s2
	v_cndmask_b32_e64 v3, v5, v3, s2
	s_delay_alu instid0(VALU_DEP_2) | instskip(NEXT) | instid1(VALU_DEP_2)
	v_xor_b32_e32 v5, v4, v7
	v_xor_b32_e32 v3, v3, v7
	s_delay_alu instid0(VALU_DEP_1) | instskip(SKIP_1) | instid1(VALU_DEP_3)
	v_sub_co_u32 v4, vcc_lo, v3, v7
	s_wait_alu 0xfffd
	v_sub_co_ci_u32_e64 v5, null, v5, v7, vcc_lo
.LBB92_5:                               ;   in Loop: Header=BB92_3 Depth=1
	s_wait_alu 0xfffe
	s_and_not1_saveexec_b32 s2, s3
	s_cbranch_execz .LBB92_7
; %bb.6:                                ;   in Loop: Header=BB92_3 Depth=1
	v_mul_hi_u32 v3, v0, v25
	s_delay_alu instid0(VALU_DEP_1) | instskip(NEXT) | instid1(VALU_DEP_1)
	v_mul_lo_u32 v4, v3, s8
	v_sub_nc_u32_e32 v4, v0, v4
	s_delay_alu instid0(VALU_DEP_1) | instskip(SKIP_2) | instid1(VALU_DEP_2)
	v_subrev_nc_u32_e32 v6, s8, v4
	v_cmp_le_u32_e32 vcc_lo, s8, v4
	s_wait_alu 0xfffd
	v_dual_cndmask_b32 v4, v4, v6 :: v_dual_add_nc_u32 v5, 1, v3
	s_delay_alu instid0(VALU_DEP_1) | instskip(NEXT) | instid1(VALU_DEP_2)
	v_cndmask_b32_e32 v3, v3, v5, vcc_lo
	v_cmp_le_u32_e32 vcc_lo, s8, v4
	s_delay_alu instid0(VALU_DEP_2) | instskip(SKIP_1) | instid1(VALU_DEP_1)
	v_add_nc_u32_e32 v5, 1, v3
	s_wait_alu 0xfffd
	v_dual_cndmask_b32 v4, v3, v5 :: v_dual_mov_b32 v5, v2
.LBB92_7:                               ;   in Loop: Header=BB92_3 Depth=1
	s_wait_alu 0xfffe
	s_or_b32 exec_lo, exec_lo, s2
	s_delay_alu instid0(VALU_DEP_1) | instskip(SKIP_1) | instid1(VALU_DEP_1)
	v_or_b32_e32 v3, s15, v5
                                        ; implicit-def: $vgpr6_vgpr7
	s_mov_b32 s2, exec_lo
	v_cmpx_ne_u64_e32 0, v[2:3]
	s_wait_alu 0xfffe
	s_xor_b32 s3, exec_lo, s2
	s_cbranch_execz .LBB92_9
; %bb.8:                                ;   in Loop: Header=BB92_3 Depth=1
	s_mov_b32 s25, s24
	v_ashrrev_i32_e32 v3, 31, v5
	s_wait_alu 0xfffe
	s_add_nc_u64 s[26:27], s[14:15], s[24:25]
	s_wait_alu 0xfffe
	s_xor_b64 s[26:27], s[26:27], s[24:25]
	v_add_co_u32 v6, vcc_lo, v4, v3
	s_wait_alu 0xfffe
	s_cvt_f32_u32 s2, s26
	s_cvt_f32_u32 s18, s27
	s_sub_nc_u64 s[30:31], 0, s[26:27]
	s_wait_alu 0xfffd
	v_add_co_ci_u32_e64 v5, null, v5, v3, vcc_lo
	s_wait_alu 0xfffe
	s_fmamk_f32 s2, s18, 0x4f800000, s2
	v_xor_b32_e32 v11, v6, v3
	s_delay_alu instid0(VALU_DEP_2) | instskip(SKIP_3) | instid1(TRANS32_DEP_1)
	v_xor_b32_e32 v12, v5, v3
	s_wait_alu 0xfffe
	v_s_rcp_f32 s2, s2
	v_xor_b32_e32 v3, s24, v3
	s_mul_f32 s2, s2, 0x5f7ffffc
	s_wait_alu 0xfffe
	s_delay_alu instid0(SALU_CYCLE_2) | instskip(SKIP_1) | instid1(SALU_CYCLE_2)
	s_mul_f32 s18, s2, 0x2f800000
	s_wait_alu 0xfffe
	s_trunc_f32 s18, s18
	s_wait_alu 0xfffe
	s_delay_alu instid0(SALU_CYCLE_2) | instskip(SKIP_2) | instid1(SALU_CYCLE_1)
	s_fmamk_f32 s2, s18, 0xcf800000, s2
	s_cvt_u32_f32 s29, s18
	s_wait_alu 0xfffe
	s_cvt_u32_f32 s28, s2
	s_wait_alu 0xfffe
	s_delay_alu instid0(SALU_CYCLE_2)
	s_mul_u64 s[34:35], s[30:31], s[28:29]
	s_wait_alu 0xfffe
	s_mul_hi_u32 s37, s28, s35
	s_mul_i32 s36, s28, s35
	s_mul_hi_u32 s18, s28, s34
	s_mul_i32 s23, s29, s34
	s_wait_alu 0xfffe
	s_add_nc_u64 s[36:37], s[18:19], s[36:37]
	s_mul_hi_u32 s2, s29, s34
	s_mul_hi_u32 s25, s29, s35
	s_wait_alu 0xfffe
	s_add_co_u32 s18, s36, s23
	s_add_co_ci_u32 s18, s37, s2
	s_mul_i32 s34, s29, s35
	s_add_co_ci_u32 s35, s25, 0
	s_wait_alu 0xfffe
	s_add_nc_u64 s[34:35], s[18:19], s[34:35]
	s_wait_alu 0xfffe
	s_add_co_u32 s28, s28, s34
	s_cselect_b32 s2, -1, 0
	s_wait_alu 0xfffe
	s_cmp_lg_u32 s2, 0
	s_add_co_ci_u32 s29, s29, s35
	s_wait_alu 0xfffe
	s_mul_u64 s[30:31], s[30:31], s[28:29]
	s_wait_alu 0xfffe
	s_mul_hi_u32 s35, s28, s31
	s_mul_i32 s34, s28, s31
	s_mul_hi_u32 s18, s28, s30
	s_mul_i32 s23, s29, s30
	s_wait_alu 0xfffe
	s_add_nc_u64 s[34:35], s[18:19], s[34:35]
	s_mul_hi_u32 s2, s29, s30
	s_mul_hi_u32 s25, s29, s31
	s_wait_alu 0xfffe
	s_add_co_u32 s18, s34, s23
	s_add_co_ci_u32 s18, s35, s2
	s_mul_i32 s30, s29, s31
	s_add_co_ci_u32 s31, s25, 0
	s_wait_alu 0xfffe
	s_add_nc_u64 s[30:31], s[18:19], s[30:31]
	s_wait_alu 0xfffe
	s_add_co_u32 s2, s28, s30
	s_cselect_b32 s18, -1, 0
	s_wait_alu 0xfffe
	v_mul_hi_u32 v13, v11, s2
	s_cmp_lg_u32 s18, 0
	v_mad_co_u64_u32 v[7:8], null, v12, s2, 0
	s_add_co_ci_u32 s18, s29, s31
	s_wait_alu 0xfffe
	v_mad_co_u64_u32 v[5:6], null, v11, s18, 0
	v_mad_co_u64_u32 v[9:10], null, v12, s18, 0
	s_delay_alu instid0(VALU_DEP_2) | instskip(SKIP_1) | instid1(VALU_DEP_3)
	v_add_co_u32 v5, vcc_lo, v13, v5
	s_wait_alu 0xfffd
	v_add_co_ci_u32_e64 v6, null, 0, v6, vcc_lo
	s_delay_alu instid0(VALU_DEP_2) | instskip(SKIP_1) | instid1(VALU_DEP_2)
	v_add_co_u32 v5, vcc_lo, v5, v7
	s_wait_alu 0xfffd
	v_add_co_ci_u32_e32 v5, vcc_lo, v6, v8, vcc_lo
	s_wait_alu 0xfffd
	v_add_co_ci_u32_e32 v6, vcc_lo, 0, v10, vcc_lo
	s_delay_alu instid0(VALU_DEP_2) | instskip(SKIP_1) | instid1(VALU_DEP_2)
	v_add_co_u32 v7, vcc_lo, v5, v9
	s_wait_alu 0xfffd
	v_add_co_ci_u32_e64 v8, null, 0, v6, vcc_lo
	s_delay_alu instid0(VALU_DEP_2) | instskip(SKIP_1) | instid1(VALU_DEP_3)
	v_mul_lo_u32 v9, s27, v7
	v_mad_co_u64_u32 v[5:6], null, s26, v7, 0
	v_mul_lo_u32 v10, s26, v8
	s_delay_alu instid0(VALU_DEP_2) | instskip(NEXT) | instid1(VALU_DEP_2)
	v_sub_co_u32 v5, vcc_lo, v11, v5
	v_add3_u32 v6, v6, v10, v9
	v_add_co_u32 v10, s2, v7, 2
	s_wait_alu 0xf1ff
	v_add_co_ci_u32_e64 v11, null, 0, v8, s2
	s_delay_alu instid0(VALU_DEP_3) | instskip(SKIP_3) | instid1(VALU_DEP_3)
	v_sub_nc_u32_e32 v9, v12, v6
	v_sub_co_u32 v13, s2, v5, s26
	s_wait_alu 0xfffd
	v_sub_co_ci_u32_e64 v6, null, v12, v6, vcc_lo
	v_subrev_co_ci_u32_e64 v9, null, s27, v9, vcc_lo
	s_delay_alu instid0(VALU_DEP_3) | instskip(SKIP_1) | instid1(VALU_DEP_2)
	v_cmp_le_u32_e32 vcc_lo, s26, v13
	s_wait_alu 0xf1ff
	v_subrev_co_ci_u32_e64 v9, null, 0, v9, s2
	s_wait_alu 0xfffd
	v_cndmask_b32_e64 v12, 0, -1, vcc_lo
	s_delay_alu instid0(VALU_DEP_2)
	v_cmp_le_u32_e32 vcc_lo, s27, v9
	s_wait_alu 0xfffd
	v_cndmask_b32_e64 v13, 0, -1, vcc_lo
	v_cmp_le_u32_e32 vcc_lo, s26, v5
	s_wait_alu 0xfffd
	v_cndmask_b32_e64 v5, 0, -1, vcc_lo
	;; [unrolled: 3-line block ×3, first 2 shown]
	v_cmp_eq_u32_e32 vcc_lo, s27, v9
	s_wait_alu 0xfffd
	v_cndmask_b32_e32 v9, v13, v12, vcc_lo
	v_add_co_u32 v12, vcc_lo, v7, 1
	s_wait_alu 0xfffd
	v_add_co_ci_u32_e64 v13, null, 0, v8, vcc_lo
	v_cmp_eq_u32_e32 vcc_lo, s27, v6
	s_wait_alu 0xfffd
	v_cndmask_b32_e32 v5, v14, v5, vcc_lo
	v_cmp_ne_u32_e32 vcc_lo, 0, v9
	s_wait_alu 0xfffd
	v_cndmask_b32_e32 v6, v13, v11, vcc_lo
	s_delay_alu instid0(VALU_DEP_3) | instskip(SKIP_2) | instid1(VALU_DEP_2)
	v_cmp_ne_u32_e64 s2, 0, v5
	v_cndmask_b32_e32 v5, v12, v10, vcc_lo
	s_wait_alu 0xf1ff
	v_cndmask_b32_e64 v6, v8, v6, s2
	s_delay_alu instid0(VALU_DEP_2) | instskip(NEXT) | instid1(VALU_DEP_2)
	v_cndmask_b32_e64 v5, v7, v5, s2
	v_xor_b32_e32 v7, v6, v3
	s_delay_alu instid0(VALU_DEP_2) | instskip(NEXT) | instid1(VALU_DEP_1)
	v_xor_b32_e32 v5, v5, v3
	v_sub_co_u32 v6, vcc_lo, v5, v3
	s_wait_alu 0xfffd
	s_delay_alu instid0(VALU_DEP_3)
	v_sub_co_ci_u32_e64 v7, null, v7, v3, vcc_lo
.LBB92_9:                               ;   in Loop: Header=BB92_3 Depth=1
	s_wait_alu 0xfffe
	s_and_not1_saveexec_b32 s2, s3
	s_cbranch_execz .LBB92_11
; %bb.10:                               ;   in Loop: Header=BB92_3 Depth=1
	s_sub_co_i32 s3, 0, s14
	s_wait_alu 0xfffe
	v_mul_lo_u32 v3, s3, v24
	s_delay_alu instid0(VALU_DEP_1) | instskip(NEXT) | instid1(VALU_DEP_1)
	v_mul_hi_u32 v3, v24, v3
	v_add_nc_u32_e32 v3, v24, v3
	s_delay_alu instid0(VALU_DEP_1) | instskip(NEXT) | instid1(VALU_DEP_1)
	v_mul_hi_u32 v3, v4, v3
	v_mul_lo_u32 v5, v3, s14
	v_add_nc_u32_e32 v6, 1, v3
	s_delay_alu instid0(VALU_DEP_2) | instskip(NEXT) | instid1(VALU_DEP_1)
	v_sub_nc_u32_e32 v5, v4, v5
	v_subrev_nc_u32_e32 v7, s14, v5
	v_cmp_le_u32_e32 vcc_lo, s14, v5
	s_wait_alu 0xfffd
	s_delay_alu instid0(VALU_DEP_2) | instskip(SKIP_2) | instid1(VALU_DEP_3)
	v_cndmask_b32_e32 v5, v5, v7, vcc_lo
	v_mov_b32_e32 v7, v2
	v_cndmask_b32_e32 v3, v3, v6, vcc_lo
	v_cmp_le_u32_e32 vcc_lo, s14, v5
	s_delay_alu instid0(VALU_DEP_2) | instskip(SKIP_1) | instid1(VALU_DEP_1)
	v_add_nc_u32_e32 v6, 1, v3
	s_wait_alu 0xfffd
	v_cndmask_b32_e32 v6, v3, v6, vcc_lo
.LBB92_11:                              ;   in Loop: Header=BB92_3 Depth=1
	s_wait_alu 0xfffe
	s_or_b32 exec_lo, exec_lo, s2
	v_mad_co_u64_u32 v[8:9], null, v4, s8, 0
	s_delay_alu instid0(VALU_DEP_2) | instskip(SKIP_3) | instid1(VALU_DEP_1)
	v_mad_co_u64_u32 v[9:10], null, v6, s14, 0
	s_mov_b32 s23, exec_lo
	v_sub_co_u32 v27, null, v0, v8
	v_sub_co_u32 v26, null, v4, v9
	v_sub_nc_u32_e32 v3, v27, v26
	s_delay_alu instid0(VALU_DEP_1) | instskip(NEXT) | instid1(VALU_DEP_1)
	v_ashrrev_i32_e32 v4, 31, v3
	v_cmpx_gt_i64_e64 s[4:5], v[3:4]
	s_cbranch_execz .LBB92_2
; %bb.12:                               ;   in Loop: Header=BB92_3 Depth=1
	s_load_b64 s[2:3], s[20:21], 0x64
	s_and_not1_b32 vcc_lo, exec_lo, s56
	s_wait_kmcnt 0x0
	v_mul_lo_u32 v3, s3, v27
	s_delay_alu instid0(VALU_DEP_1)
	v_mad_co_u64_u32 v[4:5], null, s2, v26, v[3:4]
	s_wait_alu 0xfffe
	s_cbranch_vccnz .LBB92_56
; %bb.13:                               ;   in Loop: Header=BB92_3 Depth=1
	s_mov_b32 s25, s52
	s_and_not1_b32 vcc_lo, exec_lo, s54
	s_mov_b32 s18, s33
	s_mov_b32 s2, s33
	s_wait_alu 0xfffe
	s_cbranch_vccz .LBB92_16
; %bb.14:                               ;   in Loop: Header=BB92_3 Depth=1
	s_and_not1_b32 vcc_lo, exec_lo, s55
	s_wait_alu 0xfffe
	s_cbranch_vccz .LBB92_21
	s_branch .LBB92_56
.LBB92_15:                              ;   in Loop: Header=BB92_16 Depth=2
	s_wait_alu 0xfffe
	s_or_b32 exec_lo, exec_lo, s2
	s_add_nc_u64 s[26:27], s[0:1], s[26:27]
	v_mul_lo_u32 v3, v8, s28
	s_load_b32 s2, s[26:27], 0x6c
	s_add_co_i32 s25, s25, -1
	s_add_co_i32 s18, s18, -1
	s_wait_alu 0xfffe
	s_cmp_lg_u32 s25, 0
	s_delay_alu instid0(VALU_DEP_1) | instskip(SKIP_2) | instid1(VALU_DEP_2)
	v_sub_nc_u32_e32 v3, v6, v3
	v_dual_mov_b32 v6, v8 :: v_dual_mov_b32 v7, v9
	s_wait_kmcnt 0x0
	v_mad_co_u64_u32 v[4:5], null, s2, v3, v[4:5]
	s_cbranch_scc0 .LBB92_20
.LBB92_16:                              ;   Parent Loop BB92_3 Depth=1
                                        ; =>  This Inner Loop Header: Depth=2
	s_lshl_b64 s[26:27], s[18:19], 2
                                        ; implicit-def: $vgpr8_vgpr9
	s_mov_b32 s2, exec_lo
	s_wait_alu 0xfffe
	s_add_nc_u64 s[28:29], s[10:11], s[26:27]
	s_load_b32 s28, s[28:29], 0x8
	s_wait_kmcnt 0x0
	s_ashr_i32 s29, s28, 31
	s_wait_alu 0xfffe
	v_or_b32_e32 v3, s29, v7
	s_delay_alu instid0(VALU_DEP_1)
	v_cmpx_ne_u64_e32 0, v[2:3]
	s_xor_b32 s36, exec_lo, s2
	s_cbranch_execz .LBB92_18
; %bb.17:                               ;   in Loop: Header=BB92_16 Depth=2
	s_ashr_i32 s30, s29, 31
	s_mov_b32 s43, s19
	s_wait_alu 0xfffe
	s_mov_b32 s31, s30
	s_mov_b32 s47, s19
	s_wait_alu 0xfffe
	s_add_nc_u64 s[34:35], s[28:29], s[30:31]
	v_ashrrev_i32_e32 v3, 31, v7
	s_wait_alu 0xfffe
	s_xor_b64 s[34:35], s[34:35], s[30:31]
	s_wait_alu 0xfffe
	s_cvt_f32_u32 s2, s34
	s_cvt_f32_u32 s29, s35
	s_sub_nc_u64 s[40:41], 0, s[34:35]
	v_add_co_u32 v5, vcc_lo, v6, v3
	s_wait_alu 0xfffe
	s_fmamk_f32 s2, s29, 0x4f800000, s2
	s_wait_alu 0xfffd
	v_add_co_ci_u32_e64 v7, null, v7, v3, vcc_lo
	v_xor_b32_e32 v5, v5, v3
	s_wait_alu 0xfffe
	v_s_rcp_f32 s2, s2
	s_delay_alu instid0(VALU_DEP_2) | instskip(SKIP_1) | instid1(TRANS32_DEP_1)
	v_xor_b32_e32 v13, v7, v3
	v_xor_b32_e32 v3, s30, v3
	s_mul_f32 s2, s2, 0x5f7ffffc
	s_wait_alu 0xfffe
	s_delay_alu instid0(SALU_CYCLE_2) | instskip(SKIP_1) | instid1(SALU_CYCLE_2)
	s_mul_f32 s29, s2, 0x2f800000
	s_wait_alu 0xfffe
	s_trunc_f32 s29, s29
	s_wait_alu 0xfffe
	s_delay_alu instid0(SALU_CYCLE_2) | instskip(SKIP_2) | instid1(SALU_CYCLE_1)
	s_fmamk_f32 s2, s29, 0xcf800000, s2
	s_cvt_u32_f32 s39, s29
	s_wait_alu 0xfffe
	s_cvt_u32_f32 s38, s2
	s_wait_alu 0xfffe
	s_delay_alu instid0(SALU_CYCLE_2)
	s_mul_u64 s[44:45], s[40:41], s[38:39]
	s_wait_alu 0xfffe
	s_mul_hi_u32 s49, s38, s45
	s_mul_i32 s48, s38, s45
	s_mul_hi_u32 s42, s38, s44
	s_mul_i32 s29, s39, s44
	s_wait_alu 0xfffe
	s_add_nc_u64 s[42:43], s[42:43], s[48:49]
	s_mul_hi_u32 s2, s39, s44
	s_mul_hi_u32 s31, s39, s45
	s_wait_alu 0xfffe
	s_add_co_u32 s29, s42, s29
	s_add_co_ci_u32 s46, s43, s2
	s_mul_i32 s44, s39, s45
	s_add_co_ci_u32 s45, s31, 0
	s_wait_alu 0xfffe
	s_add_nc_u64 s[42:43], s[46:47], s[44:45]
	s_mov_b32 s45, s19
	s_wait_alu 0xfffe
	s_add_co_u32 s38, s38, s42
	s_cselect_b32 s2, -1, 0
	s_wait_alu 0xfffe
	s_cmp_lg_u32 s2, 0
	s_add_co_ci_u32 s39, s39, s43
	s_mov_b32 s43, s19
	s_wait_alu 0xfffe
	s_mul_u64 s[40:41], s[40:41], s[38:39]
	s_wait_alu 0xfffe
	s_mul_hi_u32 s47, s38, s41
	s_mul_i32 s46, s38, s41
	s_mul_hi_u32 s44, s38, s40
	s_mul_i32 s29, s39, s40
	s_wait_alu 0xfffe
	s_add_nc_u64 s[44:45], s[44:45], s[46:47]
	s_mul_hi_u32 s2, s39, s40
	s_mul_hi_u32 s31, s39, s41
	s_wait_alu 0xfffe
	s_add_co_u32 s29, s44, s29
	s_add_co_ci_u32 s42, s45, s2
	s_mul_i32 s40, s39, s41
	s_add_co_ci_u32 s41, s31, 0
	s_wait_alu 0xfffe
	s_add_nc_u64 s[40:41], s[42:43], s[40:41]
	s_wait_alu 0xfffe
	s_add_co_u32 s2, s38, s40
	s_cselect_b32 s29, -1, 0
	s_wait_alu 0xfffe
	v_mul_hi_u32 v14, v5, s2
	s_cmp_lg_u32 s29, 0
	v_mad_co_u64_u32 v[9:10], null, v13, s2, 0
	s_add_co_ci_u32 s29, s39, s41
	s_wait_alu 0xfffe
	v_mad_co_u64_u32 v[7:8], null, v5, s29, 0
	v_mad_co_u64_u32 v[11:12], null, v13, s29, 0
	s_delay_alu instid0(VALU_DEP_2) | instskip(SKIP_1) | instid1(VALU_DEP_3)
	v_add_co_u32 v7, vcc_lo, v14, v7
	s_wait_alu 0xfffd
	v_add_co_ci_u32_e64 v8, null, 0, v8, vcc_lo
	s_delay_alu instid0(VALU_DEP_2) | instskip(SKIP_1) | instid1(VALU_DEP_2)
	v_add_co_u32 v7, vcc_lo, v7, v9
	s_wait_alu 0xfffd
	v_add_co_ci_u32_e32 v7, vcc_lo, v8, v10, vcc_lo
	s_wait_alu 0xfffd
	v_add_co_ci_u32_e32 v8, vcc_lo, 0, v12, vcc_lo
	s_delay_alu instid0(VALU_DEP_2) | instskip(SKIP_1) | instid1(VALU_DEP_2)
	v_add_co_u32 v9, vcc_lo, v7, v11
	s_wait_alu 0xfffd
	v_add_co_ci_u32_e64 v10, null, 0, v8, vcc_lo
	s_delay_alu instid0(VALU_DEP_2) | instskip(SKIP_1) | instid1(VALU_DEP_3)
	v_mul_lo_u32 v11, s35, v9
	v_mad_co_u64_u32 v[7:8], null, s34, v9, 0
	v_mul_lo_u32 v12, s34, v10
	s_delay_alu instid0(VALU_DEP_2) | instskip(NEXT) | instid1(VALU_DEP_2)
	v_sub_co_u32 v5, vcc_lo, v5, v7
	v_add3_u32 v8, v8, v12, v11
	s_delay_alu instid0(VALU_DEP_1) | instskip(SKIP_2) | instid1(VALU_DEP_2)
	v_sub_nc_u32_e32 v11, v13, v8
	s_wait_alu 0xfffd
	v_sub_co_ci_u32_e64 v8, null, v13, v8, vcc_lo
	v_subrev_co_ci_u32_e64 v7, null, s35, v11, vcc_lo
	v_add_co_u32 v11, s2, v9, 2
	s_wait_alu 0xf1ff
	v_add_co_ci_u32_e64 v12, null, 0, v10, s2
	v_sub_co_u32 v14, s2, v5, s34
	s_wait_alu 0xf1ff
	v_subrev_co_ci_u32_e64 v7, null, 0, v7, s2
	s_delay_alu instid0(VALU_DEP_2) | instskip(SKIP_2) | instid1(VALU_DEP_3)
	v_cmp_le_u32_e32 vcc_lo, s34, v14
	s_wait_alu 0xfffd
	v_cndmask_b32_e64 v13, 0, -1, vcc_lo
	v_cmp_le_u32_e32 vcc_lo, s35, v7
	s_wait_alu 0xfffd
	v_cndmask_b32_e64 v14, 0, -1, vcc_lo
	;; [unrolled: 3-line block ×4, first 2 shown]
	v_cmp_eq_u32_e32 vcc_lo, s35, v7
	s_wait_alu 0xfffd
	v_cndmask_b32_e32 v7, v14, v13, vcc_lo
	v_add_co_u32 v13, vcc_lo, v9, 1
	s_wait_alu 0xfffd
	v_add_co_ci_u32_e64 v14, null, 0, v10, vcc_lo
	v_cmp_eq_u32_e32 vcc_lo, s35, v8
	s_wait_alu 0xfffd
	v_cndmask_b32_e32 v5, v15, v5, vcc_lo
	v_cmp_ne_u32_e32 vcc_lo, 0, v7
	s_delay_alu instid0(VALU_DEP_2) | instskip(SKIP_4) | instid1(VALU_DEP_2)
	v_cmp_ne_u32_e64 s2, 0, v5
	s_wait_alu 0xfffd
	v_cndmask_b32_e32 v5, v13, v11, vcc_lo
	v_cndmask_b32_e32 v7, v14, v12, vcc_lo
	s_wait_alu 0xf1ff
	v_cndmask_b32_e64 v5, v9, v5, s2
	s_delay_alu instid0(VALU_DEP_2) | instskip(NEXT) | instid1(VALU_DEP_2)
	v_cndmask_b32_e64 v7, v10, v7, s2
	v_xor_b32_e32 v5, v5, v3
	s_delay_alu instid0(VALU_DEP_2) | instskip(NEXT) | instid1(VALU_DEP_2)
	v_xor_b32_e32 v7, v7, v3
	v_sub_co_u32 v8, vcc_lo, v5, v3
	s_wait_alu 0xfffd
	s_delay_alu instid0(VALU_DEP_2)
	v_sub_co_ci_u32_e64 v9, null, v7, v3, vcc_lo
.LBB92_18:                              ;   in Loop: Header=BB92_16 Depth=2
	s_wait_alu 0xfffe
	s_and_not1_saveexec_b32 s2, s36
	s_cbranch_execz .LBB92_15
; %bb.19:                               ;   in Loop: Header=BB92_16 Depth=2
	v_cvt_f32_u32_e32 v3, s28
	s_sub_co_i32 s29, 0, s28
	v_mov_b32_e32 v9, v2
	s_delay_alu instid0(VALU_DEP_2) | instskip(NEXT) | instid1(TRANS32_DEP_1)
	v_rcp_iflag_f32_e32 v3, v3
	v_mul_f32_e32 v3, 0x4f7ffffe, v3
	s_delay_alu instid0(VALU_DEP_1) | instskip(SKIP_1) | instid1(VALU_DEP_1)
	v_cvt_u32_f32_e32 v3, v3
	s_wait_alu 0xfffe
	v_mul_lo_u32 v5, s29, v3
	s_delay_alu instid0(VALU_DEP_1) | instskip(NEXT) | instid1(VALU_DEP_1)
	v_mul_hi_u32 v5, v3, v5
	v_add_nc_u32_e32 v3, v3, v5
	s_delay_alu instid0(VALU_DEP_1) | instskip(NEXT) | instid1(VALU_DEP_1)
	v_mul_hi_u32 v3, v6, v3
	v_mul_lo_u32 v5, v3, s28
	v_add_nc_u32_e32 v7, 1, v3
	s_delay_alu instid0(VALU_DEP_2) | instskip(NEXT) | instid1(VALU_DEP_1)
	v_sub_nc_u32_e32 v5, v6, v5
	v_cmp_le_u32_e32 vcc_lo, s28, v5
	v_subrev_nc_u32_e32 v8, s28, v5
	s_wait_alu 0xfffd
	v_cndmask_b32_e32 v3, v3, v7, vcc_lo
	s_delay_alu instid0(VALU_DEP_1) | instskip(NEXT) | instid1(VALU_DEP_3)
	v_add_nc_u32_e32 v7, 1, v3
	v_cndmask_b32_e32 v5, v5, v8, vcc_lo
	s_delay_alu instid0(VALU_DEP_1) | instskip(SKIP_1) | instid1(VALU_DEP_3)
	v_cmp_le_u32_e32 vcc_lo, s28, v5
	s_wait_alu 0xfffd
	v_cndmask_b32_e32 v8, v3, v7, vcc_lo
	s_branch .LBB92_15
.LBB92_20:                              ;   in Loop: Header=BB92_3 Depth=1
	s_mov_b32 s2, s18
	s_and_not1_b32 vcc_lo, exec_lo, s55
	s_wait_alu 0xfffe
	s_cbranch_vccnz .LBB92_56
.LBB92_21:                              ;   in Loop: Header=BB92_3 Depth=1
	s_add_co_i32 s26, s2, -7
.LBB92_22:                              ;   Parent Loop BB92_3 Depth=1
                                        ; =>  This Inner Loop Header: Depth=2
	s_wait_alu 0xfffe
	s_add_co_i32 s18, s26, 7
                                        ; implicit-def: $vgpr8_vgpr9
	s_mov_b32 s2, exec_lo
	s_wait_alu 0xfffe
	s_lshl_b64 s[34:35], s[18:19], 2
	s_wait_alu 0xfffe
	s_add_nc_u64 s[28:29], s[10:11], s[34:35]
	s_load_b32 s28, s[28:29], 0x8
	s_wait_kmcnt 0x0
	s_ashr_i32 s29, s28, 31
	s_wait_alu 0xfffe
	v_or_b32_e32 v3, s29, v7
	s_delay_alu instid0(VALU_DEP_1)
	v_cmpx_ne_u64_e32 0, v[2:3]
	s_xor_b32 s25, exec_lo, s2
	s_cbranch_execz .LBB92_24
; %bb.23:                               ;   in Loop: Header=BB92_22 Depth=2
	s_ashr_i32 s30, s29, 31
	v_ashrrev_i32_e32 v3, 31, v7
	s_wait_alu 0xfffe
	s_mov_b32 s31, s30
	s_wait_alu 0xfffe
	s_add_nc_u64 s[36:37], s[28:29], s[30:31]
	v_add_co_u32 v5, vcc_lo, v6, v3
	s_wait_alu 0xfffe
	s_xor_b64 s[36:37], s[36:37], s[30:31]
	s_wait_alu 0xfffd
	v_add_co_ci_u32_e64 v7, null, v7, v3, vcc_lo
	s_wait_alu 0xfffe
	s_cvt_f32_u32 s2, s36
	s_cvt_f32_u32 s18, s37
	s_sub_nc_u64 s[40:41], 0, s[36:37]
	v_xor_b32_e32 v5, v5, v3
	v_xor_b32_e32 v13, v7, v3
	s_wait_alu 0xfffe
	s_fmamk_f32 s2, s18, 0x4f800000, s2
	v_xor_b32_e32 v3, s30, v3
	s_wait_alu 0xfffe
	s_delay_alu instid0(SALU_CYCLE_1) | instskip(NEXT) | instid1(TRANS32_DEP_1)
	v_s_rcp_f32 s2, s2
	s_mul_f32 s2, s2, 0x5f7ffffc
	s_wait_alu 0xfffe
	s_delay_alu instid0(SALU_CYCLE_2) | instskip(SKIP_1) | instid1(SALU_CYCLE_2)
	s_mul_f32 s18, s2, 0x2f800000
	s_wait_alu 0xfffe
	s_trunc_f32 s18, s18
	s_wait_alu 0xfffe
	s_delay_alu instid0(SALU_CYCLE_2) | instskip(SKIP_2) | instid1(SALU_CYCLE_1)
	s_fmamk_f32 s2, s18, 0xcf800000, s2
	s_cvt_u32_f32 s39, s18
	s_wait_alu 0xfffe
	s_cvt_u32_f32 s38, s2
	s_wait_alu 0xfffe
	s_delay_alu instid0(SALU_CYCLE_2)
	s_mul_u64 s[42:43], s[40:41], s[38:39]
	s_wait_alu 0xfffe
	s_mul_hi_u32 s45, s38, s43
	s_mul_i32 s44, s38, s43
	s_mul_hi_u32 s18, s38, s42
	s_mul_i32 s27, s39, s42
	s_wait_alu 0xfffe
	s_add_nc_u64 s[44:45], s[18:19], s[44:45]
	s_mul_hi_u32 s2, s39, s42
	s_mul_hi_u32 s29, s39, s43
	s_wait_alu 0xfffe
	s_add_co_u32 s18, s44, s27
	s_add_co_ci_u32 s18, s45, s2
	s_mul_i32 s42, s39, s43
	s_add_co_ci_u32 s43, s29, 0
	s_wait_alu 0xfffe
	s_add_nc_u64 s[42:43], s[18:19], s[42:43]
	s_wait_alu 0xfffe
	s_add_co_u32 s38, s38, s42
	s_cselect_b32 s2, -1, 0
	s_wait_alu 0xfffe
	s_cmp_lg_u32 s2, 0
	s_add_co_ci_u32 s39, s39, s43
	s_wait_alu 0xfffe
	s_mul_u64 s[40:41], s[40:41], s[38:39]
	s_wait_alu 0xfffe
	s_mul_hi_u32 s43, s38, s41
	s_mul_i32 s42, s38, s41
	s_mul_hi_u32 s18, s38, s40
	s_mul_i32 s27, s39, s40
	s_wait_alu 0xfffe
	s_add_nc_u64 s[42:43], s[18:19], s[42:43]
	s_mul_hi_u32 s2, s39, s40
	s_mul_hi_u32 s29, s39, s41
	s_wait_alu 0xfffe
	s_add_co_u32 s18, s42, s27
	s_add_co_ci_u32 s18, s43, s2
	s_mul_i32 s40, s39, s41
	s_add_co_ci_u32 s41, s29, 0
	s_wait_alu 0xfffe
	s_add_nc_u64 s[40:41], s[18:19], s[40:41]
	s_wait_alu 0xfffe
	s_add_co_u32 s2, s38, s40
	s_cselect_b32 s18, -1, 0
	s_wait_alu 0xfffe
	v_mul_hi_u32 v14, v5, s2
	s_cmp_lg_u32 s18, 0
	v_mad_co_u64_u32 v[9:10], null, v13, s2, 0
	s_add_co_ci_u32 s18, s39, s41
	s_wait_alu 0xfffe
	v_mad_co_u64_u32 v[7:8], null, v5, s18, 0
	v_mad_co_u64_u32 v[11:12], null, v13, s18, 0
	s_delay_alu instid0(VALU_DEP_2) | instskip(SKIP_1) | instid1(VALU_DEP_3)
	v_add_co_u32 v7, vcc_lo, v14, v7
	s_wait_alu 0xfffd
	v_add_co_ci_u32_e64 v8, null, 0, v8, vcc_lo
	s_delay_alu instid0(VALU_DEP_2) | instskip(SKIP_1) | instid1(VALU_DEP_2)
	v_add_co_u32 v7, vcc_lo, v7, v9
	s_wait_alu 0xfffd
	v_add_co_ci_u32_e32 v7, vcc_lo, v8, v10, vcc_lo
	s_wait_alu 0xfffd
	v_add_co_ci_u32_e32 v8, vcc_lo, 0, v12, vcc_lo
	s_delay_alu instid0(VALU_DEP_2) | instskip(SKIP_1) | instid1(VALU_DEP_2)
	v_add_co_u32 v9, vcc_lo, v7, v11
	s_wait_alu 0xfffd
	v_add_co_ci_u32_e64 v10, null, 0, v8, vcc_lo
	s_delay_alu instid0(VALU_DEP_2) | instskip(SKIP_1) | instid1(VALU_DEP_3)
	v_mul_lo_u32 v11, s37, v9
	v_mad_co_u64_u32 v[7:8], null, s36, v9, 0
	v_mul_lo_u32 v12, s36, v10
	s_delay_alu instid0(VALU_DEP_2) | instskip(NEXT) | instid1(VALU_DEP_2)
	v_sub_co_u32 v5, vcc_lo, v5, v7
	v_add3_u32 v8, v8, v12, v11
	s_delay_alu instid0(VALU_DEP_1) | instskip(SKIP_2) | instid1(VALU_DEP_2)
	v_sub_nc_u32_e32 v11, v13, v8
	s_wait_alu 0xfffd
	v_sub_co_ci_u32_e64 v8, null, v13, v8, vcc_lo
	v_subrev_co_ci_u32_e64 v7, null, s37, v11, vcc_lo
	v_add_co_u32 v11, s2, v9, 2
	s_wait_alu 0xf1ff
	v_add_co_ci_u32_e64 v12, null, 0, v10, s2
	v_sub_co_u32 v14, s2, v5, s36
	s_wait_alu 0xf1ff
	v_subrev_co_ci_u32_e64 v7, null, 0, v7, s2
	s_delay_alu instid0(VALU_DEP_2) | instskip(SKIP_2) | instid1(VALU_DEP_3)
	v_cmp_le_u32_e32 vcc_lo, s36, v14
	s_wait_alu 0xfffd
	v_cndmask_b32_e64 v13, 0, -1, vcc_lo
	v_cmp_le_u32_e32 vcc_lo, s37, v7
	s_wait_alu 0xfffd
	v_cndmask_b32_e64 v14, 0, -1, vcc_lo
	;; [unrolled: 3-line block ×4, first 2 shown]
	v_cmp_eq_u32_e32 vcc_lo, s37, v7
	s_wait_alu 0xfffd
	v_cndmask_b32_e32 v7, v14, v13, vcc_lo
	v_add_co_u32 v13, vcc_lo, v9, 1
	s_wait_alu 0xfffd
	v_add_co_ci_u32_e64 v14, null, 0, v10, vcc_lo
	v_cmp_eq_u32_e32 vcc_lo, s37, v8
	s_wait_alu 0xfffd
	v_cndmask_b32_e32 v5, v15, v5, vcc_lo
	v_cmp_ne_u32_e32 vcc_lo, 0, v7
	s_delay_alu instid0(VALU_DEP_2) | instskip(SKIP_4) | instid1(VALU_DEP_2)
	v_cmp_ne_u32_e64 s2, 0, v5
	s_wait_alu 0xfffd
	v_cndmask_b32_e32 v5, v13, v11, vcc_lo
	v_cndmask_b32_e32 v7, v14, v12, vcc_lo
	s_wait_alu 0xf1ff
	v_cndmask_b32_e64 v5, v9, v5, s2
	s_delay_alu instid0(VALU_DEP_2) | instskip(NEXT) | instid1(VALU_DEP_2)
	v_cndmask_b32_e64 v7, v10, v7, s2
	v_xor_b32_e32 v5, v5, v3
	s_delay_alu instid0(VALU_DEP_2) | instskip(NEXT) | instid1(VALU_DEP_2)
	v_xor_b32_e32 v7, v7, v3
	v_sub_co_u32 v8, vcc_lo, v5, v3
	s_wait_alu 0xfffd
	s_delay_alu instid0(VALU_DEP_2)
	v_sub_co_ci_u32_e64 v9, null, v7, v3, vcc_lo
.LBB92_24:                              ;   in Loop: Header=BB92_22 Depth=2
	s_wait_alu 0xfffe
	s_and_not1_saveexec_b32 s2, s25
	s_cbranch_execz .LBB92_26
; %bb.25:                               ;   in Loop: Header=BB92_22 Depth=2
	v_cvt_f32_u32_e32 v3, s28
	s_sub_co_i32 s18, 0, s28
	v_mov_b32_e32 v9, v2
	s_delay_alu instid0(VALU_DEP_2) | instskip(NEXT) | instid1(TRANS32_DEP_1)
	v_rcp_iflag_f32_e32 v3, v3
	v_mul_f32_e32 v3, 0x4f7ffffe, v3
	s_delay_alu instid0(VALU_DEP_1) | instskip(SKIP_1) | instid1(VALU_DEP_1)
	v_cvt_u32_f32_e32 v3, v3
	s_wait_alu 0xfffe
	v_mul_lo_u32 v5, s18, v3
	s_delay_alu instid0(VALU_DEP_1) | instskip(NEXT) | instid1(VALU_DEP_1)
	v_mul_hi_u32 v5, v3, v5
	v_add_nc_u32_e32 v3, v3, v5
	s_delay_alu instid0(VALU_DEP_1) | instskip(NEXT) | instid1(VALU_DEP_1)
	v_mul_hi_u32 v3, v6, v3
	v_mul_lo_u32 v5, v3, s28
	v_add_nc_u32_e32 v7, 1, v3
	s_delay_alu instid0(VALU_DEP_2) | instskip(NEXT) | instid1(VALU_DEP_1)
	v_sub_nc_u32_e32 v5, v6, v5
	v_cmp_le_u32_e32 vcc_lo, s28, v5
	v_subrev_nc_u32_e32 v8, s28, v5
	s_wait_alu 0xfffd
	v_cndmask_b32_e32 v3, v3, v7, vcc_lo
	s_delay_alu instid0(VALU_DEP_1) | instskip(NEXT) | instid1(VALU_DEP_3)
	v_add_nc_u32_e32 v7, 1, v3
	v_cndmask_b32_e32 v5, v5, v8, vcc_lo
	s_delay_alu instid0(VALU_DEP_1) | instskip(SKIP_1) | instid1(VALU_DEP_3)
	v_cmp_le_u32_e32 vcc_lo, s28, v5
	s_wait_alu 0xfffd
	v_cndmask_b32_e32 v8, v3, v7, vcc_lo
.LBB92_26:                              ;   in Loop: Header=BB92_22 Depth=2
	s_wait_alu 0xfffe
	s_or_b32 exec_lo, exec_lo, s2
	s_add_co_i32 s18, s26, 6
	s_add_nc_u64 s[34:35], s[0:1], s[34:35]
	s_wait_alu 0xfffe
	s_lshl_b64 s[36:37], s[18:19], 2
                                        ; implicit-def: $vgpr10_vgpr11
	s_mov_b32 s2, exec_lo
	s_wait_alu 0xfffe
	s_add_nc_u64 s[30:31], s[10:11], s[36:37]
	s_clause 0x1
	s_load_b32 s25, s[34:35], 0x6c
	s_load_b32 s30, s[30:31], 0x8
	s_wait_kmcnt 0x0
	s_ashr_i32 s31, s30, 31
	s_wait_alu 0xfffe
	v_or_b32_e32 v3, s31, v9
	s_delay_alu instid0(VALU_DEP_1)
	v_cmpx_ne_u64_e32 0, v[2:3]
	s_xor_b32 s27, exec_lo, s2
	s_cbranch_execz .LBB92_28
; %bb.27:                               ;   in Loop: Header=BB92_22 Depth=2
	s_ashr_i32 s34, s31, 31
	v_ashrrev_i32_e32 v3, 31, v9
	s_wait_alu 0xfffe
	s_mov_b32 s35, s34
	s_wait_alu 0xfffe
	s_add_nc_u64 s[38:39], s[30:31], s[34:35]
	v_add_co_u32 v5, vcc_lo, v8, v3
	s_wait_alu 0xfffe
	s_xor_b64 s[38:39], s[38:39], s[34:35]
	s_wait_alu 0xfffd
	v_add_co_ci_u32_e64 v7, null, v9, v3, vcc_lo
	s_wait_alu 0xfffe
	s_cvt_f32_u32 s2, s38
	s_cvt_f32_u32 s18, s39
	s_sub_nc_u64 s[42:43], 0, s[38:39]
	v_xor_b32_e32 v5, v5, v3
	v_xor_b32_e32 v7, v7, v3
	s_wait_alu 0xfffe
	s_fmamk_f32 s2, s18, 0x4f800000, s2
	v_xor_b32_e32 v3, s34, v3
	s_wait_alu 0xfffe
	s_delay_alu instid0(SALU_CYCLE_1) | instskip(NEXT) | instid1(TRANS32_DEP_1)
	v_s_rcp_f32 s2, s2
	s_mul_f32 s2, s2, 0x5f7ffffc
	s_wait_alu 0xfffe
	s_delay_alu instid0(SALU_CYCLE_2) | instskip(SKIP_1) | instid1(SALU_CYCLE_2)
	s_mul_f32 s18, s2, 0x2f800000
	s_wait_alu 0xfffe
	s_trunc_f32 s18, s18
	s_wait_alu 0xfffe
	s_delay_alu instid0(SALU_CYCLE_2) | instskip(SKIP_2) | instid1(SALU_CYCLE_1)
	s_fmamk_f32 s2, s18, 0xcf800000, s2
	s_cvt_u32_f32 s41, s18
	s_wait_alu 0xfffe
	s_cvt_u32_f32 s40, s2
	s_wait_alu 0xfffe
	s_delay_alu instid0(SALU_CYCLE_2)
	s_mul_u64 s[44:45], s[42:43], s[40:41]
	s_wait_alu 0xfffe
	s_mul_hi_u32 s47, s40, s45
	s_mul_i32 s46, s40, s45
	s_mul_hi_u32 s18, s40, s44
	s_mul_i32 s29, s41, s44
	s_wait_alu 0xfffe
	s_add_nc_u64 s[46:47], s[18:19], s[46:47]
	s_mul_hi_u32 s2, s41, s44
	s_mul_hi_u32 s31, s41, s45
	s_wait_alu 0xfffe
	s_add_co_u32 s18, s46, s29
	s_add_co_ci_u32 s18, s47, s2
	s_mul_i32 s44, s41, s45
	s_add_co_ci_u32 s45, s31, 0
	s_wait_alu 0xfffe
	s_add_nc_u64 s[44:45], s[18:19], s[44:45]
	s_wait_alu 0xfffe
	s_add_co_u32 s40, s40, s44
	s_cselect_b32 s2, -1, 0
	s_wait_alu 0xfffe
	s_cmp_lg_u32 s2, 0
	s_add_co_ci_u32 s41, s41, s45
	s_wait_alu 0xfffe
	s_mul_u64 s[42:43], s[42:43], s[40:41]
	s_wait_alu 0xfffe
	s_mul_hi_u32 s45, s40, s43
	s_mul_i32 s44, s40, s43
	s_mul_hi_u32 s18, s40, s42
	s_mul_i32 s29, s41, s42
	s_wait_alu 0xfffe
	s_add_nc_u64 s[44:45], s[18:19], s[44:45]
	s_mul_hi_u32 s2, s41, s42
	s_mul_hi_u32 s31, s41, s43
	s_wait_alu 0xfffe
	s_add_co_u32 s18, s44, s29
	s_add_co_ci_u32 s18, s45, s2
	s_mul_i32 s42, s41, s43
	s_add_co_ci_u32 s43, s31, 0
	s_wait_alu 0xfffe
	s_add_nc_u64 s[42:43], s[18:19], s[42:43]
	s_wait_alu 0xfffe
	s_add_co_u32 s2, s40, s42
	s_cselect_b32 s18, -1, 0
	s_wait_alu 0xfffe
	v_mul_hi_u32 v15, v5, s2
	s_cmp_lg_u32 s18, 0
	v_mad_co_u64_u32 v[11:12], null, v7, s2, 0
	s_add_co_ci_u32 s18, s41, s43
	s_wait_alu 0xfffe
	v_mad_co_u64_u32 v[9:10], null, v5, s18, 0
	v_mad_co_u64_u32 v[13:14], null, v7, s18, 0
	s_delay_alu instid0(VALU_DEP_2) | instskip(SKIP_1) | instid1(VALU_DEP_3)
	v_add_co_u32 v9, vcc_lo, v15, v9
	s_wait_alu 0xfffd
	v_add_co_ci_u32_e64 v10, null, 0, v10, vcc_lo
	s_delay_alu instid0(VALU_DEP_2) | instskip(SKIP_1) | instid1(VALU_DEP_2)
	v_add_co_u32 v9, vcc_lo, v9, v11
	s_wait_alu 0xfffd
	v_add_co_ci_u32_e32 v9, vcc_lo, v10, v12, vcc_lo
	s_wait_alu 0xfffd
	v_add_co_ci_u32_e32 v10, vcc_lo, 0, v14, vcc_lo
	s_delay_alu instid0(VALU_DEP_2) | instskip(SKIP_1) | instid1(VALU_DEP_2)
	v_add_co_u32 v11, vcc_lo, v9, v13
	s_wait_alu 0xfffd
	v_add_co_ci_u32_e64 v12, null, 0, v10, vcc_lo
	s_delay_alu instid0(VALU_DEP_2) | instskip(SKIP_1) | instid1(VALU_DEP_3)
	v_mul_lo_u32 v13, s39, v11
	v_mad_co_u64_u32 v[9:10], null, s38, v11, 0
	v_mul_lo_u32 v14, s38, v12
	s_delay_alu instid0(VALU_DEP_2) | instskip(NEXT) | instid1(VALU_DEP_2)
	v_sub_co_u32 v5, vcc_lo, v5, v9
	v_add3_u32 v10, v10, v14, v13
	s_delay_alu instid0(VALU_DEP_1) | instskip(SKIP_2) | instid1(VALU_DEP_2)
	v_sub_nc_u32_e32 v13, v7, v10
	s_wait_alu 0xfffd
	v_sub_co_ci_u32_e64 v7, null, v7, v10, vcc_lo
	v_subrev_co_ci_u32_e64 v9, null, s39, v13, vcc_lo
	v_add_co_u32 v13, s2, v11, 2
	s_wait_alu 0xf1ff
	v_add_co_ci_u32_e64 v14, null, 0, v12, s2
	v_sub_co_u32 v15, s2, v5, s38
	s_wait_alu 0xf1ff
	v_subrev_co_ci_u32_e64 v9, null, 0, v9, s2
	s_delay_alu instid0(VALU_DEP_2) | instskip(SKIP_2) | instid1(VALU_DEP_3)
	v_cmp_le_u32_e32 vcc_lo, s38, v15
	s_wait_alu 0xfffd
	v_cndmask_b32_e64 v10, 0, -1, vcc_lo
	v_cmp_le_u32_e32 vcc_lo, s39, v9
	s_wait_alu 0xfffd
	v_cndmask_b32_e64 v15, 0, -1, vcc_lo
	;; [unrolled: 3-line block ×4, first 2 shown]
	v_cmp_eq_u32_e32 vcc_lo, s39, v9
	s_wait_alu 0xfffd
	v_cndmask_b32_e32 v9, v15, v10, vcc_lo
	v_add_co_u32 v10, vcc_lo, v11, 1
	s_wait_alu 0xfffd
	v_add_co_ci_u32_e64 v15, null, 0, v12, vcc_lo
	v_cmp_eq_u32_e32 vcc_lo, s39, v7
	s_wait_alu 0xfffd
	v_cndmask_b32_e32 v5, v16, v5, vcc_lo
	v_cmp_ne_u32_e32 vcc_lo, 0, v9
	s_delay_alu instid0(VALU_DEP_2) | instskip(SKIP_4) | instid1(VALU_DEP_2)
	v_cmp_ne_u32_e64 s2, 0, v5
	s_wait_alu 0xfffd
	v_cndmask_b32_e32 v5, v10, v13, vcc_lo
	v_cndmask_b32_e32 v7, v15, v14, vcc_lo
	s_wait_alu 0xf1ff
	v_cndmask_b32_e64 v5, v11, v5, s2
	s_delay_alu instid0(VALU_DEP_2) | instskip(NEXT) | instid1(VALU_DEP_2)
	v_cndmask_b32_e64 v7, v12, v7, s2
	v_xor_b32_e32 v5, v5, v3
	s_delay_alu instid0(VALU_DEP_2) | instskip(NEXT) | instid1(VALU_DEP_2)
	v_xor_b32_e32 v7, v7, v3
	v_sub_co_u32 v10, vcc_lo, v5, v3
	s_wait_alu 0xfffd
	s_delay_alu instid0(VALU_DEP_2)
	v_sub_co_ci_u32_e64 v11, null, v7, v3, vcc_lo
.LBB92_28:                              ;   in Loop: Header=BB92_22 Depth=2
	s_wait_alu 0xfffe
	s_and_not1_saveexec_b32 s2, s27
	s_cbranch_execz .LBB92_30
; %bb.29:                               ;   in Loop: Header=BB92_22 Depth=2
	v_cvt_f32_u32_e32 v3, s30
	s_sub_co_i32 s18, 0, s30
	v_mov_b32_e32 v11, v2
	s_delay_alu instid0(VALU_DEP_2) | instskip(NEXT) | instid1(TRANS32_DEP_1)
	v_rcp_iflag_f32_e32 v3, v3
	v_mul_f32_e32 v3, 0x4f7ffffe, v3
	s_delay_alu instid0(VALU_DEP_1) | instskip(SKIP_1) | instid1(VALU_DEP_1)
	v_cvt_u32_f32_e32 v3, v3
	s_wait_alu 0xfffe
	v_mul_lo_u32 v5, s18, v3
	s_delay_alu instid0(VALU_DEP_1) | instskip(NEXT) | instid1(VALU_DEP_1)
	v_mul_hi_u32 v5, v3, v5
	v_add_nc_u32_e32 v3, v3, v5
	s_delay_alu instid0(VALU_DEP_1) | instskip(NEXT) | instid1(VALU_DEP_1)
	v_mul_hi_u32 v3, v8, v3
	v_mul_lo_u32 v5, v3, s30
	v_add_nc_u32_e32 v7, 1, v3
	s_delay_alu instid0(VALU_DEP_2) | instskip(NEXT) | instid1(VALU_DEP_1)
	v_sub_nc_u32_e32 v5, v8, v5
	v_cmp_le_u32_e32 vcc_lo, s30, v5
	v_subrev_nc_u32_e32 v9, s30, v5
	s_wait_alu 0xfffd
	v_cndmask_b32_e32 v3, v3, v7, vcc_lo
	s_delay_alu instid0(VALU_DEP_1) | instskip(NEXT) | instid1(VALU_DEP_3)
	v_add_nc_u32_e32 v7, 1, v3
	v_cndmask_b32_e32 v5, v5, v9, vcc_lo
	s_delay_alu instid0(VALU_DEP_1) | instskip(SKIP_1) | instid1(VALU_DEP_3)
	v_cmp_le_u32_e32 vcc_lo, s30, v5
	s_wait_alu 0xfffd
	v_cndmask_b32_e32 v10, v3, v7, vcc_lo
.LBB92_30:                              ;   in Loop: Header=BB92_22 Depth=2
	s_wait_alu 0xfffe
	s_or_b32 exec_lo, exec_lo, s2
	s_add_co_i32 s18, s26, 5
	s_add_nc_u64 s[36:37], s[0:1], s[36:37]
	s_wait_alu 0xfffe
	s_lshl_b64 s[38:39], s[18:19], 2
                                        ; implicit-def: $vgpr12_vgpr13
	s_mov_b32 s2, exec_lo
	s_wait_alu 0xfffe
	s_add_nc_u64 s[34:35], s[10:11], s[38:39]
	s_clause 0x1
	s_load_b32 s29, s[36:37], 0x6c
	s_load_b32 s34, s[34:35], 0x8
	s_wait_kmcnt 0x0
	s_ashr_i32 s35, s34, 31
	s_wait_alu 0xfffe
	v_or_b32_e32 v3, s35, v11
	s_delay_alu instid0(VALU_DEP_1)
	v_cmpx_ne_u64_e32 0, v[2:3]
	s_xor_b32 s27, exec_lo, s2
	s_cbranch_execz .LBB92_32
; %bb.31:                               ;   in Loop: Header=BB92_22 Depth=2
	s_ashr_i32 s36, s35, 31
	v_ashrrev_i32_e32 v3, 31, v11
	s_wait_alu 0xfffe
	s_mov_b32 s37, s36
	s_wait_alu 0xfffe
	s_add_nc_u64 s[40:41], s[34:35], s[36:37]
	v_add_co_u32 v5, vcc_lo, v10, v3
	s_wait_alu 0xfffe
	s_xor_b64 s[40:41], s[40:41], s[36:37]
	s_wait_alu 0xfffd
	v_add_co_ci_u32_e64 v7, null, v11, v3, vcc_lo
	s_wait_alu 0xfffe
	s_cvt_f32_u32 s2, s40
	s_cvt_f32_u32 s18, s41
	s_sub_nc_u64 s[44:45], 0, s[40:41]
	v_xor_b32_e32 v5, v5, v3
	v_xor_b32_e32 v7, v7, v3
	s_wait_alu 0xfffe
	s_fmamk_f32 s2, s18, 0x4f800000, s2
	v_xor_b32_e32 v3, s36, v3
	s_wait_alu 0xfffe
	s_delay_alu instid0(SALU_CYCLE_1) | instskip(NEXT) | instid1(TRANS32_DEP_1)
	v_s_rcp_f32 s2, s2
	s_mul_f32 s2, s2, 0x5f7ffffc
	s_wait_alu 0xfffe
	s_delay_alu instid0(SALU_CYCLE_2) | instskip(SKIP_1) | instid1(SALU_CYCLE_2)
	s_mul_f32 s18, s2, 0x2f800000
	s_wait_alu 0xfffe
	s_trunc_f32 s18, s18
	s_wait_alu 0xfffe
	s_delay_alu instid0(SALU_CYCLE_2) | instskip(SKIP_2) | instid1(SALU_CYCLE_1)
	s_fmamk_f32 s2, s18, 0xcf800000, s2
	s_cvt_u32_f32 s43, s18
	s_wait_alu 0xfffe
	s_cvt_u32_f32 s42, s2
	s_wait_alu 0xfffe
	s_delay_alu instid0(SALU_CYCLE_2)
	s_mul_u64 s[46:47], s[44:45], s[42:43]
	s_wait_alu 0xfffe
	s_mul_hi_u32 s49, s42, s47
	s_mul_i32 s48, s42, s47
	s_mul_hi_u32 s18, s42, s46
	s_mul_i32 s31, s43, s46
	s_wait_alu 0xfffe
	s_add_nc_u64 s[48:49], s[18:19], s[48:49]
	s_mul_hi_u32 s2, s43, s46
	s_mul_hi_u32 s35, s43, s47
	s_wait_alu 0xfffe
	s_add_co_u32 s18, s48, s31
	s_add_co_ci_u32 s18, s49, s2
	s_mul_i32 s46, s43, s47
	s_add_co_ci_u32 s47, s35, 0
	s_wait_alu 0xfffe
	s_add_nc_u64 s[46:47], s[18:19], s[46:47]
	s_wait_alu 0xfffe
	s_add_co_u32 s42, s42, s46
	s_cselect_b32 s2, -1, 0
	s_wait_alu 0xfffe
	s_cmp_lg_u32 s2, 0
	s_add_co_ci_u32 s43, s43, s47
	s_wait_alu 0xfffe
	s_mul_u64 s[44:45], s[44:45], s[42:43]
	s_wait_alu 0xfffe
	s_mul_hi_u32 s47, s42, s45
	s_mul_i32 s46, s42, s45
	s_mul_hi_u32 s18, s42, s44
	s_mul_i32 s31, s43, s44
	s_wait_alu 0xfffe
	s_add_nc_u64 s[46:47], s[18:19], s[46:47]
	s_mul_hi_u32 s2, s43, s44
	s_mul_hi_u32 s35, s43, s45
	s_wait_alu 0xfffe
	s_add_co_u32 s18, s46, s31
	s_add_co_ci_u32 s18, s47, s2
	s_mul_i32 s44, s43, s45
	s_add_co_ci_u32 s45, s35, 0
	s_wait_alu 0xfffe
	s_add_nc_u64 s[44:45], s[18:19], s[44:45]
	s_wait_alu 0xfffe
	s_add_co_u32 s2, s42, s44
	s_cselect_b32 s18, -1, 0
	s_wait_alu 0xfffe
	v_mul_hi_u32 v9, v5, s2
	s_cmp_lg_u32 s18, 0
	v_mad_co_u64_u32 v[13:14], null, v7, s2, 0
	s_add_co_ci_u32 s18, s43, s45
	s_wait_alu 0xfffe
	v_mad_co_u64_u32 v[11:12], null, v5, s18, 0
	v_mad_co_u64_u32 v[15:16], null, v7, s18, 0
	s_delay_alu instid0(VALU_DEP_2) | instskip(SKIP_1) | instid1(VALU_DEP_3)
	v_add_co_u32 v9, vcc_lo, v9, v11
	s_wait_alu 0xfffd
	v_add_co_ci_u32_e64 v11, null, 0, v12, vcc_lo
	s_delay_alu instid0(VALU_DEP_2) | instskip(SKIP_1) | instid1(VALU_DEP_2)
	v_add_co_u32 v9, vcc_lo, v9, v13
	s_wait_alu 0xfffd
	v_add_co_ci_u32_e32 v9, vcc_lo, v11, v14, vcc_lo
	s_wait_alu 0xfffd
	v_add_co_ci_u32_e32 v11, vcc_lo, 0, v16, vcc_lo
	s_delay_alu instid0(VALU_DEP_2) | instskip(SKIP_1) | instid1(VALU_DEP_2)
	v_add_co_u32 v9, vcc_lo, v9, v15
	s_wait_alu 0xfffd
	v_add_co_ci_u32_e64 v13, null, 0, v11, vcc_lo
	s_delay_alu instid0(VALU_DEP_2) | instskip(SKIP_1) | instid1(VALU_DEP_3)
	v_mul_lo_u32 v14, s41, v9
	v_mad_co_u64_u32 v[11:12], null, s40, v9, 0
	v_mul_lo_u32 v15, s40, v13
	s_delay_alu instid0(VALU_DEP_2) | instskip(NEXT) | instid1(VALU_DEP_2)
	v_sub_co_u32 v5, vcc_lo, v5, v11
	v_add3_u32 v12, v12, v15, v14
	s_delay_alu instid0(VALU_DEP_1) | instskip(SKIP_2) | instid1(VALU_DEP_2)
	v_sub_nc_u32_e32 v14, v7, v12
	s_wait_alu 0xfffd
	v_sub_co_ci_u32_e64 v7, null, v7, v12, vcc_lo
	v_subrev_co_ci_u32_e64 v11, null, s41, v14, vcc_lo
	v_add_co_u32 v14, s2, v9, 2
	s_wait_alu 0xf1ff
	v_add_co_ci_u32_e64 v15, null, 0, v13, s2
	v_sub_co_u32 v16, s2, v5, s40
	s_wait_alu 0xf1ff
	v_subrev_co_ci_u32_e64 v11, null, 0, v11, s2
	s_delay_alu instid0(VALU_DEP_2) | instskip(SKIP_2) | instid1(VALU_DEP_3)
	v_cmp_le_u32_e32 vcc_lo, s40, v16
	s_wait_alu 0xfffd
	v_cndmask_b32_e64 v12, 0, -1, vcc_lo
	v_cmp_le_u32_e32 vcc_lo, s41, v11
	s_wait_alu 0xfffd
	v_cndmask_b32_e64 v16, 0, -1, vcc_lo
	;; [unrolled: 3-line block ×4, first 2 shown]
	v_cmp_eq_u32_e32 vcc_lo, s41, v11
	s_wait_alu 0xfffd
	v_cndmask_b32_e32 v11, v16, v12, vcc_lo
	v_add_co_u32 v12, vcc_lo, v9, 1
	s_wait_alu 0xfffd
	v_add_co_ci_u32_e64 v16, null, 0, v13, vcc_lo
	v_cmp_eq_u32_e32 vcc_lo, s41, v7
	s_wait_alu 0xfffd
	v_cndmask_b32_e32 v5, v17, v5, vcc_lo
	v_cmp_ne_u32_e32 vcc_lo, 0, v11
	s_delay_alu instid0(VALU_DEP_2) | instskip(SKIP_4) | instid1(VALU_DEP_2)
	v_cmp_ne_u32_e64 s2, 0, v5
	s_wait_alu 0xfffd
	v_cndmask_b32_e32 v5, v12, v14, vcc_lo
	v_cndmask_b32_e32 v7, v16, v15, vcc_lo
	s_wait_alu 0xf1ff
	v_cndmask_b32_e64 v5, v9, v5, s2
	s_delay_alu instid0(VALU_DEP_2) | instskip(NEXT) | instid1(VALU_DEP_2)
	v_cndmask_b32_e64 v7, v13, v7, s2
	v_xor_b32_e32 v5, v5, v3
	s_delay_alu instid0(VALU_DEP_2) | instskip(NEXT) | instid1(VALU_DEP_2)
	v_xor_b32_e32 v7, v7, v3
	v_sub_co_u32 v12, vcc_lo, v5, v3
	s_wait_alu 0xfffd
	s_delay_alu instid0(VALU_DEP_2)
	v_sub_co_ci_u32_e64 v13, null, v7, v3, vcc_lo
.LBB92_32:                              ;   in Loop: Header=BB92_22 Depth=2
	s_wait_alu 0xfffe
	s_and_not1_saveexec_b32 s2, s27
	s_cbranch_execz .LBB92_34
; %bb.33:                               ;   in Loop: Header=BB92_22 Depth=2
	v_cvt_f32_u32_e32 v3, s34
	s_sub_co_i32 s18, 0, s34
	v_mov_b32_e32 v13, v2
	s_delay_alu instid0(VALU_DEP_2) | instskip(NEXT) | instid1(TRANS32_DEP_1)
	v_rcp_iflag_f32_e32 v3, v3
	v_mul_f32_e32 v3, 0x4f7ffffe, v3
	s_delay_alu instid0(VALU_DEP_1) | instskip(SKIP_1) | instid1(VALU_DEP_1)
	v_cvt_u32_f32_e32 v3, v3
	s_wait_alu 0xfffe
	v_mul_lo_u32 v5, s18, v3
	s_delay_alu instid0(VALU_DEP_1) | instskip(NEXT) | instid1(VALU_DEP_1)
	v_mul_hi_u32 v5, v3, v5
	v_add_nc_u32_e32 v3, v3, v5
	s_delay_alu instid0(VALU_DEP_1) | instskip(NEXT) | instid1(VALU_DEP_1)
	v_mul_hi_u32 v3, v10, v3
	v_mul_lo_u32 v5, v3, s34
	v_add_nc_u32_e32 v7, 1, v3
	s_delay_alu instid0(VALU_DEP_2) | instskip(NEXT) | instid1(VALU_DEP_1)
	v_sub_nc_u32_e32 v5, v10, v5
	v_cmp_le_u32_e32 vcc_lo, s34, v5
	v_subrev_nc_u32_e32 v9, s34, v5
	s_wait_alu 0xfffd
	v_cndmask_b32_e32 v3, v3, v7, vcc_lo
	s_delay_alu instid0(VALU_DEP_1) | instskip(NEXT) | instid1(VALU_DEP_3)
	v_add_nc_u32_e32 v7, 1, v3
	v_cndmask_b32_e32 v5, v5, v9, vcc_lo
	s_delay_alu instid0(VALU_DEP_1) | instskip(SKIP_1) | instid1(VALU_DEP_3)
	v_cmp_le_u32_e32 vcc_lo, s34, v5
	s_wait_alu 0xfffd
	v_cndmask_b32_e32 v12, v3, v7, vcc_lo
.LBB92_34:                              ;   in Loop: Header=BB92_22 Depth=2
	s_wait_alu 0xfffe
	s_or_b32 exec_lo, exec_lo, s2
	s_add_co_i32 s18, s26, 4
	s_add_nc_u64 s[38:39], s[0:1], s[38:39]
	s_wait_alu 0xfffe
	s_lshl_b64 s[40:41], s[18:19], 2
                                        ; implicit-def: $vgpr14_vgpr15
	s_mov_b32 s2, exec_lo
	s_wait_alu 0xfffe
	s_add_nc_u64 s[36:37], s[10:11], s[40:41]
	s_clause 0x1
	s_load_b32 s31, s[38:39], 0x6c
	s_load_b32 s36, s[36:37], 0x8
	s_wait_kmcnt 0x0
	s_ashr_i32 s37, s36, 31
	s_wait_alu 0xfffe
	v_or_b32_e32 v3, s37, v13
	s_delay_alu instid0(VALU_DEP_1)
	v_cmpx_ne_u64_e32 0, v[2:3]
	s_xor_b32 s27, exec_lo, s2
	s_cbranch_execz .LBB92_36
; %bb.35:                               ;   in Loop: Header=BB92_22 Depth=2
	s_ashr_i32 s38, s37, 31
	v_ashrrev_i32_e32 v3, 31, v13
	s_wait_alu 0xfffe
	s_mov_b32 s39, s38
	s_wait_alu 0xfffe
	s_add_nc_u64 s[42:43], s[36:37], s[38:39]
	v_add_co_u32 v5, vcc_lo, v12, v3
	s_wait_alu 0xfffe
	s_xor_b64 s[42:43], s[42:43], s[38:39]
	s_wait_alu 0xfffd
	v_add_co_ci_u32_e64 v7, null, v13, v3, vcc_lo
	s_wait_alu 0xfffe
	s_cvt_f32_u32 s2, s42
	s_cvt_f32_u32 s18, s43
	s_sub_nc_u64 s[46:47], 0, s[42:43]
	v_xor_b32_e32 v5, v5, v3
	v_xor_b32_e32 v7, v7, v3
	s_wait_alu 0xfffe
	s_fmamk_f32 s2, s18, 0x4f800000, s2
	v_xor_b32_e32 v3, s38, v3
	s_wait_alu 0xfffe
	s_delay_alu instid0(SALU_CYCLE_1) | instskip(NEXT) | instid1(TRANS32_DEP_1)
	v_s_rcp_f32 s2, s2
	s_mul_f32 s2, s2, 0x5f7ffffc
	s_wait_alu 0xfffe
	s_delay_alu instid0(SALU_CYCLE_2) | instskip(SKIP_1) | instid1(SALU_CYCLE_2)
	s_mul_f32 s18, s2, 0x2f800000
	s_wait_alu 0xfffe
	s_trunc_f32 s18, s18
	s_wait_alu 0xfffe
	s_delay_alu instid0(SALU_CYCLE_2) | instskip(SKIP_2) | instid1(SALU_CYCLE_1)
	s_fmamk_f32 s2, s18, 0xcf800000, s2
	s_cvt_u32_f32 s45, s18
	s_wait_alu 0xfffe
	s_cvt_u32_f32 s44, s2
	s_wait_alu 0xfffe
	s_delay_alu instid0(SALU_CYCLE_2)
	s_mul_u64 s[48:49], s[46:47], s[44:45]
	s_wait_alu 0xfffe
	s_mul_hi_u32 s51, s44, s49
	s_mul_i32 s50, s44, s49
	s_mul_hi_u32 s18, s44, s48
	s_mul_i32 s35, s45, s48
	s_wait_alu 0xfffe
	s_add_nc_u64 s[50:51], s[18:19], s[50:51]
	s_mul_hi_u32 s2, s45, s48
	s_mul_hi_u32 s37, s45, s49
	s_wait_alu 0xfffe
	s_add_co_u32 s18, s50, s35
	s_add_co_ci_u32 s18, s51, s2
	s_mul_i32 s48, s45, s49
	s_add_co_ci_u32 s49, s37, 0
	s_wait_alu 0xfffe
	s_add_nc_u64 s[48:49], s[18:19], s[48:49]
	s_wait_alu 0xfffe
	s_add_co_u32 s44, s44, s48
	s_cselect_b32 s2, -1, 0
	s_wait_alu 0xfffe
	s_cmp_lg_u32 s2, 0
	s_add_co_ci_u32 s45, s45, s49
	s_wait_alu 0xfffe
	s_mul_u64 s[46:47], s[46:47], s[44:45]
	s_wait_alu 0xfffe
	s_mul_hi_u32 s49, s44, s47
	s_mul_i32 s48, s44, s47
	s_mul_hi_u32 s18, s44, s46
	s_mul_i32 s35, s45, s46
	s_wait_alu 0xfffe
	s_add_nc_u64 s[48:49], s[18:19], s[48:49]
	s_mul_hi_u32 s2, s45, s46
	s_mul_hi_u32 s37, s45, s47
	s_wait_alu 0xfffe
	s_add_co_u32 s18, s48, s35
	s_add_co_ci_u32 s18, s49, s2
	s_mul_i32 s46, s45, s47
	s_add_co_ci_u32 s47, s37, 0
	s_wait_alu 0xfffe
	s_add_nc_u64 s[46:47], s[18:19], s[46:47]
	s_wait_alu 0xfffe
	s_add_co_u32 s2, s44, s46
	s_cselect_b32 s18, -1, 0
	s_wait_alu 0xfffe
	v_mul_hi_u32 v9, v5, s2
	s_cmp_lg_u32 s18, 0
	v_mad_co_u64_u32 v[15:16], null, v7, s2, 0
	s_add_co_ci_u32 s18, s45, s47
	s_wait_alu 0xfffe
	v_mad_co_u64_u32 v[13:14], null, v5, s18, 0
	v_mad_co_u64_u32 v[17:18], null, v7, s18, 0
	s_delay_alu instid0(VALU_DEP_2) | instskip(SKIP_1) | instid1(VALU_DEP_3)
	v_add_co_u32 v9, vcc_lo, v9, v13
	s_wait_alu 0xfffd
	v_add_co_ci_u32_e64 v11, null, 0, v14, vcc_lo
	s_delay_alu instid0(VALU_DEP_2) | instskip(SKIP_1) | instid1(VALU_DEP_2)
	v_add_co_u32 v9, vcc_lo, v9, v15
	s_wait_alu 0xfffd
	v_add_co_ci_u32_e32 v9, vcc_lo, v11, v16, vcc_lo
	s_wait_alu 0xfffd
	v_add_co_ci_u32_e32 v11, vcc_lo, 0, v18, vcc_lo
	s_delay_alu instid0(VALU_DEP_2) | instskip(SKIP_1) | instid1(VALU_DEP_2)
	v_add_co_u32 v9, vcc_lo, v9, v17
	s_wait_alu 0xfffd
	v_add_co_ci_u32_e64 v11, null, 0, v11, vcc_lo
	s_delay_alu instid0(VALU_DEP_2) | instskip(SKIP_1) | instid1(VALU_DEP_3)
	v_mul_lo_u32 v15, s43, v9
	v_mad_co_u64_u32 v[13:14], null, s42, v9, 0
	v_mul_lo_u32 v16, s42, v11
	s_delay_alu instid0(VALU_DEP_2) | instskip(NEXT) | instid1(VALU_DEP_2)
	v_sub_co_u32 v5, vcc_lo, v5, v13
	v_add3_u32 v14, v14, v16, v15
	s_delay_alu instid0(VALU_DEP_1) | instskip(SKIP_2) | instid1(VALU_DEP_2)
	v_sub_nc_u32_e32 v15, v7, v14
	s_wait_alu 0xfffd
	v_sub_co_ci_u32_e64 v7, null, v7, v14, vcc_lo
	v_subrev_co_ci_u32_e64 v13, null, s43, v15, vcc_lo
	v_add_co_u32 v15, s2, v9, 2
	s_wait_alu 0xf1ff
	v_add_co_ci_u32_e64 v16, null, 0, v11, s2
	v_sub_co_u32 v17, s2, v5, s42
	s_wait_alu 0xf1ff
	v_subrev_co_ci_u32_e64 v13, null, 0, v13, s2
	s_delay_alu instid0(VALU_DEP_2) | instskip(SKIP_2) | instid1(VALU_DEP_3)
	v_cmp_le_u32_e32 vcc_lo, s42, v17
	s_wait_alu 0xfffd
	v_cndmask_b32_e64 v14, 0, -1, vcc_lo
	v_cmp_le_u32_e32 vcc_lo, s43, v13
	s_wait_alu 0xfffd
	v_cndmask_b32_e64 v17, 0, -1, vcc_lo
	;; [unrolled: 3-line block ×4, first 2 shown]
	v_cmp_eq_u32_e32 vcc_lo, s43, v13
	s_wait_alu 0xfffd
	v_cndmask_b32_e32 v13, v17, v14, vcc_lo
	v_add_co_u32 v14, vcc_lo, v9, 1
	s_wait_alu 0xfffd
	v_add_co_ci_u32_e64 v17, null, 0, v11, vcc_lo
	v_cmp_eq_u32_e32 vcc_lo, s43, v7
	s_wait_alu 0xfffd
	v_cndmask_b32_e32 v5, v18, v5, vcc_lo
	v_cmp_ne_u32_e32 vcc_lo, 0, v13
	s_delay_alu instid0(VALU_DEP_2) | instskip(SKIP_4) | instid1(VALU_DEP_2)
	v_cmp_ne_u32_e64 s2, 0, v5
	s_wait_alu 0xfffd
	v_cndmask_b32_e32 v5, v14, v15, vcc_lo
	v_cndmask_b32_e32 v7, v17, v16, vcc_lo
	s_wait_alu 0xf1ff
	v_cndmask_b32_e64 v5, v9, v5, s2
	s_delay_alu instid0(VALU_DEP_2) | instskip(NEXT) | instid1(VALU_DEP_2)
	v_cndmask_b32_e64 v7, v11, v7, s2
	v_xor_b32_e32 v5, v5, v3
	s_delay_alu instid0(VALU_DEP_2) | instskip(NEXT) | instid1(VALU_DEP_2)
	v_xor_b32_e32 v7, v7, v3
	v_sub_co_u32 v14, vcc_lo, v5, v3
	s_wait_alu 0xfffd
	s_delay_alu instid0(VALU_DEP_2)
	v_sub_co_ci_u32_e64 v15, null, v7, v3, vcc_lo
.LBB92_36:                              ;   in Loop: Header=BB92_22 Depth=2
	s_wait_alu 0xfffe
	s_and_not1_saveexec_b32 s2, s27
	s_cbranch_execz .LBB92_38
; %bb.37:                               ;   in Loop: Header=BB92_22 Depth=2
	v_cvt_f32_u32_e32 v3, s36
	s_sub_co_i32 s18, 0, s36
	v_mov_b32_e32 v15, v2
	s_delay_alu instid0(VALU_DEP_2) | instskip(NEXT) | instid1(TRANS32_DEP_1)
	v_rcp_iflag_f32_e32 v3, v3
	v_mul_f32_e32 v3, 0x4f7ffffe, v3
	s_delay_alu instid0(VALU_DEP_1) | instskip(SKIP_1) | instid1(VALU_DEP_1)
	v_cvt_u32_f32_e32 v3, v3
	s_wait_alu 0xfffe
	v_mul_lo_u32 v5, s18, v3
	s_delay_alu instid0(VALU_DEP_1) | instskip(NEXT) | instid1(VALU_DEP_1)
	v_mul_hi_u32 v5, v3, v5
	v_add_nc_u32_e32 v3, v3, v5
	s_delay_alu instid0(VALU_DEP_1) | instskip(NEXT) | instid1(VALU_DEP_1)
	v_mul_hi_u32 v3, v12, v3
	v_mul_lo_u32 v5, v3, s36
	v_add_nc_u32_e32 v7, 1, v3
	s_delay_alu instid0(VALU_DEP_2) | instskip(NEXT) | instid1(VALU_DEP_1)
	v_sub_nc_u32_e32 v5, v12, v5
	v_cmp_le_u32_e32 vcc_lo, s36, v5
	v_subrev_nc_u32_e32 v9, s36, v5
	s_wait_alu 0xfffd
	v_cndmask_b32_e32 v3, v3, v7, vcc_lo
	s_delay_alu instid0(VALU_DEP_1) | instskip(NEXT) | instid1(VALU_DEP_3)
	v_add_nc_u32_e32 v7, 1, v3
	v_cndmask_b32_e32 v5, v5, v9, vcc_lo
	s_delay_alu instid0(VALU_DEP_1) | instskip(SKIP_1) | instid1(VALU_DEP_3)
	v_cmp_le_u32_e32 vcc_lo, s36, v5
	s_wait_alu 0xfffd
	v_cndmask_b32_e32 v14, v3, v7, vcc_lo
.LBB92_38:                              ;   in Loop: Header=BB92_22 Depth=2
	s_wait_alu 0xfffe
	s_or_b32 exec_lo, exec_lo, s2
	s_add_co_i32 s18, s26, 3
	s_add_nc_u64 s[40:41], s[0:1], s[40:41]
	s_wait_alu 0xfffe
	s_lshl_b64 s[42:43], s[18:19], 2
                                        ; implicit-def: $vgpr16_vgpr17
	s_mov_b32 s2, exec_lo
	s_wait_alu 0xfffe
	s_add_nc_u64 s[38:39], s[10:11], s[42:43]
	s_clause 0x1
	s_load_b32 s35, s[40:41], 0x6c
	s_load_b32 s38, s[38:39], 0x8
	s_wait_kmcnt 0x0
	s_ashr_i32 s39, s38, 31
	s_wait_alu 0xfffe
	v_or_b32_e32 v3, s39, v15
	s_delay_alu instid0(VALU_DEP_1)
	v_cmpx_ne_u64_e32 0, v[2:3]
	s_xor_b32 s27, exec_lo, s2
	s_cbranch_execz .LBB92_40
; %bb.39:                               ;   in Loop: Header=BB92_22 Depth=2
	s_ashr_i32 s40, s39, 31
	v_ashrrev_i32_e32 v3, 31, v15
	s_wait_alu 0xfffe
	s_mov_b32 s41, s40
	s_wait_alu 0xfffe
	s_add_nc_u64 s[44:45], s[38:39], s[40:41]
	v_add_co_u32 v5, vcc_lo, v14, v3
	s_wait_alu 0xfffe
	s_xor_b64 s[44:45], s[44:45], s[40:41]
	s_wait_alu 0xfffd
	v_add_co_ci_u32_e64 v7, null, v15, v3, vcc_lo
	s_wait_alu 0xfffe
	s_cvt_f32_u32 s2, s44
	s_cvt_f32_u32 s18, s45
	s_sub_nc_u64 s[48:49], 0, s[44:45]
	v_xor_b32_e32 v5, v5, v3
	v_xor_b32_e32 v7, v7, v3
	s_wait_alu 0xfffe
	s_fmamk_f32 s2, s18, 0x4f800000, s2
	v_xor_b32_e32 v3, s40, v3
	s_wait_alu 0xfffe
	s_delay_alu instid0(SALU_CYCLE_1) | instskip(NEXT) | instid1(TRANS32_DEP_1)
	v_s_rcp_f32 s2, s2
	s_mul_f32 s2, s2, 0x5f7ffffc
	s_wait_alu 0xfffe
	s_delay_alu instid0(SALU_CYCLE_2) | instskip(SKIP_1) | instid1(SALU_CYCLE_2)
	s_mul_f32 s18, s2, 0x2f800000
	s_wait_alu 0xfffe
	s_trunc_f32 s18, s18
	s_wait_alu 0xfffe
	s_delay_alu instid0(SALU_CYCLE_2) | instskip(SKIP_2) | instid1(SALU_CYCLE_1)
	s_fmamk_f32 s2, s18, 0xcf800000, s2
	s_cvt_u32_f32 s47, s18
	s_wait_alu 0xfffe
	s_cvt_u32_f32 s46, s2
	s_wait_alu 0xfffe
	s_delay_alu instid0(SALU_CYCLE_2)
	s_mul_u64 s[50:51], s[48:49], s[46:47]
	s_wait_alu 0xfffe
	s_mul_hi_u32 s59, s46, s51
	s_mul_i32 s58, s46, s51
	s_mul_hi_u32 s18, s46, s50
	s_mul_i32 s37, s47, s50
	s_wait_alu 0xfffe
	s_add_nc_u64 s[58:59], s[18:19], s[58:59]
	s_mul_hi_u32 s2, s47, s50
	s_mul_hi_u32 s39, s47, s51
	s_add_co_u32 s18, s58, s37
	s_wait_alu 0xfffe
	s_add_co_ci_u32 s18, s59, s2
	s_mul_i32 s50, s47, s51
	s_add_co_ci_u32 s51, s39, 0
	s_wait_alu 0xfffe
	s_add_nc_u64 s[50:51], s[18:19], s[50:51]
	s_wait_alu 0xfffe
	s_add_co_u32 s46, s46, s50
	s_cselect_b32 s2, -1, 0
	s_wait_alu 0xfffe
	s_cmp_lg_u32 s2, 0
	s_add_co_ci_u32 s47, s47, s51
	s_wait_alu 0xfffe
	s_mul_u64 s[48:49], s[48:49], s[46:47]
	s_wait_alu 0xfffe
	s_mul_hi_u32 s51, s46, s49
	s_mul_i32 s50, s46, s49
	s_mul_hi_u32 s18, s46, s48
	s_mul_i32 s37, s47, s48
	s_wait_alu 0xfffe
	s_add_nc_u64 s[50:51], s[18:19], s[50:51]
	s_mul_hi_u32 s2, s47, s48
	s_mul_hi_u32 s39, s47, s49
	s_wait_alu 0xfffe
	s_add_co_u32 s18, s50, s37
	s_add_co_ci_u32 s18, s51, s2
	s_mul_i32 s48, s47, s49
	s_add_co_ci_u32 s49, s39, 0
	s_wait_alu 0xfffe
	s_add_nc_u64 s[48:49], s[18:19], s[48:49]
	s_wait_alu 0xfffe
	s_add_co_u32 s2, s46, s48
	s_cselect_b32 s18, -1, 0
	s_wait_alu 0xfffe
	v_mul_hi_u32 v9, v5, s2
	s_cmp_lg_u32 s18, 0
	v_mad_co_u64_u32 v[17:18], null, v7, s2, 0
	s_add_co_ci_u32 s18, s47, s49
	s_wait_alu 0xfffe
	v_mad_co_u64_u32 v[15:16], null, v5, s18, 0
	v_mad_co_u64_u32 v[19:20], null, v7, s18, 0
	s_delay_alu instid0(VALU_DEP_2) | instskip(SKIP_1) | instid1(VALU_DEP_3)
	v_add_co_u32 v9, vcc_lo, v9, v15
	s_wait_alu 0xfffd
	v_add_co_ci_u32_e64 v11, null, 0, v16, vcc_lo
	s_delay_alu instid0(VALU_DEP_2) | instskip(SKIP_1) | instid1(VALU_DEP_2)
	v_add_co_u32 v9, vcc_lo, v9, v17
	s_wait_alu 0xfffd
	v_add_co_ci_u32_e32 v9, vcc_lo, v11, v18, vcc_lo
	s_wait_alu 0xfffd
	v_add_co_ci_u32_e32 v11, vcc_lo, 0, v20, vcc_lo
	s_delay_alu instid0(VALU_DEP_2) | instskip(SKIP_1) | instid1(VALU_DEP_2)
	v_add_co_u32 v9, vcc_lo, v9, v19
	s_wait_alu 0xfffd
	v_add_co_ci_u32_e64 v11, null, 0, v11, vcc_lo
	s_delay_alu instid0(VALU_DEP_2) | instskip(SKIP_1) | instid1(VALU_DEP_3)
	v_mul_lo_u32 v13, s45, v9
	v_mad_co_u64_u32 v[15:16], null, s44, v9, 0
	v_mul_lo_u32 v17, s44, v11
	s_delay_alu instid0(VALU_DEP_2) | instskip(NEXT) | instid1(VALU_DEP_2)
	v_sub_co_u32 v5, vcc_lo, v5, v15
	v_add3_u32 v13, v16, v17, v13
	s_delay_alu instid0(VALU_DEP_1) | instskip(SKIP_2) | instid1(VALU_DEP_2)
	v_sub_nc_u32_e32 v16, v7, v13
	s_wait_alu 0xfffd
	v_sub_co_ci_u32_e64 v7, null, v7, v13, vcc_lo
	v_subrev_co_ci_u32_e64 v15, null, s45, v16, vcc_lo
	v_add_co_u32 v16, s2, v9, 2
	s_wait_alu 0xf1ff
	v_add_co_ci_u32_e64 v17, null, 0, v11, s2
	v_sub_co_u32 v18, s2, v5, s44
	s_wait_alu 0xf1ff
	v_subrev_co_ci_u32_e64 v15, null, 0, v15, s2
	s_delay_alu instid0(VALU_DEP_2) | instskip(SKIP_2) | instid1(VALU_DEP_3)
	v_cmp_le_u32_e32 vcc_lo, s44, v18
	s_wait_alu 0xfffd
	v_cndmask_b32_e64 v13, 0, -1, vcc_lo
	v_cmp_le_u32_e32 vcc_lo, s45, v15
	s_wait_alu 0xfffd
	v_cndmask_b32_e64 v18, 0, -1, vcc_lo
	;; [unrolled: 3-line block ×4, first 2 shown]
	v_cmp_eq_u32_e32 vcc_lo, s45, v15
	s_wait_alu 0xfffd
	v_cndmask_b32_e32 v13, v18, v13, vcc_lo
	v_add_co_u32 v15, vcc_lo, v9, 1
	s_wait_alu 0xfffd
	v_add_co_ci_u32_e64 v18, null, 0, v11, vcc_lo
	v_cmp_eq_u32_e32 vcc_lo, s45, v7
	s_wait_alu 0xfffd
	v_cndmask_b32_e32 v5, v19, v5, vcc_lo
	v_cmp_ne_u32_e32 vcc_lo, 0, v13
	s_delay_alu instid0(VALU_DEP_2) | instskip(SKIP_4) | instid1(VALU_DEP_2)
	v_cmp_ne_u32_e64 s2, 0, v5
	s_wait_alu 0xfffd
	v_cndmask_b32_e32 v5, v15, v16, vcc_lo
	v_cndmask_b32_e32 v7, v18, v17, vcc_lo
	s_wait_alu 0xf1ff
	v_cndmask_b32_e64 v5, v9, v5, s2
	s_delay_alu instid0(VALU_DEP_2) | instskip(NEXT) | instid1(VALU_DEP_2)
	v_cndmask_b32_e64 v7, v11, v7, s2
	v_xor_b32_e32 v5, v5, v3
	s_delay_alu instid0(VALU_DEP_2) | instskip(NEXT) | instid1(VALU_DEP_2)
	v_xor_b32_e32 v7, v7, v3
	v_sub_co_u32 v16, vcc_lo, v5, v3
	s_wait_alu 0xfffd
	s_delay_alu instid0(VALU_DEP_2)
	v_sub_co_ci_u32_e64 v17, null, v7, v3, vcc_lo
.LBB92_40:                              ;   in Loop: Header=BB92_22 Depth=2
	s_wait_alu 0xfffe
	s_and_not1_saveexec_b32 s2, s27
	s_cbranch_execz .LBB92_42
; %bb.41:                               ;   in Loop: Header=BB92_22 Depth=2
	v_cvt_f32_u32_e32 v3, s38
	s_sub_co_i32 s18, 0, s38
	v_mov_b32_e32 v17, v2
	s_delay_alu instid0(VALU_DEP_2) | instskip(NEXT) | instid1(TRANS32_DEP_1)
	v_rcp_iflag_f32_e32 v3, v3
	v_mul_f32_e32 v3, 0x4f7ffffe, v3
	s_delay_alu instid0(VALU_DEP_1) | instskip(SKIP_1) | instid1(VALU_DEP_1)
	v_cvt_u32_f32_e32 v3, v3
	s_wait_alu 0xfffe
	v_mul_lo_u32 v5, s18, v3
	s_delay_alu instid0(VALU_DEP_1) | instskip(NEXT) | instid1(VALU_DEP_1)
	v_mul_hi_u32 v5, v3, v5
	v_add_nc_u32_e32 v3, v3, v5
	s_delay_alu instid0(VALU_DEP_1) | instskip(NEXT) | instid1(VALU_DEP_1)
	v_mul_hi_u32 v3, v14, v3
	v_mul_lo_u32 v5, v3, s38
	v_add_nc_u32_e32 v7, 1, v3
	s_delay_alu instid0(VALU_DEP_2) | instskip(NEXT) | instid1(VALU_DEP_1)
	v_sub_nc_u32_e32 v5, v14, v5
	v_cmp_le_u32_e32 vcc_lo, s38, v5
	v_subrev_nc_u32_e32 v9, s38, v5
	s_wait_alu 0xfffd
	v_cndmask_b32_e32 v3, v3, v7, vcc_lo
	s_delay_alu instid0(VALU_DEP_1) | instskip(NEXT) | instid1(VALU_DEP_3)
	v_add_nc_u32_e32 v7, 1, v3
	v_cndmask_b32_e32 v5, v5, v9, vcc_lo
	s_delay_alu instid0(VALU_DEP_1) | instskip(SKIP_1) | instid1(VALU_DEP_3)
	v_cmp_le_u32_e32 vcc_lo, s38, v5
	s_wait_alu 0xfffd
	v_cndmask_b32_e32 v16, v3, v7, vcc_lo
.LBB92_42:                              ;   in Loop: Header=BB92_22 Depth=2
	s_wait_alu 0xfffe
	s_or_b32 exec_lo, exec_lo, s2
	s_add_co_i32 s18, s26, 2
	s_add_nc_u64 s[42:43], s[0:1], s[42:43]
	s_wait_alu 0xfffe
	s_lshl_b64 s[44:45], s[18:19], 2
                                        ; implicit-def: $vgpr18_vgpr19
	s_mov_b32 s2, exec_lo
	s_wait_alu 0xfffe
	s_add_nc_u64 s[40:41], s[10:11], s[44:45]
	s_clause 0x1
	s_load_b32 s37, s[42:43], 0x6c
	s_load_b32 s40, s[40:41], 0x8
	s_wait_kmcnt 0x0
	s_ashr_i32 s41, s40, 31
	s_wait_alu 0xfffe
	v_or_b32_e32 v3, s41, v17
	s_delay_alu instid0(VALU_DEP_1)
	v_cmpx_ne_u64_e32 0, v[2:3]
	s_xor_b32 s27, exec_lo, s2
	s_cbranch_execz .LBB92_44
; %bb.43:                               ;   in Loop: Header=BB92_22 Depth=2
	s_ashr_i32 s42, s41, 31
	v_ashrrev_i32_e32 v3, 31, v17
	s_wait_alu 0xfffe
	s_mov_b32 s43, s42
	s_wait_alu 0xfffe
	s_add_nc_u64 s[46:47], s[40:41], s[42:43]
	v_add_co_u32 v5, vcc_lo, v16, v3
	s_wait_alu 0xfffe
	s_xor_b64 s[46:47], s[46:47], s[42:43]
	s_wait_alu 0xfffd
	v_add_co_ci_u32_e64 v7, null, v17, v3, vcc_lo
	s_wait_alu 0xfffe
	s_cvt_f32_u32 s2, s46
	s_cvt_f32_u32 s18, s47
	s_sub_nc_u64 s[50:51], 0, s[46:47]
	v_xor_b32_e32 v5, v5, v3
	v_xor_b32_e32 v7, v7, v3
	s_wait_alu 0xfffe
	s_fmamk_f32 s2, s18, 0x4f800000, s2
	v_xor_b32_e32 v3, s42, v3
	s_wait_alu 0xfffe
	s_delay_alu instid0(SALU_CYCLE_1) | instskip(NEXT) | instid1(TRANS32_DEP_1)
	v_s_rcp_f32 s2, s2
	s_mul_f32 s2, s2, 0x5f7ffffc
	s_wait_alu 0xfffe
	s_delay_alu instid0(SALU_CYCLE_2) | instskip(SKIP_1) | instid1(SALU_CYCLE_2)
	s_mul_f32 s18, s2, 0x2f800000
	s_wait_alu 0xfffe
	s_trunc_f32 s18, s18
	s_wait_alu 0xfffe
	s_delay_alu instid0(SALU_CYCLE_2) | instskip(SKIP_2) | instid1(SALU_CYCLE_1)
	s_fmamk_f32 s2, s18, 0xcf800000, s2
	s_cvt_u32_f32 s49, s18
	s_wait_alu 0xfffe
	s_cvt_u32_f32 s48, s2
	s_wait_alu 0xfffe
	s_delay_alu instid0(SALU_CYCLE_2) | instskip(NEXT) | instid1(SALU_CYCLE_1)
	s_mul_u64 s[58:59], s[50:51], s[48:49]
	s_mul_hi_u32 s61, s48, s59
	s_mul_i32 s60, s48, s59
	s_mul_hi_u32 s18, s48, s58
	s_mul_i32 s39, s49, s58
	s_wait_alu 0xfffe
	s_add_nc_u64 s[60:61], s[18:19], s[60:61]
	s_mul_hi_u32 s2, s49, s58
	s_mul_hi_u32 s41, s49, s59
	s_add_co_u32 s18, s60, s39
	s_wait_alu 0xfffe
	s_add_co_ci_u32 s18, s61, s2
	s_mul_i32 s58, s49, s59
	s_add_co_ci_u32 s59, s41, 0
	s_wait_alu 0xfffe
	s_add_nc_u64 s[58:59], s[18:19], s[58:59]
	s_delay_alu instid0(SALU_CYCLE_1)
	s_add_co_u32 s48, s48, s58
	s_cselect_b32 s2, -1, 0
	s_wait_alu 0xfffe
	s_cmp_lg_u32 s2, 0
	s_add_co_ci_u32 s49, s49, s59
	s_wait_alu 0xfffe
	s_mul_u64 s[50:51], s[50:51], s[48:49]
	s_wait_alu 0xfffe
	s_mul_hi_u32 s59, s48, s51
	s_mul_i32 s58, s48, s51
	s_mul_hi_u32 s18, s48, s50
	s_mul_i32 s39, s49, s50
	s_wait_alu 0xfffe
	s_add_nc_u64 s[58:59], s[18:19], s[58:59]
	s_mul_hi_u32 s2, s49, s50
	s_mul_hi_u32 s41, s49, s51
	s_add_co_u32 s18, s58, s39
	s_wait_alu 0xfffe
	s_add_co_ci_u32 s18, s59, s2
	s_mul_i32 s50, s49, s51
	s_add_co_ci_u32 s51, s41, 0
	s_wait_alu 0xfffe
	s_add_nc_u64 s[50:51], s[18:19], s[50:51]
	s_wait_alu 0xfffe
	s_add_co_u32 s2, s48, s50
	s_cselect_b32 s18, -1, 0
	s_wait_alu 0xfffe
	v_mul_hi_u32 v9, v5, s2
	s_cmp_lg_u32 s18, 0
	v_mad_co_u64_u32 v[19:20], null, v7, s2, 0
	s_add_co_ci_u32 s18, s49, s51
	s_wait_alu 0xfffe
	v_mad_co_u64_u32 v[17:18], null, v5, s18, 0
	v_mad_co_u64_u32 v[21:22], null, v7, s18, 0
	s_delay_alu instid0(VALU_DEP_2) | instskip(SKIP_1) | instid1(VALU_DEP_3)
	v_add_co_u32 v9, vcc_lo, v9, v17
	s_wait_alu 0xfffd
	v_add_co_ci_u32_e64 v11, null, 0, v18, vcc_lo
	s_delay_alu instid0(VALU_DEP_2) | instskip(SKIP_1) | instid1(VALU_DEP_2)
	v_add_co_u32 v9, vcc_lo, v9, v19
	s_wait_alu 0xfffd
	v_add_co_ci_u32_e32 v9, vcc_lo, v11, v20, vcc_lo
	s_wait_alu 0xfffd
	v_add_co_ci_u32_e32 v11, vcc_lo, 0, v22, vcc_lo
	s_delay_alu instid0(VALU_DEP_2) | instskip(SKIP_1) | instid1(VALU_DEP_2)
	v_add_co_u32 v9, vcc_lo, v9, v21
	s_wait_alu 0xfffd
	v_add_co_ci_u32_e64 v11, null, 0, v11, vcc_lo
	s_delay_alu instid0(VALU_DEP_2) | instskip(SKIP_1) | instid1(VALU_DEP_3)
	v_mul_lo_u32 v13, s47, v9
	v_mad_co_u64_u32 v[17:18], null, s46, v9, 0
	v_mul_lo_u32 v15, s46, v11
	s_delay_alu instid0(VALU_DEP_2) | instskip(NEXT) | instid1(VALU_DEP_2)
	v_sub_co_u32 v5, vcc_lo, v5, v17
	v_add3_u32 v13, v18, v15, v13
	v_add_co_u32 v17, s2, v9, 2
	s_wait_alu 0xf1ff
	v_add_co_ci_u32_e64 v18, null, 0, v11, s2
	s_delay_alu instid0(VALU_DEP_3) | instskip(SKIP_3) | instid1(VALU_DEP_3)
	v_sub_nc_u32_e32 v15, v7, v13
	v_sub_co_u32 v19, s2, v5, s46
	s_wait_alu 0xfffd
	v_sub_co_ci_u32_e64 v7, null, v7, v13, vcc_lo
	v_subrev_co_ci_u32_e64 v15, null, s47, v15, vcc_lo
	s_delay_alu instid0(VALU_DEP_3) | instskip(SKIP_1) | instid1(VALU_DEP_2)
	v_cmp_le_u32_e32 vcc_lo, s46, v19
	s_wait_alu 0xf1ff
	v_subrev_co_ci_u32_e64 v15, null, 0, v15, s2
	s_wait_alu 0xfffd
	v_cndmask_b32_e64 v13, 0, -1, vcc_lo
	s_delay_alu instid0(VALU_DEP_2)
	v_cmp_le_u32_e32 vcc_lo, s47, v15
	s_wait_alu 0xfffd
	v_cndmask_b32_e64 v19, 0, -1, vcc_lo
	v_cmp_le_u32_e32 vcc_lo, s46, v5
	s_wait_alu 0xfffd
	v_cndmask_b32_e64 v5, 0, -1, vcc_lo
	;; [unrolled: 3-line block ×3, first 2 shown]
	v_cmp_eq_u32_e32 vcc_lo, s47, v15
	s_wait_alu 0xfffd
	v_cndmask_b32_e32 v13, v19, v13, vcc_lo
	v_add_co_u32 v15, vcc_lo, v9, 1
	s_wait_alu 0xfffd
	v_add_co_ci_u32_e64 v19, null, 0, v11, vcc_lo
	v_cmp_eq_u32_e32 vcc_lo, s47, v7
	s_wait_alu 0xfffd
	v_cndmask_b32_e32 v5, v20, v5, vcc_lo
	v_cmp_ne_u32_e32 vcc_lo, 0, v13
	s_delay_alu instid0(VALU_DEP_2) | instskip(SKIP_4) | instid1(VALU_DEP_2)
	v_cmp_ne_u32_e64 s2, 0, v5
	s_wait_alu 0xfffd
	v_cndmask_b32_e32 v5, v15, v17, vcc_lo
	v_cndmask_b32_e32 v7, v19, v18, vcc_lo
	s_wait_alu 0xf1ff
	v_cndmask_b32_e64 v5, v9, v5, s2
	s_delay_alu instid0(VALU_DEP_2) | instskip(NEXT) | instid1(VALU_DEP_2)
	v_cndmask_b32_e64 v7, v11, v7, s2
	v_xor_b32_e32 v5, v5, v3
	s_delay_alu instid0(VALU_DEP_2) | instskip(NEXT) | instid1(VALU_DEP_2)
	v_xor_b32_e32 v7, v7, v3
	v_sub_co_u32 v18, vcc_lo, v5, v3
	s_wait_alu 0xfffd
	s_delay_alu instid0(VALU_DEP_2)
	v_sub_co_ci_u32_e64 v19, null, v7, v3, vcc_lo
.LBB92_44:                              ;   in Loop: Header=BB92_22 Depth=2
	s_wait_alu 0xfffe
	s_and_not1_saveexec_b32 s2, s27
	s_cbranch_execz .LBB92_46
; %bb.45:                               ;   in Loop: Header=BB92_22 Depth=2
	v_cvt_f32_u32_e32 v3, s40
	s_sub_co_i32 s18, 0, s40
	v_mov_b32_e32 v19, v2
	s_delay_alu instid0(VALU_DEP_2) | instskip(NEXT) | instid1(TRANS32_DEP_1)
	v_rcp_iflag_f32_e32 v3, v3
	v_mul_f32_e32 v3, 0x4f7ffffe, v3
	s_delay_alu instid0(VALU_DEP_1) | instskip(SKIP_1) | instid1(VALU_DEP_1)
	v_cvt_u32_f32_e32 v3, v3
	s_wait_alu 0xfffe
	v_mul_lo_u32 v5, s18, v3
	s_delay_alu instid0(VALU_DEP_1) | instskip(NEXT) | instid1(VALU_DEP_1)
	v_mul_hi_u32 v5, v3, v5
	v_add_nc_u32_e32 v3, v3, v5
	s_delay_alu instid0(VALU_DEP_1) | instskip(NEXT) | instid1(VALU_DEP_1)
	v_mul_hi_u32 v3, v16, v3
	v_mul_lo_u32 v5, v3, s40
	v_add_nc_u32_e32 v7, 1, v3
	s_delay_alu instid0(VALU_DEP_2) | instskip(NEXT) | instid1(VALU_DEP_1)
	v_sub_nc_u32_e32 v5, v16, v5
	v_cmp_le_u32_e32 vcc_lo, s40, v5
	v_subrev_nc_u32_e32 v9, s40, v5
	s_wait_alu 0xfffd
	v_cndmask_b32_e32 v3, v3, v7, vcc_lo
	s_delay_alu instid0(VALU_DEP_1) | instskip(NEXT) | instid1(VALU_DEP_3)
	v_add_nc_u32_e32 v7, 1, v3
	v_cndmask_b32_e32 v5, v5, v9, vcc_lo
	s_delay_alu instid0(VALU_DEP_1) | instskip(SKIP_1) | instid1(VALU_DEP_3)
	v_cmp_le_u32_e32 vcc_lo, s40, v5
	s_wait_alu 0xfffd
	v_cndmask_b32_e32 v18, v3, v7, vcc_lo
.LBB92_46:                              ;   in Loop: Header=BB92_22 Depth=2
	s_wait_alu 0xfffe
	s_or_b32 exec_lo, exec_lo, s2
	s_add_co_i32 s18, s26, 1
	s_add_nc_u64 s[44:45], s[0:1], s[44:45]
	s_wait_alu 0xfffe
	s_lshl_b64 s[48:49], s[18:19], 2
                                        ; implicit-def: $vgpr20_vgpr21
	s_mov_b32 s2, exec_lo
	s_wait_alu 0xfffe
	s_add_nc_u64 s[42:43], s[10:11], s[48:49]
	s_clause 0x1
	s_load_b32 s39, s[44:45], 0x6c
	s_load_b32 s42, s[42:43], 0x8
	s_wait_kmcnt 0x0
	s_ashr_i32 s43, s42, 31
	s_wait_alu 0xfffe
	v_or_b32_e32 v3, s43, v19
	s_delay_alu instid0(VALU_DEP_1)
	v_cmpx_ne_u64_e32 0, v[2:3]
	s_xor_b32 s27, exec_lo, s2
	s_cbranch_execz .LBB92_48
; %bb.47:                               ;   in Loop: Header=BB92_22 Depth=2
	s_ashr_i32 s44, s43, 31
	v_ashrrev_i32_e32 v3, 31, v19
	s_wait_alu 0xfffe
	s_mov_b32 s45, s44
	s_wait_alu 0xfffe
	s_add_nc_u64 s[46:47], s[42:43], s[44:45]
	v_add_co_u32 v5, vcc_lo, v18, v3
	s_wait_alu 0xfffe
	s_xor_b64 s[46:47], s[46:47], s[44:45]
	s_wait_alu 0xfffd
	v_add_co_ci_u32_e64 v7, null, v19, v3, vcc_lo
	s_wait_alu 0xfffe
	s_cvt_f32_u32 s2, s46
	s_cvt_f32_u32 s18, s47
	s_sub_nc_u64 s[58:59], 0, s[46:47]
	v_xor_b32_e32 v5, v5, v3
	v_xor_b32_e32 v7, v7, v3
	s_wait_alu 0xfffe
	s_fmamk_f32 s2, s18, 0x4f800000, s2
	v_xor_b32_e32 v3, s44, v3
	s_wait_alu 0xfffe
	s_delay_alu instid0(SALU_CYCLE_1) | instskip(NEXT) | instid1(TRANS32_DEP_1)
	v_s_rcp_f32 s2, s2
	s_mul_f32 s2, s2, 0x5f7ffffc
	s_wait_alu 0xfffe
	s_delay_alu instid0(SALU_CYCLE_2) | instskip(SKIP_1) | instid1(SALU_CYCLE_2)
	s_mul_f32 s18, s2, 0x2f800000
	s_wait_alu 0xfffe
	s_trunc_f32 s18, s18
	s_wait_alu 0xfffe
	s_delay_alu instid0(SALU_CYCLE_2) | instskip(SKIP_2) | instid1(SALU_CYCLE_1)
	s_fmamk_f32 s2, s18, 0xcf800000, s2
	s_cvt_u32_f32 s51, s18
	s_wait_alu 0xfffe
	s_cvt_u32_f32 s50, s2
	s_wait_alu 0xfffe
	s_delay_alu instid0(SALU_CYCLE_2) | instskip(NEXT) | instid1(SALU_CYCLE_1)
	s_mul_u64 s[60:61], s[58:59], s[50:51]
	s_mul_hi_u32 s63, s50, s61
	s_mul_i32 s62, s50, s61
	s_mul_hi_u32 s18, s50, s60
	s_mul_i32 s41, s51, s60
	s_wait_alu 0xfffe
	s_add_nc_u64 s[62:63], s[18:19], s[62:63]
	s_mul_hi_u32 s2, s51, s60
	s_mul_hi_u32 s43, s51, s61
	s_add_co_u32 s18, s62, s41
	s_wait_alu 0xfffe
	s_add_co_ci_u32 s18, s63, s2
	s_mul_i32 s60, s51, s61
	s_add_co_ci_u32 s61, s43, 0
	s_wait_alu 0xfffe
	s_add_nc_u64 s[60:61], s[18:19], s[60:61]
	s_delay_alu instid0(SALU_CYCLE_1)
	s_add_co_u32 s50, s50, s60
	s_cselect_b32 s2, -1, 0
	s_wait_alu 0xfffe
	s_cmp_lg_u32 s2, 0
	s_add_co_ci_u32 s51, s51, s61
	s_wait_alu 0xfffe
	s_mul_u64 s[58:59], s[58:59], s[50:51]
	s_delay_alu instid0(SALU_CYCLE_1)
	s_mul_hi_u32 s61, s50, s59
	s_mul_i32 s60, s50, s59
	s_mul_hi_u32 s18, s50, s58
	s_mul_i32 s41, s51, s58
	s_wait_alu 0xfffe
	s_add_nc_u64 s[60:61], s[18:19], s[60:61]
	s_mul_hi_u32 s2, s51, s58
	s_mul_hi_u32 s43, s51, s59
	s_add_co_u32 s18, s60, s41
	s_wait_alu 0xfffe
	s_add_co_ci_u32 s18, s61, s2
	s_mul_i32 s58, s51, s59
	s_add_co_ci_u32 s59, s43, 0
	s_wait_alu 0xfffe
	s_add_nc_u64 s[58:59], s[18:19], s[58:59]
	s_delay_alu instid0(SALU_CYCLE_1)
	s_add_co_u32 s2, s50, s58
	s_cselect_b32 s18, -1, 0
	s_wait_alu 0xfffe
	v_mul_hi_u32 v9, v5, s2
	s_cmp_lg_u32 s18, 0
	v_mad_co_u64_u32 v[21:22], null, v7, s2, 0
	s_add_co_ci_u32 s18, s51, s59
	s_wait_alu 0xfffe
	v_mad_co_u64_u32 v[19:20], null, v5, s18, 0
	v_mad_co_u64_u32 v[28:29], null, v7, s18, 0
	s_delay_alu instid0(VALU_DEP_2) | instskip(SKIP_1) | instid1(VALU_DEP_3)
	v_add_co_u32 v9, vcc_lo, v9, v19
	s_wait_alu 0xfffd
	v_add_co_ci_u32_e64 v11, null, 0, v20, vcc_lo
	s_delay_alu instid0(VALU_DEP_2) | instskip(SKIP_1) | instid1(VALU_DEP_2)
	v_add_co_u32 v9, vcc_lo, v9, v21
	s_wait_alu 0xfffd
	v_add_co_ci_u32_e32 v9, vcc_lo, v11, v22, vcc_lo
	s_wait_alu 0xfffd
	v_add_co_ci_u32_e32 v11, vcc_lo, 0, v29, vcc_lo
	s_delay_alu instid0(VALU_DEP_2) | instskip(SKIP_1) | instid1(VALU_DEP_2)
	v_add_co_u32 v9, vcc_lo, v9, v28
	s_wait_alu 0xfffd
	v_add_co_ci_u32_e64 v11, null, 0, v11, vcc_lo
	s_delay_alu instid0(VALU_DEP_2) | instskip(SKIP_1) | instid1(VALU_DEP_3)
	v_mul_lo_u32 v13, s47, v9
	v_mad_co_u64_u32 v[19:20], null, s46, v9, 0
	v_mul_lo_u32 v15, s46, v11
	v_add_co_u32 v17, s2, v9, 2
	s_delay_alu instid0(VALU_DEP_3) | instskip(NEXT) | instid1(VALU_DEP_3)
	v_sub_co_u32 v5, vcc_lo, v5, v19
	v_add3_u32 v13, v20, v15, v13
	s_wait_alu 0xf1ff
	v_add_co_ci_u32_e64 v19, null, 0, v11, s2
	s_delay_alu instid0(VALU_DEP_3) | instskip(NEXT) | instid1(VALU_DEP_3)
	v_sub_co_u32 v20, s2, v5, s46
	v_sub_nc_u32_e32 v15, v7, v13
	s_wait_alu 0xfffd
	v_sub_co_ci_u32_e64 v7, null, v7, v13, vcc_lo
	s_delay_alu instid0(VALU_DEP_2) | instskip(SKIP_2) | instid1(VALU_DEP_2)
	v_subrev_co_ci_u32_e64 v15, null, s47, v15, vcc_lo
	v_cmp_le_u32_e32 vcc_lo, s46, v20
	s_wait_alu 0xf1ff
	v_subrev_co_ci_u32_e64 v15, null, 0, v15, s2
	s_wait_alu 0xfffd
	v_cndmask_b32_e64 v13, 0, -1, vcc_lo
	s_delay_alu instid0(VALU_DEP_2)
	v_cmp_le_u32_e32 vcc_lo, s47, v15
	s_wait_alu 0xfffd
	v_cndmask_b32_e64 v20, 0, -1, vcc_lo
	v_cmp_le_u32_e32 vcc_lo, s46, v5
	s_wait_alu 0xfffd
	v_cndmask_b32_e64 v5, 0, -1, vcc_lo
	;; [unrolled: 3-line block ×3, first 2 shown]
	v_cmp_eq_u32_e32 vcc_lo, s47, v15
	s_wait_alu 0xfffd
	v_cndmask_b32_e32 v13, v20, v13, vcc_lo
	v_add_co_u32 v15, vcc_lo, v9, 1
	s_wait_alu 0xfffd
	v_add_co_ci_u32_e64 v20, null, 0, v11, vcc_lo
	v_cmp_eq_u32_e32 vcc_lo, s47, v7
	s_wait_alu 0xfffd
	v_cndmask_b32_e32 v5, v21, v5, vcc_lo
	v_cmp_ne_u32_e32 vcc_lo, 0, v13
	s_delay_alu instid0(VALU_DEP_2) | instskip(SKIP_4) | instid1(VALU_DEP_2)
	v_cmp_ne_u32_e64 s2, 0, v5
	s_wait_alu 0xfffd
	v_cndmask_b32_e32 v5, v15, v17, vcc_lo
	v_cndmask_b32_e32 v7, v20, v19, vcc_lo
	s_wait_alu 0xf1ff
	v_cndmask_b32_e64 v5, v9, v5, s2
	s_delay_alu instid0(VALU_DEP_2) | instskip(NEXT) | instid1(VALU_DEP_2)
	v_cndmask_b32_e64 v7, v11, v7, s2
	v_xor_b32_e32 v5, v5, v3
	s_delay_alu instid0(VALU_DEP_2) | instskip(NEXT) | instid1(VALU_DEP_2)
	v_xor_b32_e32 v7, v7, v3
	v_sub_co_u32 v20, vcc_lo, v5, v3
	s_wait_alu 0xfffd
	s_delay_alu instid0(VALU_DEP_2)
	v_sub_co_ci_u32_e64 v21, null, v7, v3, vcc_lo
.LBB92_48:                              ;   in Loop: Header=BB92_22 Depth=2
	s_wait_alu 0xfffe
	s_and_not1_saveexec_b32 s2, s27
	s_cbranch_execz .LBB92_50
; %bb.49:                               ;   in Loop: Header=BB92_22 Depth=2
	v_cvt_f32_u32_e32 v3, s42
	s_sub_co_i32 s18, 0, s42
	v_mov_b32_e32 v21, v2
	s_delay_alu instid0(VALU_DEP_2) | instskip(NEXT) | instid1(TRANS32_DEP_1)
	v_rcp_iflag_f32_e32 v3, v3
	v_mul_f32_e32 v3, 0x4f7ffffe, v3
	s_delay_alu instid0(VALU_DEP_1) | instskip(SKIP_1) | instid1(VALU_DEP_1)
	v_cvt_u32_f32_e32 v3, v3
	s_wait_alu 0xfffe
	v_mul_lo_u32 v5, s18, v3
	s_delay_alu instid0(VALU_DEP_1) | instskip(NEXT) | instid1(VALU_DEP_1)
	v_mul_hi_u32 v5, v3, v5
	v_add_nc_u32_e32 v3, v3, v5
	s_delay_alu instid0(VALU_DEP_1) | instskip(NEXT) | instid1(VALU_DEP_1)
	v_mul_hi_u32 v3, v18, v3
	v_mul_lo_u32 v5, v3, s42
	v_add_nc_u32_e32 v7, 1, v3
	s_delay_alu instid0(VALU_DEP_2) | instskip(NEXT) | instid1(VALU_DEP_1)
	v_sub_nc_u32_e32 v5, v18, v5
	v_cmp_le_u32_e32 vcc_lo, s42, v5
	v_subrev_nc_u32_e32 v9, s42, v5
	s_wait_alu 0xfffd
	v_cndmask_b32_e32 v3, v3, v7, vcc_lo
	s_delay_alu instid0(VALU_DEP_1) | instskip(NEXT) | instid1(VALU_DEP_3)
	v_add_nc_u32_e32 v7, 1, v3
	v_cndmask_b32_e32 v5, v5, v9, vcc_lo
	s_delay_alu instid0(VALU_DEP_1) | instskip(SKIP_1) | instid1(VALU_DEP_3)
	v_cmp_le_u32_e32 vcc_lo, s42, v5
	s_wait_alu 0xfffd
	v_cndmask_b32_e32 v20, v3, v7, vcc_lo
.LBB92_50:                              ;   in Loop: Header=BB92_22 Depth=2
	s_wait_alu 0xfffe
	s_or_b32 exec_lo, exec_lo, s2
	s_mov_b32 s27, s19
	s_add_nc_u64 s[48:49], s[0:1], s[48:49]
	s_wait_alu 0xfffe
	s_lshl_b64 s[46:47], s[26:27], 2
                                        ; implicit-def: $vgpr22_vgpr23
	s_mov_b32 s2, exec_lo
	s_wait_alu 0xfffe
	s_add_nc_u64 s[44:45], s[10:11], s[46:47]
	s_clause 0x1
	s_load_b32 s27, s[48:49], 0x6c
	s_load_b32 s44, s[44:45], 0x8
	s_wait_kmcnt 0x0
	s_ashr_i32 s45, s44, 31
	s_wait_alu 0xfffe
	v_or_b32_e32 v3, s45, v21
	s_delay_alu instid0(VALU_DEP_1)
	v_cmpx_ne_u64_e32 0, v[2:3]
	s_xor_b32 s41, exec_lo, s2
	s_cbranch_execz .LBB92_52
; %bb.51:                               ;   in Loop: Header=BB92_22 Depth=2
	s_ashr_i32 s48, s45, 31
	v_ashrrev_i32_e32 v3, 31, v21
	s_wait_alu 0xfffe
	s_mov_b32 s49, s48
	s_wait_alu 0xfffe
	s_add_nc_u64 s[50:51], s[44:45], s[48:49]
	v_add_co_u32 v5, vcc_lo, v20, v3
	s_wait_alu 0xfffe
	s_xor_b64 s[50:51], s[50:51], s[48:49]
	s_wait_alu 0xfffd
	v_add_co_ci_u32_e64 v7, null, v21, v3, vcc_lo
	s_wait_alu 0xfffe
	s_cvt_f32_u32 s2, s50
	s_cvt_f32_u32 s18, s51
	s_sub_nc_u64 s[60:61], 0, s[50:51]
	v_xor_b32_e32 v5, v5, v3
	v_xor_b32_e32 v7, v7, v3
	s_wait_alu 0xfffe
	s_fmamk_f32 s2, s18, 0x4f800000, s2
	v_xor_b32_e32 v3, s48, v3
	s_wait_alu 0xfffe
	s_delay_alu instid0(SALU_CYCLE_1) | instskip(NEXT) | instid1(TRANS32_DEP_1)
	v_s_rcp_f32 s2, s2
	s_mul_f32 s2, s2, 0x5f7ffffc
	s_wait_alu 0xfffe
	s_delay_alu instid0(SALU_CYCLE_2) | instskip(SKIP_1) | instid1(SALU_CYCLE_2)
	s_mul_f32 s18, s2, 0x2f800000
	s_wait_alu 0xfffe
	s_trunc_f32 s18, s18
	s_wait_alu 0xfffe
	s_delay_alu instid0(SALU_CYCLE_2) | instskip(SKIP_2) | instid1(SALU_CYCLE_1)
	s_fmamk_f32 s2, s18, 0xcf800000, s2
	s_cvt_u32_f32 s59, s18
	s_wait_alu 0xfffe
	s_cvt_u32_f32 s58, s2
	s_delay_alu instid0(SALU_CYCLE_3) | instskip(NEXT) | instid1(SALU_CYCLE_1)
	s_mul_u64 s[62:63], s[60:61], s[58:59]
	s_mul_hi_u32 s65, s58, s63
	s_mul_i32 s64, s58, s63
	s_mul_hi_u32 s18, s58, s62
	s_mul_i32 s43, s59, s62
	s_wait_alu 0xfffe
	s_add_nc_u64 s[64:65], s[18:19], s[64:65]
	s_mul_hi_u32 s2, s59, s62
	s_mul_hi_u32 s45, s59, s63
	s_add_co_u32 s18, s64, s43
	s_wait_alu 0xfffe
	s_add_co_ci_u32 s18, s65, s2
	s_mul_i32 s62, s59, s63
	s_add_co_ci_u32 s63, s45, 0
	s_wait_alu 0xfffe
	s_add_nc_u64 s[62:63], s[18:19], s[62:63]
	s_delay_alu instid0(SALU_CYCLE_1) | instskip(SKIP_4) | instid1(SALU_CYCLE_1)
	s_add_co_u32 s58, s58, s62
	s_cselect_b32 s2, -1, 0
	s_wait_alu 0xfffe
	s_cmp_lg_u32 s2, 0
	s_add_co_ci_u32 s59, s59, s63
	s_mul_u64 s[60:61], s[60:61], s[58:59]
	s_delay_alu instid0(SALU_CYCLE_1)
	s_mul_hi_u32 s63, s58, s61
	s_mul_i32 s62, s58, s61
	s_mul_hi_u32 s18, s58, s60
	s_mul_i32 s43, s59, s60
	s_wait_alu 0xfffe
	s_add_nc_u64 s[62:63], s[18:19], s[62:63]
	s_mul_hi_u32 s2, s59, s60
	s_mul_hi_u32 s45, s59, s61
	s_add_co_u32 s18, s62, s43
	s_wait_alu 0xfffe
	s_add_co_ci_u32 s18, s63, s2
	s_mul_i32 s60, s59, s61
	s_add_co_ci_u32 s61, s45, 0
	s_wait_alu 0xfffe
	s_add_nc_u64 s[60:61], s[18:19], s[60:61]
	s_delay_alu instid0(SALU_CYCLE_1)
	s_add_co_u32 s2, s58, s60
	s_cselect_b32 s18, -1, 0
	s_wait_alu 0xfffe
	v_mul_hi_u32 v9, v5, s2
	s_cmp_lg_u32 s18, 0
	v_mad_co_u64_u32 v[28:29], null, v7, s2, 0
	s_add_co_ci_u32 s18, s59, s61
	s_wait_alu 0xfffe
	v_mad_co_u64_u32 v[21:22], null, v5, s18, 0
	v_mad_co_u64_u32 v[30:31], null, v7, s18, 0
	s_delay_alu instid0(VALU_DEP_2) | instskip(SKIP_1) | instid1(VALU_DEP_3)
	v_add_co_u32 v9, vcc_lo, v9, v21
	s_wait_alu 0xfffd
	v_add_co_ci_u32_e64 v11, null, 0, v22, vcc_lo
	s_delay_alu instid0(VALU_DEP_2) | instskip(SKIP_1) | instid1(VALU_DEP_2)
	v_add_co_u32 v9, vcc_lo, v9, v28
	s_wait_alu 0xfffd
	v_add_co_ci_u32_e32 v9, vcc_lo, v11, v29, vcc_lo
	s_wait_alu 0xfffd
	v_add_co_ci_u32_e32 v11, vcc_lo, 0, v31, vcc_lo
	s_delay_alu instid0(VALU_DEP_2) | instskip(SKIP_1) | instid1(VALU_DEP_2)
	v_add_co_u32 v9, vcc_lo, v9, v30
	s_wait_alu 0xfffd
	v_add_co_ci_u32_e64 v11, null, 0, v11, vcc_lo
	s_delay_alu instid0(VALU_DEP_2) | instskip(SKIP_1) | instid1(VALU_DEP_3)
	v_mul_lo_u32 v13, s51, v9
	v_mad_co_u64_u32 v[21:22], null, s50, v9, 0
	v_mul_lo_u32 v15, s50, v11
	v_add_co_u32 v17, s2, v9, 2
	s_wait_alu 0xf1ff
	v_add_co_ci_u32_e64 v19, null, 0, v11, s2
	s_delay_alu instid0(VALU_DEP_4) | instskip(NEXT) | instid1(VALU_DEP_4)
	v_sub_co_u32 v5, vcc_lo, v5, v21
	v_add3_u32 v13, v22, v15, v13
	s_delay_alu instid0(VALU_DEP_2) | instskip(NEXT) | instid1(VALU_DEP_2)
	v_sub_co_u32 v21, s2, v5, s50
	v_sub_nc_u32_e32 v15, v7, v13
	s_wait_alu 0xfffd
	v_sub_co_ci_u32_e64 v7, null, v7, v13, vcc_lo
	s_delay_alu instid0(VALU_DEP_2) | instskip(SKIP_2) | instid1(VALU_DEP_2)
	v_subrev_co_ci_u32_e64 v15, null, s51, v15, vcc_lo
	v_cmp_le_u32_e32 vcc_lo, s50, v21
	s_wait_alu 0xf1ff
	v_subrev_co_ci_u32_e64 v15, null, 0, v15, s2
	s_wait_alu 0xfffd
	v_cndmask_b32_e64 v13, 0, -1, vcc_lo
	s_delay_alu instid0(VALU_DEP_2)
	v_cmp_le_u32_e32 vcc_lo, s51, v15
	s_wait_alu 0xfffd
	v_cndmask_b32_e64 v21, 0, -1, vcc_lo
	v_cmp_le_u32_e32 vcc_lo, s50, v5
	s_wait_alu 0xfffd
	v_cndmask_b32_e64 v5, 0, -1, vcc_lo
	;; [unrolled: 3-line block ×3, first 2 shown]
	v_cmp_eq_u32_e32 vcc_lo, s51, v15
	s_wait_alu 0xfffd
	v_cndmask_b32_e32 v13, v21, v13, vcc_lo
	v_add_co_u32 v15, vcc_lo, v9, 1
	s_wait_alu 0xfffd
	v_add_co_ci_u32_e64 v21, null, 0, v11, vcc_lo
	v_cmp_eq_u32_e32 vcc_lo, s51, v7
	s_wait_alu 0xfffd
	v_cndmask_b32_e32 v5, v22, v5, vcc_lo
	v_cmp_ne_u32_e32 vcc_lo, 0, v13
	s_delay_alu instid0(VALU_DEP_2) | instskip(SKIP_4) | instid1(VALU_DEP_2)
	v_cmp_ne_u32_e64 s2, 0, v5
	s_wait_alu 0xfffd
	v_cndmask_b32_e32 v5, v15, v17, vcc_lo
	v_cndmask_b32_e32 v7, v21, v19, vcc_lo
	s_wait_alu 0xf1ff
	v_cndmask_b32_e64 v5, v9, v5, s2
	s_delay_alu instid0(VALU_DEP_2) | instskip(NEXT) | instid1(VALU_DEP_2)
	v_cndmask_b32_e64 v7, v11, v7, s2
	v_xor_b32_e32 v5, v5, v3
	s_delay_alu instid0(VALU_DEP_2) | instskip(NEXT) | instid1(VALU_DEP_2)
	v_xor_b32_e32 v7, v7, v3
	v_sub_co_u32 v22, vcc_lo, v5, v3
	s_wait_alu 0xfffd
	s_delay_alu instid0(VALU_DEP_2)
	v_sub_co_ci_u32_e64 v23, null, v7, v3, vcc_lo
.LBB92_52:                              ;   in Loop: Header=BB92_22 Depth=2
	s_wait_alu 0xfffe
	s_and_not1_saveexec_b32 s2, s41
	s_cbranch_execz .LBB92_54
; %bb.53:                               ;   in Loop: Header=BB92_22 Depth=2
	v_cvt_f32_u32_e32 v3, s44
	s_sub_co_i32 s18, 0, s44
	v_mov_b32_e32 v23, v2
	s_delay_alu instid0(VALU_DEP_2) | instskip(NEXT) | instid1(TRANS32_DEP_1)
	v_rcp_iflag_f32_e32 v3, v3
	v_mul_f32_e32 v3, 0x4f7ffffe, v3
	s_delay_alu instid0(VALU_DEP_1) | instskip(SKIP_1) | instid1(VALU_DEP_1)
	v_cvt_u32_f32_e32 v3, v3
	s_wait_alu 0xfffe
	v_mul_lo_u32 v5, s18, v3
	s_delay_alu instid0(VALU_DEP_1) | instskip(NEXT) | instid1(VALU_DEP_1)
	v_mul_hi_u32 v5, v3, v5
	v_add_nc_u32_e32 v3, v3, v5
	s_delay_alu instid0(VALU_DEP_1) | instskip(NEXT) | instid1(VALU_DEP_1)
	v_mul_hi_u32 v3, v20, v3
	v_mul_lo_u32 v5, v3, s44
	v_add_nc_u32_e32 v7, 1, v3
	s_delay_alu instid0(VALU_DEP_2) | instskip(NEXT) | instid1(VALU_DEP_1)
	v_sub_nc_u32_e32 v5, v20, v5
	v_cmp_le_u32_e32 vcc_lo, s44, v5
	v_subrev_nc_u32_e32 v9, s44, v5
	s_wait_alu 0xfffd
	v_cndmask_b32_e32 v3, v3, v7, vcc_lo
	s_delay_alu instid0(VALU_DEP_1) | instskip(NEXT) | instid1(VALU_DEP_3)
	v_add_nc_u32_e32 v7, 1, v3
	v_cndmask_b32_e32 v5, v5, v9, vcc_lo
	s_delay_alu instid0(VALU_DEP_1) | instskip(SKIP_1) | instid1(VALU_DEP_3)
	v_cmp_le_u32_e32 vcc_lo, s44, v5
	s_wait_alu 0xfffd
	v_cndmask_b32_e32 v22, v3, v7, vcc_lo
.LBB92_54:                              ;   in Loop: Header=BB92_22 Depth=2
	s_wait_alu 0xfffe
	s_or_b32 exec_lo, exec_lo, s2
	v_mul_lo_u32 v3, v8, s28
	v_mul_lo_u32 v5, v10, s30
	;; [unrolled: 1-line block ×5, first 2 shown]
	s_add_nc_u64 s[40:41], s[0:1], s[46:47]
	v_mul_lo_u32 v11, v16, s38
	s_load_b32 s2, s[40:41], 0x6c
	v_sub_nc_u32_e32 v3, v6, v3
	v_sub_nc_u32_e32 v5, v8, v5
	v_sub_nc_u32_e32 v6, v10, v7
	v_sub_nc_u32_e32 v7, v12, v9
	v_mul_lo_u32 v8, v20, s42
	v_mul_lo_u32 v3, s25, v3
	;; [unrolled: 1-line block ×4, first 2 shown]
	v_sub_nc_u32_e32 v10, v14, v11
	v_sub_nc_u32_e32 v11, v16, v13
	v_mul_lo_u32 v6, s31, v6
	v_mul_lo_u32 v7, s35, v7
	s_add_co_i32 s26, s26, -8
	v_mul_lo_u32 v10, s37, v10
	v_add3_u32 v3, v3, v4, v5
	v_sub_nc_u32_e32 v4, v18, v8
	v_sub_nc_u32_e32 v5, v20, v9
	v_mul_lo_u32 v8, s39, v11
	s_wait_alu 0xfffe
	s_cmp_eq_u32 s26, -8
	v_add3_u32 v3, v6, v3, v7
	v_mul_lo_u32 v4, s27, v4
	s_wait_kmcnt 0x0
	v_mul_lo_u32 v5, s2, v5
	s_delay_alu instid0(VALU_DEP_3) | instskip(NEXT) | instid1(VALU_DEP_1)
	v_add3_u32 v3, v10, v3, v8
	v_add3_u32 v4, v4, v3, v5
	s_cbranch_scc1 .LBB92_56
; %bb.55:                               ;   in Loop: Header=BB92_22 Depth=2
	v_dual_mov_b32 v6, v22 :: v_dual_mov_b32 v7, v23
	s_branch .LBB92_22
.LBB92_56:                              ;   in Loop: Header=BB92_3 Depth=1
	s_load_b32 s2, s[12:13], 0x4
	s_wait_kmcnt 0x0
	v_cmp_gt_i32_e32 vcc_lo, s2, v27
	s_and_b32 exec_lo, exec_lo, vcc_lo
	s_cbranch_execz .LBB92_2
; %bb.57:                               ;   in Loop: Header=BB92_3 Depth=1
	v_ashrrev_i32_e32 v5, 31, v4
	v_add_nc_u32_e32 v3, 1, v27
	s_delay_alu instid0(VALU_DEP_2) | instskip(NEXT) | instid1(VALU_DEP_1)
	v_lshlrev_b64_e32 v[5:6], 1, v[4:5]
	v_add_co_u32 v5, vcc_lo, s16, v5
	s_wait_alu 0xfffd
	s_delay_alu instid0(VALU_DEP_2)
	v_add_co_ci_u32_e64 v6, null, s17, v6, vcc_lo
	v_cmp_gt_i32_e32 vcc_lo, s2, v3
	global_store_b16 v[5:6], v2, off
	s_and_b32 exec_lo, exec_lo, vcc_lo
	s_cbranch_execz .LBB92_2
; %bb.58:                               ;   in Loop: Header=BB92_3 Depth=1
	v_sub_nc_u32_e32 v5, v3, v26
	s_mov_b32 s18, exec_lo
	s_delay_alu instid0(VALU_DEP_1) | instskip(NEXT) | instid1(VALU_DEP_1)
	v_ashrrev_i32_e32 v6, 31, v5
	v_cmpx_gt_i64_e64 s[4:5], v[5:6]
	s_cbranch_execz .LBB92_60
; %bb.59:                               ;   in Loop: Header=BB92_3 Depth=1
	v_add_nc_u32_e32 v5, s3, v4
	s_delay_alu instid0(VALU_DEP_1) | instskip(NEXT) | instid1(VALU_DEP_1)
	v_ashrrev_i32_e32 v6, 31, v5
	v_lshlrev_b64_e32 v[5:6], 1, v[5:6]
	s_delay_alu instid0(VALU_DEP_1) | instskip(SKIP_1) | instid1(VALU_DEP_2)
	v_add_co_u32 v5, vcc_lo, s16, v5
	s_wait_alu 0xfffd
	v_add_co_ci_u32_e64 v6, null, s17, v6, vcc_lo
	global_store_b16 v[5:6], v2, off
.LBB92_60:                              ;   in Loop: Header=BB92_3 Depth=1
	s_wait_alu 0xfffe
	s_or_b32 exec_lo, exec_lo, s18
	v_add_nc_u32_e32 v3, 2, v27
	s_delay_alu instid0(VALU_DEP_1)
	v_cmp_gt_i32_e32 vcc_lo, s2, v3
	s_and_b32 exec_lo, exec_lo, vcc_lo
	s_cbranch_execz .LBB92_2
; %bb.61:                               ;   in Loop: Header=BB92_3 Depth=1
	v_sub_nc_u32_e32 v5, v3, v26
	s_mov_b32 s18, exec_lo
	s_delay_alu instid0(VALU_DEP_1) | instskip(NEXT) | instid1(VALU_DEP_1)
	v_ashrrev_i32_e32 v6, 31, v5
	v_cmpx_gt_i64_e64 s[4:5], v[5:6]
	s_cbranch_execz .LBB92_63
; %bb.62:                               ;   in Loop: Header=BB92_3 Depth=1
	v_lshl_add_u32 v5, s3, 1, v4
	s_delay_alu instid0(VALU_DEP_1) | instskip(NEXT) | instid1(VALU_DEP_1)
	v_ashrrev_i32_e32 v6, 31, v5
	v_lshlrev_b64_e32 v[5:6], 1, v[5:6]
	s_delay_alu instid0(VALU_DEP_1) | instskip(SKIP_1) | instid1(VALU_DEP_2)
	v_add_co_u32 v5, vcc_lo, s16, v5
	s_wait_alu 0xfffd
	v_add_co_ci_u32_e64 v6, null, s17, v6, vcc_lo
	global_store_b16 v[5:6], v2, off
.LBB92_63:                              ;   in Loop: Header=BB92_3 Depth=1
	s_wait_alu 0xfffe
	s_or_b32 exec_lo, exec_lo, s18
	v_add_nc_u32_e32 v3, 3, v27
	s_delay_alu instid0(VALU_DEP_1)
	v_cmp_gt_i32_e32 vcc_lo, s2, v3
	s_and_b32 exec_lo, exec_lo, vcc_lo
	s_cbranch_execz .LBB92_2
; %bb.64:                               ;   in Loop: Header=BB92_3 Depth=1
	v_sub_nc_u32_e32 v5, v3, v26
	s_delay_alu instid0(VALU_DEP_1) | instskip(NEXT) | instid1(VALU_DEP_1)
	v_ashrrev_i32_e32 v6, 31, v5
	v_cmp_gt_i64_e32 vcc_lo, s[4:5], v[5:6]
	s_and_b32 exec_lo, exec_lo, vcc_lo
	s_cbranch_execz .LBB92_2
; %bb.65:                               ;   in Loop: Header=BB92_3 Depth=1
	v_mad_co_u64_u32 v[3:4], null, s3, 3, v[4:5]
	s_delay_alu instid0(VALU_DEP_1) | instskip(NEXT) | instid1(VALU_DEP_1)
	v_ashrrev_i32_e32 v4, 31, v3
	v_lshlrev_b64_e32 v[3:4], 1, v[3:4]
	s_delay_alu instid0(VALU_DEP_1) | instskip(SKIP_1) | instid1(VALU_DEP_2)
	v_add_co_u32 v3, vcc_lo, s16, v3
	s_wait_alu 0xfffd
	v_add_co_ci_u32_e64 v4, null, s17, v4, vcc_lo
	global_store_b16 v[3:4], v2, off
	s_branch .LBB92_2
.LBB92_66:
	s_endpgm
	.section	.rodata,"a",@progbits
	.p2align	6, 0x0
	.amdhsa_kernel _ZN2at6native16triu_tril_kernelIN3c104HalfEiLb1ELi4ELb1EEEvNS_4cuda6detail10TensorInfoIT_T0_EENS6_IKS7_S8_EEllS8_
		.amdhsa_group_segment_fixed_size 0
		.amdhsa_private_segment_fixed_size 0
		.amdhsa_kernarg_size 712
		.amdhsa_user_sgpr_count 2
		.amdhsa_user_sgpr_dispatch_ptr 0
		.amdhsa_user_sgpr_queue_ptr 0
		.amdhsa_user_sgpr_kernarg_segment_ptr 1
		.amdhsa_user_sgpr_dispatch_id 0
		.amdhsa_user_sgpr_private_segment_size 0
		.amdhsa_wavefront_size32 1
		.amdhsa_uses_dynamic_stack 0
		.amdhsa_enable_private_segment 0
		.amdhsa_system_sgpr_workgroup_id_x 1
		.amdhsa_system_sgpr_workgroup_id_y 0
		.amdhsa_system_sgpr_workgroup_id_z 0
		.amdhsa_system_sgpr_workgroup_info 0
		.amdhsa_system_vgpr_workitem_id 0
		.amdhsa_next_free_vgpr 32
		.amdhsa_next_free_sgpr 66
		.amdhsa_reserve_vcc 1
		.amdhsa_float_round_mode_32 0
		.amdhsa_float_round_mode_16_64 0
		.amdhsa_float_denorm_mode_32 3
		.amdhsa_float_denorm_mode_16_64 3
		.amdhsa_fp16_overflow 0
		.amdhsa_workgroup_processor_mode 1
		.amdhsa_memory_ordered 1
		.amdhsa_forward_progress 1
		.amdhsa_inst_pref_size 97
		.amdhsa_round_robin_scheduling 0
		.amdhsa_exception_fp_ieee_invalid_op 0
		.amdhsa_exception_fp_denorm_src 0
		.amdhsa_exception_fp_ieee_div_zero 0
		.amdhsa_exception_fp_ieee_overflow 0
		.amdhsa_exception_fp_ieee_underflow 0
		.amdhsa_exception_fp_ieee_inexact 0
		.amdhsa_exception_int_div_zero 0
	.end_amdhsa_kernel
	.section	.text._ZN2at6native16triu_tril_kernelIN3c104HalfEiLb1ELi4ELb1EEEvNS_4cuda6detail10TensorInfoIT_T0_EENS6_IKS7_S8_EEllS8_,"axG",@progbits,_ZN2at6native16triu_tril_kernelIN3c104HalfEiLb1ELi4ELb1EEEvNS_4cuda6detail10TensorInfoIT_T0_EENS6_IKS7_S8_EEllS8_,comdat
.Lfunc_end92:
	.size	_ZN2at6native16triu_tril_kernelIN3c104HalfEiLb1ELi4ELb1EEEvNS_4cuda6detail10TensorInfoIT_T0_EENS6_IKS7_S8_EEllS8_, .Lfunc_end92-_ZN2at6native16triu_tril_kernelIN3c104HalfEiLb1ELi4ELb1EEEvNS_4cuda6detail10TensorInfoIT_T0_EENS6_IKS7_S8_EEllS8_
                                        ; -- End function
	.set _ZN2at6native16triu_tril_kernelIN3c104HalfEiLb1ELi4ELb1EEEvNS_4cuda6detail10TensorInfoIT_T0_EENS6_IKS7_S8_EEllS8_.num_vgpr, 32
	.set _ZN2at6native16triu_tril_kernelIN3c104HalfEiLb1ELi4ELb1EEEvNS_4cuda6detail10TensorInfoIT_T0_EENS6_IKS7_S8_EEllS8_.num_agpr, 0
	.set _ZN2at6native16triu_tril_kernelIN3c104HalfEiLb1ELi4ELb1EEEvNS_4cuda6detail10TensorInfoIT_T0_EENS6_IKS7_S8_EEllS8_.numbered_sgpr, 66
	.set _ZN2at6native16triu_tril_kernelIN3c104HalfEiLb1ELi4ELb1EEEvNS_4cuda6detail10TensorInfoIT_T0_EENS6_IKS7_S8_EEllS8_.num_named_barrier, 0
	.set _ZN2at6native16triu_tril_kernelIN3c104HalfEiLb1ELi4ELb1EEEvNS_4cuda6detail10TensorInfoIT_T0_EENS6_IKS7_S8_EEllS8_.private_seg_size, 0
	.set _ZN2at6native16triu_tril_kernelIN3c104HalfEiLb1ELi4ELb1EEEvNS_4cuda6detail10TensorInfoIT_T0_EENS6_IKS7_S8_EEllS8_.uses_vcc, 1
	.set _ZN2at6native16triu_tril_kernelIN3c104HalfEiLb1ELi4ELb1EEEvNS_4cuda6detail10TensorInfoIT_T0_EENS6_IKS7_S8_EEllS8_.uses_flat_scratch, 0
	.set _ZN2at6native16triu_tril_kernelIN3c104HalfEiLb1ELi4ELb1EEEvNS_4cuda6detail10TensorInfoIT_T0_EENS6_IKS7_S8_EEllS8_.has_dyn_sized_stack, 0
	.set _ZN2at6native16triu_tril_kernelIN3c104HalfEiLb1ELi4ELb1EEEvNS_4cuda6detail10TensorInfoIT_T0_EENS6_IKS7_S8_EEllS8_.has_recursion, 0
	.set _ZN2at6native16triu_tril_kernelIN3c104HalfEiLb1ELi4ELb1EEEvNS_4cuda6detail10TensorInfoIT_T0_EENS6_IKS7_S8_EEllS8_.has_indirect_call, 0
	.section	.AMDGPU.csdata,"",@progbits
; Kernel info:
; codeLenInByte = 12372
; TotalNumSgprs: 68
; NumVgprs: 32
; ScratchSize: 0
; MemoryBound: 0
; FloatMode: 240
; IeeeMode: 1
; LDSByteSize: 0 bytes/workgroup (compile time only)
; SGPRBlocks: 0
; VGPRBlocks: 3
; NumSGPRsForWavesPerEU: 68
; NumVGPRsForWavesPerEU: 32
; Occupancy: 16
; WaveLimiterHint : 0
; COMPUTE_PGM_RSRC2:SCRATCH_EN: 0
; COMPUTE_PGM_RSRC2:USER_SGPR: 2
; COMPUTE_PGM_RSRC2:TRAP_HANDLER: 0
; COMPUTE_PGM_RSRC2:TGID_X_EN: 1
; COMPUTE_PGM_RSRC2:TGID_Y_EN: 0
; COMPUTE_PGM_RSRC2:TGID_Z_EN: 0
; COMPUTE_PGM_RSRC2:TIDIG_COMP_CNT: 0
	.section	.text._ZN2at6native16triu_tril_kernelIN3c104HalfEiLb1ELi4ELb0EEEvNS_4cuda6detail10TensorInfoIT_T0_EENS6_IKS7_S8_EEllS8_,"axG",@progbits,_ZN2at6native16triu_tril_kernelIN3c104HalfEiLb1ELi4ELb0EEEvNS_4cuda6detail10TensorInfoIT_T0_EENS6_IKS7_S8_EEllS8_,comdat
	.protected	_ZN2at6native16triu_tril_kernelIN3c104HalfEiLb1ELi4ELb0EEEvNS_4cuda6detail10TensorInfoIT_T0_EENS6_IKS7_S8_EEllS8_ ; -- Begin function _ZN2at6native16triu_tril_kernelIN3c104HalfEiLb1ELi4ELb0EEEvNS_4cuda6detail10TensorInfoIT_T0_EENS6_IKS7_S8_EEllS8_
	.globl	_ZN2at6native16triu_tril_kernelIN3c104HalfEiLb1ELi4ELb0EEEvNS_4cuda6detail10TensorInfoIT_T0_EENS6_IKS7_S8_EEllS8_
	.p2align	8
	.type	_ZN2at6native16triu_tril_kernelIN3c104HalfEiLb1ELi4ELb0EEEvNS_4cuda6detail10TensorInfoIT_T0_EENS6_IKS7_S8_EEllS8_,@function
_ZN2at6native16triu_tril_kernelIN3c104HalfEiLb1ELi4ELb0EEEvNS_4cuda6detail10TensorInfoIT_T0_EENS6_IKS7_S8_EEllS8_: ; @_ZN2at6native16triu_tril_kernelIN3c104HalfEiLb1ELi4ELb0EEEvNS_4cuda6detail10TensorInfoIT_T0_EENS6_IKS7_S8_EEllS8_
; %bb.0:
	s_clause 0x1
	s_load_b32 s2, s[0:1], 0x1d4
	s_load_b128 s[4:7], s[0:1], 0x1b0
	v_mov_b32_e32 v2, 0
	s_delay_alu instid0(VALU_DEP_1) | instskip(SKIP_3) | instid1(VALU_DEP_1)
	v_mov_b32_e32 v1, v2
	s_wait_kmcnt 0x0
	s_and_b32 s20, s2, 0xffff
	s_mov_b32 s2, exec_lo
	v_mad_co_u64_u32 v[0:1], null, s20, ttmp9, v[0:1]
	s_delay_alu instid0(VALU_DEP_1) | instskip(NEXT) | instid1(VALU_DEP_1)
	v_lshlrev_b64_e32 v[0:1], 2, v[0:1]
	v_cmpx_gt_i64_e64 s[6:7], v[0:1]
	s_cbranch_execz .LBB93_53
; %bb.1:
	s_clause 0x2
	s_load_b32 s24, s[0:1], 0x1a8
	s_load_b32 s8, s[0:1], 0x1c0
	s_load_b64 s[10:11], s[0:1], 0xd8
	s_add_nc_u64 s[12:13], s[0:1], 0xd8
	s_add_nc_u64 s[18:19], s[0:1], 0x1c8
	s_mov_b32 s21, 0
	s_load_b32 s23, s[18:19], 0x0
	s_mov_b32 s53, 0
	s_wait_kmcnt 0x0
	s_ashr_i32 s25, s24, 31
	v_cvt_f32_u32_e32 v3, s8
	s_lshl_b64 s[14:15], s[24:25], 2
	s_and_b32 s48, s24, 3
	s_add_nc_u64 s[16:17], s[12:13], s[14:15]
	s_add_nc_u64 s[18:19], s[0:1], s[14:15]
	s_load_b64 s[2:3], s[16:17], 0x0
	v_rcp_iflag_f32_e32 v3, v3
	s_clause 0x2
	s_load_b64 s[14:15], s[16:17], 0x64
	s_load_b64 s[16:17], s[18:19], 0x64
	;; [unrolled: 1-line block ×3, first 2 shown]
	s_mul_i32 s23, s23, s20
	s_ashr_i32 s9, s8, 31
	s_add_co_i32 s33, s24, -3
	s_lshl_b32 s50, s23, 2
	v_cmp_gt_i64_e64 s49, s[24:25], 2
	v_mul_f32_e32 v3, 0x4f7ffffe, v3
	s_delay_alu instid0(VALU_DEP_1)
	v_cvt_u32_f32_e32 v18, v3
	s_wait_kmcnt 0x0
	s_mov_b32 s22, s2
	s_ashr_i32 s23, s2, 31
	v_cvt_f32_u32_e32 v4, s22
	s_cmp_lg_u32 s48, 2
	s_mov_b32 s24, s15
	s_cselect_b32 s51, -1, 0
	s_cmp_gt_u32 s33, 2
	v_rcp_iflag_f32_e32 v4, v4
	s_mov_b32 s26, s17
	s_cselect_b32 s52, -1, 0
	s_ashr_i32 s25, s15, 31
	s_add_co_i32 s15, s15, s15
	s_ashr_i32 s27, s17, 31
	s_add_co_i32 s17, s17, s17
	s_wait_alu 0xfffe
	s_ashr_i32 s28, s9, 31
	s_delay_alu instid0(TRANS32_DEP_1) | instskip(NEXT) | instid1(VALU_DEP_1)
	v_mul_f32_e32 v3, 0x4f7ffffe, v4
	v_cvt_u32_f32_e32 v19, v3
	s_branch .LBB93_3
.LBB93_2:                               ;   in Loop: Header=BB93_3 Depth=1
	s_wait_alu 0xfffe
	s_or_b32 exec_lo, exec_lo, s2
	v_add_co_u32 v0, vcc_lo, v0, s50
	s_wait_alu 0xfffd
	v_add_co_ci_u32_e64 v1, null, 0, v1, vcc_lo
	s_delay_alu instid0(VALU_DEP_1) | instskip(SKIP_1) | instid1(SALU_CYCLE_1)
	v_cmp_le_i64_e32 vcc_lo, s[6:7], v[0:1]
	s_or_b32 s53, vcc_lo, s53
	s_and_not1_b32 exec_lo, exec_lo, s53
	s_cbranch_execz .LBB93_53
.LBB93_3:                               ; =>This Loop Header: Depth=1
                                        ;     Child Loop BB93_15 Depth 2
                                        ;     Child Loop BB93_20 Depth 2
	v_or_b32_e32 v3, s9, v1
                                        ; implicit-def: $vgpr4_vgpr5
	s_mov_b32 s2, exec_lo
	s_delay_alu instid0(VALU_DEP_1)
	v_cmpx_ne_u64_e32 0, v[2:3]
	s_wait_alu 0xfffe
	s_xor_b32 s34, exec_lo, s2
	s_cbranch_execz .LBB93_5
; %bb.4:                                ;   in Loop: Header=BB93_3 Depth=1
	s_mov_b32 s29, s28
	v_ashrrev_i32_e32 v9, 31, v1
	s_wait_alu 0xfffe
	s_add_nc_u64 s[30:31], s[8:9], s[28:29]
	s_wait_alu 0xfffe
	s_xor_b64 s[30:31], s[30:31], s[28:29]
	v_add_co_u32 v3, vcc_lo, v0, v9
	s_wait_alu 0xfffe
	s_cvt_f32_u32 s2, s30
	s_cvt_f32_u32 s20, s31
	s_sub_nc_u64 s[38:39], 0, s[30:31]
	s_wait_alu 0xfffd
	v_add_co_ci_u32_e64 v4, null, v1, v9, vcc_lo
	s_wait_alu 0xfffe
	s_fmamk_f32 s2, s20, 0x4f800000, s2
	v_xor_b32_e32 v10, v3, v9
	s_delay_alu instid0(VALU_DEP_2) | instskip(SKIP_2) | instid1(TRANS32_DEP_1)
	v_xor_b32_e32 v11, v4, v9
	s_wait_alu 0xfffe
	v_s_rcp_f32 s2, s2
	s_mul_f32 s2, s2, 0x5f7ffffc
	s_wait_alu 0xfffe
	s_delay_alu instid0(SALU_CYCLE_2) | instskip(SKIP_1) | instid1(SALU_CYCLE_2)
	s_mul_f32 s20, s2, 0x2f800000
	s_wait_alu 0xfffe
	s_trunc_f32 s20, s20
	s_wait_alu 0xfffe
	s_delay_alu instid0(SALU_CYCLE_2) | instskip(SKIP_2) | instid1(SALU_CYCLE_1)
	s_fmamk_f32 s2, s20, 0xcf800000, s2
	s_cvt_u32_f32 s37, s20
	s_wait_alu 0xfffe
	s_cvt_u32_f32 s36, s2
	s_wait_alu 0xfffe
	s_delay_alu instid0(SALU_CYCLE_2)
	s_mul_u64 s[40:41], s[38:39], s[36:37]
	s_wait_alu 0xfffe
	s_mul_hi_u32 s43, s36, s41
	s_mul_i32 s42, s36, s41
	s_mul_hi_u32 s20, s36, s40
	s_mul_i32 s29, s37, s40
	s_wait_alu 0xfffe
	s_add_nc_u64 s[42:43], s[20:21], s[42:43]
	s_mul_hi_u32 s2, s37, s40
	s_mul_hi_u32 s35, s37, s41
	s_wait_alu 0xfffe
	s_add_co_u32 s20, s42, s29
	s_add_co_ci_u32 s20, s43, s2
	s_mul_i32 s40, s37, s41
	s_add_co_ci_u32 s41, s35, 0
	s_wait_alu 0xfffe
	s_add_nc_u64 s[40:41], s[20:21], s[40:41]
	s_wait_alu 0xfffe
	s_add_co_u32 s36, s36, s40
	s_cselect_b32 s2, -1, 0
	s_wait_alu 0xfffe
	s_cmp_lg_u32 s2, 0
	s_add_co_ci_u32 s37, s37, s41
	s_wait_alu 0xfffe
	s_mul_u64 s[38:39], s[38:39], s[36:37]
	s_wait_alu 0xfffe
	s_mul_hi_u32 s41, s36, s39
	s_mul_i32 s40, s36, s39
	s_mul_hi_u32 s20, s36, s38
	s_mul_i32 s29, s37, s38
	s_wait_alu 0xfffe
	s_add_nc_u64 s[40:41], s[20:21], s[40:41]
	s_mul_hi_u32 s2, s37, s38
	s_mul_hi_u32 s35, s37, s39
	s_wait_alu 0xfffe
	s_add_co_u32 s20, s40, s29
	s_add_co_ci_u32 s20, s41, s2
	s_mul_i32 s38, s37, s39
	s_add_co_ci_u32 s39, s35, 0
	s_wait_alu 0xfffe
	s_add_nc_u64 s[38:39], s[20:21], s[38:39]
	s_wait_alu 0xfffe
	s_add_co_u32 s2, s36, s38
	s_cselect_b32 s20, -1, 0
	s_wait_alu 0xfffe
	v_mul_hi_u32 v12, v10, s2
	s_cmp_lg_u32 s20, 0
	v_mad_co_u64_u32 v[5:6], null, v11, s2, 0
	s_add_co_ci_u32 s20, s37, s39
	s_wait_alu 0xfffe
	v_mad_co_u64_u32 v[3:4], null, v10, s20, 0
	v_mad_co_u64_u32 v[7:8], null, v11, s20, 0
	s_delay_alu instid0(VALU_DEP_2) | instskip(SKIP_1) | instid1(VALU_DEP_3)
	v_add_co_u32 v3, vcc_lo, v12, v3
	s_wait_alu 0xfffd
	v_add_co_ci_u32_e64 v4, null, 0, v4, vcc_lo
	s_delay_alu instid0(VALU_DEP_2) | instskip(SKIP_1) | instid1(VALU_DEP_2)
	v_add_co_u32 v3, vcc_lo, v3, v5
	s_wait_alu 0xfffd
	v_add_co_ci_u32_e32 v3, vcc_lo, v4, v6, vcc_lo
	s_wait_alu 0xfffd
	v_add_co_ci_u32_e32 v4, vcc_lo, 0, v8, vcc_lo
	s_delay_alu instid0(VALU_DEP_2) | instskip(SKIP_1) | instid1(VALU_DEP_2)
	v_add_co_u32 v5, vcc_lo, v3, v7
	s_wait_alu 0xfffd
	v_add_co_ci_u32_e64 v6, null, 0, v4, vcc_lo
	s_delay_alu instid0(VALU_DEP_2) | instskip(SKIP_1) | instid1(VALU_DEP_3)
	v_mul_lo_u32 v7, s31, v5
	v_mad_co_u64_u32 v[3:4], null, s30, v5, 0
	v_mul_lo_u32 v8, s30, v6
	s_delay_alu instid0(VALU_DEP_2) | instskip(NEXT) | instid1(VALU_DEP_2)
	v_sub_co_u32 v3, vcc_lo, v10, v3
	v_add3_u32 v4, v4, v8, v7
	v_add_co_u32 v8, s2, v5, 2
	s_wait_alu 0xf1ff
	v_add_co_ci_u32_e64 v10, null, 0, v6, s2
	s_delay_alu instid0(VALU_DEP_3) | instskip(SKIP_3) | instid1(VALU_DEP_3)
	v_sub_nc_u32_e32 v7, v11, v4
	v_sub_co_u32 v12, s2, v3, s30
	s_wait_alu 0xfffd
	v_sub_co_ci_u32_e64 v4, null, v11, v4, vcc_lo
	v_subrev_co_ci_u32_e64 v7, null, s31, v7, vcc_lo
	s_delay_alu instid0(VALU_DEP_3) | instskip(SKIP_1) | instid1(VALU_DEP_2)
	v_cmp_le_u32_e32 vcc_lo, s30, v12
	s_wait_alu 0xf1ff
	v_subrev_co_ci_u32_e64 v7, null, 0, v7, s2
	s_wait_alu 0xfffd
	v_cndmask_b32_e64 v11, 0, -1, vcc_lo
	s_delay_alu instid0(VALU_DEP_2)
	v_cmp_le_u32_e32 vcc_lo, s31, v7
	s_wait_alu 0xfffd
	v_cndmask_b32_e64 v12, 0, -1, vcc_lo
	v_cmp_le_u32_e32 vcc_lo, s30, v3
	s_wait_alu 0xfffd
	v_cndmask_b32_e64 v3, 0, -1, vcc_lo
	;; [unrolled: 3-line block ×3, first 2 shown]
	v_cmp_eq_u32_e32 vcc_lo, s31, v7
	s_wait_alu 0xfffd
	v_cndmask_b32_e32 v7, v12, v11, vcc_lo
	v_add_co_u32 v11, vcc_lo, v5, 1
	s_wait_alu 0xfffd
	v_add_co_ci_u32_e64 v12, null, 0, v6, vcc_lo
	v_cmp_eq_u32_e32 vcc_lo, s31, v4
	s_wait_alu 0xfffd
	v_cndmask_b32_e32 v3, v13, v3, vcc_lo
	v_cmp_ne_u32_e32 vcc_lo, 0, v7
	v_xor_b32_e32 v7, s28, v9
	s_wait_alu 0xfffd
	v_cndmask_b32_e32 v4, v12, v10, vcc_lo
	v_cmp_ne_u32_e64 s2, 0, v3
	v_cndmask_b32_e32 v3, v11, v8, vcc_lo
	s_wait_alu 0xf1ff
	s_delay_alu instid0(VALU_DEP_2) | instskip(NEXT) | instid1(VALU_DEP_2)
	v_cndmask_b32_e64 v4, v6, v4, s2
	v_cndmask_b32_e64 v3, v5, v3, s2
	s_delay_alu instid0(VALU_DEP_2) | instskip(NEXT) | instid1(VALU_DEP_2)
	v_xor_b32_e32 v5, v4, v7
	v_xor_b32_e32 v3, v3, v7
	s_delay_alu instid0(VALU_DEP_1) | instskip(SKIP_1) | instid1(VALU_DEP_3)
	v_sub_co_u32 v4, vcc_lo, v3, v7
	s_wait_alu 0xfffd
	v_sub_co_ci_u32_e64 v5, null, v5, v7, vcc_lo
.LBB93_5:                               ;   in Loop: Header=BB93_3 Depth=1
	s_wait_alu 0xfffe
	s_and_not1_saveexec_b32 s2, s34
	s_cbranch_execz .LBB93_7
; %bb.6:                                ;   in Loop: Header=BB93_3 Depth=1
	s_sub_co_i32 s20, 0, s8
	s_wait_alu 0xfffe
	v_mul_lo_u32 v3, s20, v18
	s_delay_alu instid0(VALU_DEP_1) | instskip(NEXT) | instid1(VALU_DEP_1)
	v_mul_hi_u32 v3, v18, v3
	v_add_nc_u32_e32 v3, v18, v3
	s_delay_alu instid0(VALU_DEP_1) | instskip(NEXT) | instid1(VALU_DEP_1)
	v_mul_hi_u32 v3, v0, v3
	v_mul_lo_u32 v4, v3, s8
	v_add_nc_u32_e32 v5, 1, v3
	s_delay_alu instid0(VALU_DEP_2) | instskip(NEXT) | instid1(VALU_DEP_1)
	v_sub_nc_u32_e32 v4, v0, v4
	v_subrev_nc_u32_e32 v6, s8, v4
	v_cmp_le_u32_e32 vcc_lo, s8, v4
	s_wait_alu 0xfffd
	s_delay_alu instid0(VALU_DEP_2) | instskip(NEXT) | instid1(VALU_DEP_1)
	v_dual_cndmask_b32 v4, v4, v6 :: v_dual_cndmask_b32 v3, v3, v5
	v_cmp_le_u32_e32 vcc_lo, s8, v4
	s_delay_alu instid0(VALU_DEP_2) | instskip(SKIP_1) | instid1(VALU_DEP_1)
	v_add_nc_u32_e32 v5, 1, v3
	s_wait_alu 0xfffd
	v_dual_cndmask_b32 v4, v3, v5 :: v_dual_mov_b32 v5, v2
.LBB93_7:                               ;   in Loop: Header=BB93_3 Depth=1
	s_wait_alu 0xfffe
	s_or_b32 exec_lo, exec_lo, s2
	s_delay_alu instid0(VALU_DEP_1) | instskip(SKIP_1) | instid1(VALU_DEP_1)
	v_or_b32_e32 v3, s23, v5
                                        ; implicit-def: $vgpr8_vgpr9
	s_mov_b32 s2, exec_lo
	v_cmpx_ne_u64_e32 0, v[2:3]
	s_wait_alu 0xfffe
	s_xor_b32 s29, exec_lo, s2
	s_cbranch_execz .LBB93_9
; %bb.8:                                ;   in Loop: Header=BB93_3 Depth=1
	s_ashr_i32 s30, s23, 31
	v_ashrrev_i32_e32 v3, 31, v5
	s_wait_alu 0xfffe
	s_mov_b32 s31, s30
	s_wait_alu 0xfffe
	s_add_nc_u64 s[34:35], s[22:23], s[30:31]
	v_add_co_u32 v6, vcc_lo, v4, v3
	s_wait_alu 0xfffe
	s_xor_b64 s[34:35], s[34:35], s[30:31]
	s_wait_alu 0xfffd
	v_add_co_ci_u32_e64 v5, null, v5, v3, vcc_lo
	s_wait_alu 0xfffe
	s_cvt_f32_u32 s2, s34
	s_cvt_f32_u32 s20, s35
	s_sub_nc_u64 s[38:39], 0, s[34:35]
	v_xor_b32_e32 v11, v6, v3
	v_xor_b32_e32 v12, v5, v3
	s_wait_alu 0xfffe
	s_fmamk_f32 s2, s20, 0x4f800000, s2
	v_xor_b32_e32 v3, s30, v3
	s_wait_alu 0xfffe
	s_delay_alu instid0(SALU_CYCLE_1) | instskip(NEXT) | instid1(TRANS32_DEP_1)
	v_s_rcp_f32 s2, s2
	s_mul_f32 s2, s2, 0x5f7ffffc
	s_wait_alu 0xfffe
	s_delay_alu instid0(SALU_CYCLE_2) | instskip(SKIP_1) | instid1(SALU_CYCLE_2)
	s_mul_f32 s20, s2, 0x2f800000
	s_wait_alu 0xfffe
	s_trunc_f32 s20, s20
	s_wait_alu 0xfffe
	s_delay_alu instid0(SALU_CYCLE_2) | instskip(SKIP_2) | instid1(SALU_CYCLE_1)
	s_fmamk_f32 s2, s20, 0xcf800000, s2
	s_cvt_u32_f32 s37, s20
	s_wait_alu 0xfffe
	s_cvt_u32_f32 s36, s2
	s_wait_alu 0xfffe
	s_delay_alu instid0(SALU_CYCLE_2)
	s_mul_u64 s[40:41], s[38:39], s[36:37]
	s_wait_alu 0xfffe
	s_mul_hi_u32 s43, s36, s41
	s_mul_i32 s42, s36, s41
	s_mul_hi_u32 s20, s36, s40
	s_mul_i32 s31, s37, s40
	s_wait_alu 0xfffe
	s_add_nc_u64 s[42:43], s[20:21], s[42:43]
	s_mul_hi_u32 s2, s37, s40
	s_mul_hi_u32 s44, s37, s41
	s_wait_alu 0xfffe
	s_add_co_u32 s20, s42, s31
	s_add_co_ci_u32 s20, s43, s2
	s_mul_i32 s40, s37, s41
	s_add_co_ci_u32 s41, s44, 0
	s_wait_alu 0xfffe
	s_add_nc_u64 s[40:41], s[20:21], s[40:41]
	s_wait_alu 0xfffe
	s_add_co_u32 s36, s36, s40
	s_cselect_b32 s2, -1, 0
	s_wait_alu 0xfffe
	s_cmp_lg_u32 s2, 0
	s_add_co_ci_u32 s37, s37, s41
	s_wait_alu 0xfffe
	s_mul_u64 s[38:39], s[38:39], s[36:37]
	s_wait_alu 0xfffe
	s_mul_hi_u32 s41, s36, s39
	s_mul_i32 s40, s36, s39
	s_mul_hi_u32 s20, s36, s38
	s_mul_i32 s31, s37, s38
	s_wait_alu 0xfffe
	s_add_nc_u64 s[40:41], s[20:21], s[40:41]
	s_mul_hi_u32 s2, s37, s38
	s_mul_hi_u32 s42, s37, s39
	s_wait_alu 0xfffe
	s_add_co_u32 s20, s40, s31
	s_add_co_ci_u32 s20, s41, s2
	s_mul_i32 s38, s37, s39
	s_add_co_ci_u32 s39, s42, 0
	s_wait_alu 0xfffe
	s_add_nc_u64 s[38:39], s[20:21], s[38:39]
	s_wait_alu 0xfffe
	s_add_co_u32 s2, s36, s38
	s_cselect_b32 s20, -1, 0
	s_wait_alu 0xfffe
	v_mul_hi_u32 v13, v11, s2
	s_cmp_lg_u32 s20, 0
	v_mad_co_u64_u32 v[7:8], null, v12, s2, 0
	s_add_co_ci_u32 s20, s37, s39
	s_wait_alu 0xfffe
	v_mad_co_u64_u32 v[5:6], null, v11, s20, 0
	v_mad_co_u64_u32 v[9:10], null, v12, s20, 0
	s_delay_alu instid0(VALU_DEP_2) | instskip(SKIP_1) | instid1(VALU_DEP_3)
	v_add_co_u32 v5, vcc_lo, v13, v5
	s_wait_alu 0xfffd
	v_add_co_ci_u32_e64 v6, null, 0, v6, vcc_lo
	s_delay_alu instid0(VALU_DEP_2) | instskip(SKIP_1) | instid1(VALU_DEP_2)
	v_add_co_u32 v5, vcc_lo, v5, v7
	s_wait_alu 0xfffd
	v_add_co_ci_u32_e32 v5, vcc_lo, v6, v8, vcc_lo
	s_wait_alu 0xfffd
	v_add_co_ci_u32_e32 v6, vcc_lo, 0, v10, vcc_lo
	s_delay_alu instid0(VALU_DEP_2) | instskip(SKIP_1) | instid1(VALU_DEP_2)
	v_add_co_u32 v7, vcc_lo, v5, v9
	s_wait_alu 0xfffd
	v_add_co_ci_u32_e64 v8, null, 0, v6, vcc_lo
	s_delay_alu instid0(VALU_DEP_2) | instskip(SKIP_1) | instid1(VALU_DEP_3)
	v_mul_lo_u32 v9, s35, v7
	v_mad_co_u64_u32 v[5:6], null, s34, v7, 0
	v_mul_lo_u32 v10, s34, v8
	s_delay_alu instid0(VALU_DEP_2) | instskip(NEXT) | instid1(VALU_DEP_2)
	v_sub_co_u32 v5, vcc_lo, v11, v5
	v_add3_u32 v6, v6, v10, v9
	v_add_co_u32 v10, s2, v7, 2
	s_wait_alu 0xf1ff
	v_add_co_ci_u32_e64 v11, null, 0, v8, s2
	s_delay_alu instid0(VALU_DEP_3) | instskip(SKIP_3) | instid1(VALU_DEP_3)
	v_sub_nc_u32_e32 v9, v12, v6
	v_sub_co_u32 v13, s2, v5, s34
	s_wait_alu 0xfffd
	v_sub_co_ci_u32_e64 v6, null, v12, v6, vcc_lo
	v_subrev_co_ci_u32_e64 v9, null, s35, v9, vcc_lo
	s_delay_alu instid0(VALU_DEP_3) | instskip(SKIP_1) | instid1(VALU_DEP_2)
	v_cmp_le_u32_e32 vcc_lo, s34, v13
	s_wait_alu 0xf1ff
	v_subrev_co_ci_u32_e64 v9, null, 0, v9, s2
	s_wait_alu 0xfffd
	v_cndmask_b32_e64 v12, 0, -1, vcc_lo
	s_delay_alu instid0(VALU_DEP_2)
	v_cmp_le_u32_e32 vcc_lo, s35, v9
	s_wait_alu 0xfffd
	v_cndmask_b32_e64 v13, 0, -1, vcc_lo
	v_cmp_le_u32_e32 vcc_lo, s34, v5
	s_wait_alu 0xfffd
	v_cndmask_b32_e64 v5, 0, -1, vcc_lo
	;; [unrolled: 3-line block ×3, first 2 shown]
	v_cmp_eq_u32_e32 vcc_lo, s35, v9
	s_wait_alu 0xfffd
	v_cndmask_b32_e32 v9, v13, v12, vcc_lo
	v_add_co_u32 v12, vcc_lo, v7, 1
	s_wait_alu 0xfffd
	v_add_co_ci_u32_e64 v13, null, 0, v8, vcc_lo
	v_cmp_eq_u32_e32 vcc_lo, s35, v6
	s_wait_alu 0xfffd
	v_cndmask_b32_e32 v5, v14, v5, vcc_lo
	v_cmp_ne_u32_e32 vcc_lo, 0, v9
	s_wait_alu 0xfffd
	v_cndmask_b32_e32 v6, v13, v11, vcc_lo
	s_delay_alu instid0(VALU_DEP_3) | instskip(SKIP_2) | instid1(VALU_DEP_2)
	v_cmp_ne_u32_e64 s2, 0, v5
	v_cndmask_b32_e32 v5, v12, v10, vcc_lo
	s_wait_alu 0xf1ff
	v_cndmask_b32_e64 v6, v8, v6, s2
	s_delay_alu instid0(VALU_DEP_2) | instskip(NEXT) | instid1(VALU_DEP_2)
	v_cndmask_b32_e64 v5, v7, v5, s2
	v_xor_b32_e32 v6, v6, v3
	s_delay_alu instid0(VALU_DEP_2) | instskip(NEXT) | instid1(VALU_DEP_1)
	v_xor_b32_e32 v5, v5, v3
	v_sub_co_u32 v8, vcc_lo, v5, v3
	s_wait_alu 0xfffd
	s_delay_alu instid0(VALU_DEP_3)
	v_sub_co_ci_u32_e64 v9, null, v6, v3, vcc_lo
.LBB93_9:                               ;   in Loop: Header=BB93_3 Depth=1
	s_wait_alu 0xfffe
	s_and_not1_saveexec_b32 s2, s29
	s_cbranch_execz .LBB93_11
; %bb.10:                               ;   in Loop: Header=BB93_3 Depth=1
	s_sub_co_i32 s20, 0, s22
	v_mov_b32_e32 v9, v2
	s_wait_alu 0xfffe
	v_mul_lo_u32 v3, s20, v19
	s_delay_alu instid0(VALU_DEP_1) | instskip(NEXT) | instid1(VALU_DEP_1)
	v_mul_hi_u32 v3, v19, v3
	v_add_nc_u32_e32 v3, v19, v3
	s_delay_alu instid0(VALU_DEP_1) | instskip(NEXT) | instid1(VALU_DEP_1)
	v_mul_hi_u32 v3, v4, v3
	v_mul_lo_u32 v5, v3, s22
	v_add_nc_u32_e32 v6, 1, v3
	s_delay_alu instid0(VALU_DEP_2) | instskip(NEXT) | instid1(VALU_DEP_1)
	v_sub_nc_u32_e32 v5, v4, v5
	v_cmp_le_u32_e32 vcc_lo, s22, v5
	v_subrev_nc_u32_e32 v7, s22, v5
	s_wait_alu 0xfffd
	v_cndmask_b32_e32 v3, v3, v6, vcc_lo
	s_delay_alu instid0(VALU_DEP_1) | instskip(NEXT) | instid1(VALU_DEP_3)
	v_add_nc_u32_e32 v6, 1, v3
	v_cndmask_b32_e32 v5, v5, v7, vcc_lo
	s_delay_alu instid0(VALU_DEP_1) | instskip(SKIP_1) | instid1(VALU_DEP_3)
	v_cmp_le_u32_e32 vcc_lo, s22, v5
	s_wait_alu 0xfffd
	v_cndmask_b32_e32 v8, v3, v6, vcc_lo
.LBB93_11:                              ;   in Loop: Header=BB93_3 Depth=1
	s_wait_alu 0xfffe
	s_or_b32 exec_lo, exec_lo, s2
	v_mad_co_u64_u32 v[5:6], null, v4, s8, 0
	s_delay_alu instid0(VALU_DEP_2) | instskip(SKIP_3) | instid1(VALU_DEP_2)
	v_mad_co_u64_u32 v[6:7], null, v8, s22, 0
	s_and_not1_b32 vcc_lo, exec_lo, s49
	v_sub_co_u32 v20, null, v0, v5
	v_sub_co_u32 v21, null, v4, v6
	v_mul_lo_u32 v3, s24, v20
	v_mul_lo_u32 v5, s26, v20
	s_delay_alu instid0(VALU_DEP_2) | instskip(NEXT) | instid1(VALU_DEP_1)
	v_mad_co_u64_u32 v[6:7], null, s14, v21, v[3:4]
	v_mad_co_u64_u32 v[4:5], null, s16, v21, v[5:6]
	s_wait_alu 0xfffe
	s_cbranch_vccnz .LBB93_38
; %bb.12:                               ;   in Loop: Header=BB93_3 Depth=1
	s_mov_b32 s29, 1
	s_and_not1_b32 vcc_lo, exec_lo, s51
	s_mov_b32 s20, s33
	s_mov_b32 s2, s33
	s_wait_alu 0xfffe
	s_cbranch_vccz .LBB93_15
; %bb.13:                               ;   in Loop: Header=BB93_3 Depth=1
	s_and_b32 vcc_lo, exec_lo, s52
	s_mov_b32 s20, s2
	s_wait_alu 0xfffe
	s_cbranch_vccnz .LBB93_20
	s_branch .LBB93_38
.LBB93_14:                              ;   in Loop: Header=BB93_15 Depth=2
	s_wait_alu 0xfffe
	s_or_b32 exec_lo, exec_lo, s2
	s_add_nc_u64 s[36:37], s[0:1], s[36:37]
	s_clause 0x1
	s_load_b32 s2, s[34:35], 0x6c
	s_load_b32 s31, s[36:37], 0x6c
	v_mul_lo_u32 v3, v10, s30
	s_add_co_i32 s20, s20, -1
	s_delay_alu instid0(VALU_DEP_1) | instskip(SKIP_2) | instid1(VALU_DEP_2)
	v_sub_nc_u32_e32 v3, v8, v3
	v_dual_mov_b32 v8, v10 :: v_dual_mov_b32 v9, v11
	s_wait_kmcnt 0x0
	v_mad_co_u64_u32 v[6:7], null, s2, v3, v[6:7]
	v_mad_co_u64_u32 v[4:5], null, s31, v3, v[4:5]
	s_xor_b32 s2, s48, s29
	s_add_co_i32 s29, s29, 1
	s_wait_alu 0xfffe
	s_cmp_lg_u32 s2, 2
	s_cbranch_scc0 .LBB93_19
.LBB93_15:                              ;   Parent Loop BB93_3 Depth=1
                                        ; =>  This Inner Loop Header: Depth=2
	s_lshl_b64 s[36:37], s[20:21], 2
                                        ; implicit-def: $vgpr10_vgpr11
	s_mov_b32 s2, exec_lo
	s_wait_alu 0xfffe
	s_add_nc_u64 s[34:35], s[12:13], s[36:37]
	s_load_b32 s30, s[34:35], 0x8
	s_wait_kmcnt 0x0
	s_ashr_i32 s31, s30, 31
	s_wait_alu 0xfffe
	v_or_b32_e32 v3, s31, v9
	s_delay_alu instid0(VALU_DEP_1)
	v_cmpx_ne_u64_e32 0, v[2:3]
	s_xor_b32 s42, exec_lo, s2
	s_cbranch_execz .LBB93_17
; %bb.16:                               ;   in Loop: Header=BB93_15 Depth=2
	s_ashr_i32 s38, s31, 31
	s_mov_b32 s55, s21
	s_wait_alu 0xfffe
	s_mov_b32 s39, s38
	s_mov_b32 s59, s21
	s_wait_alu 0xfffe
	s_add_nc_u64 s[40:41], s[30:31], s[38:39]
	v_ashrrev_i32_e32 v3, 31, v9
	s_wait_alu 0xfffe
	s_xor_b64 s[40:41], s[40:41], s[38:39]
	s_wait_alu 0xfffe
	s_cvt_f32_u32 s2, s40
	s_cvt_f32_u32 s31, s41
	s_sub_nc_u64 s[46:47], 0, s[40:41]
	v_add_co_u32 v5, vcc_lo, v8, v3
	s_wait_alu 0xfffe
	s_fmamk_f32 s2, s31, 0x4f800000, s2
	s_wait_alu 0xfffd
	v_add_co_ci_u32_e64 v7, null, v9, v3, vcc_lo
	v_xor_b32_e32 v5, v5, v3
	s_wait_alu 0xfffe
	v_s_rcp_f32 s2, s2
	s_delay_alu instid0(VALU_DEP_2) | instskip(SKIP_1) | instid1(TRANS32_DEP_1)
	v_xor_b32_e32 v7, v7, v3
	v_xor_b32_e32 v3, s38, v3
	s_mul_f32 s2, s2, 0x5f7ffffc
	s_wait_alu 0xfffe
	s_delay_alu instid0(SALU_CYCLE_2) | instskip(SKIP_1) | instid1(SALU_CYCLE_2)
	s_mul_f32 s31, s2, 0x2f800000
	s_wait_alu 0xfffe
	s_trunc_f32 s31, s31
	s_wait_alu 0xfffe
	s_delay_alu instid0(SALU_CYCLE_2) | instskip(SKIP_2) | instid1(SALU_CYCLE_1)
	s_fmamk_f32 s2, s31, 0xcf800000, s2
	s_cvt_u32_f32 s45, s31
	s_wait_alu 0xfffe
	s_cvt_u32_f32 s44, s2
	s_wait_alu 0xfffe
	s_delay_alu instid0(SALU_CYCLE_2) | instskip(NEXT) | instid1(SALU_CYCLE_1)
	s_mul_u64 s[56:57], s[46:47], s[44:45]
	s_mul_hi_u32 s61, s44, s57
	s_mul_i32 s60, s44, s57
	s_mul_hi_u32 s54, s44, s56
	s_mul_i32 s31, s45, s56
	s_wait_alu 0xfffe
	s_add_nc_u64 s[54:55], s[54:55], s[60:61]
	s_mul_hi_u32 s2, s45, s56
	s_mul_hi_u32 s39, s45, s57
	s_wait_alu 0xfffe
	s_add_co_u32 s31, s54, s31
	s_add_co_ci_u32 s58, s55, s2
	s_mul_i32 s56, s45, s57
	s_add_co_ci_u32 s57, s39, 0
	s_delay_alu instid0(SALU_CYCLE_1)
	s_add_nc_u64 s[54:55], s[58:59], s[56:57]
	s_mov_b32 s57, s21
	s_wait_alu 0xfffe
	s_add_co_u32 s44, s44, s54
	s_cselect_b32 s2, -1, 0
	s_wait_alu 0xfffe
	s_cmp_lg_u32 s2, 0
	s_add_co_ci_u32 s45, s45, s55
	s_mov_b32 s55, s21
	s_wait_alu 0xfffe
	s_mul_u64 s[46:47], s[46:47], s[44:45]
	s_wait_alu 0xfffe
	s_mul_hi_u32 s59, s44, s47
	s_mul_i32 s58, s44, s47
	s_mul_hi_u32 s56, s44, s46
	s_mul_i32 s31, s45, s46
	s_add_nc_u64 s[56:57], s[56:57], s[58:59]
	s_mul_hi_u32 s2, s45, s46
	s_mul_hi_u32 s39, s45, s47
	s_wait_alu 0xfffe
	s_add_co_u32 s31, s56, s31
	s_add_co_ci_u32 s54, s57, s2
	s_mul_i32 s46, s45, s47
	s_add_co_ci_u32 s47, s39, 0
	s_wait_alu 0xfffe
	s_add_nc_u64 s[46:47], s[54:55], s[46:47]
	s_wait_alu 0xfffe
	s_add_co_u32 s2, s44, s46
	s_cselect_b32 s31, -1, 0
	s_wait_alu 0xfffe
	v_mul_hi_u32 v15, v5, s2
	s_cmp_lg_u32 s31, 0
	v_mad_co_u64_u32 v[11:12], null, v7, s2, 0
	s_add_co_ci_u32 s31, s45, s47
	s_wait_alu 0xfffe
	v_mad_co_u64_u32 v[9:10], null, v5, s31, 0
	v_mad_co_u64_u32 v[13:14], null, v7, s31, 0
	s_delay_alu instid0(VALU_DEP_2) | instskip(SKIP_1) | instid1(VALU_DEP_3)
	v_add_co_u32 v9, vcc_lo, v15, v9
	s_wait_alu 0xfffd
	v_add_co_ci_u32_e64 v10, null, 0, v10, vcc_lo
	s_delay_alu instid0(VALU_DEP_2) | instskip(SKIP_1) | instid1(VALU_DEP_2)
	v_add_co_u32 v9, vcc_lo, v9, v11
	s_wait_alu 0xfffd
	v_add_co_ci_u32_e32 v9, vcc_lo, v10, v12, vcc_lo
	s_wait_alu 0xfffd
	v_add_co_ci_u32_e32 v10, vcc_lo, 0, v14, vcc_lo
	s_delay_alu instid0(VALU_DEP_2) | instskip(SKIP_1) | instid1(VALU_DEP_2)
	v_add_co_u32 v11, vcc_lo, v9, v13
	s_wait_alu 0xfffd
	v_add_co_ci_u32_e64 v12, null, 0, v10, vcc_lo
	s_delay_alu instid0(VALU_DEP_2) | instskip(SKIP_1) | instid1(VALU_DEP_3)
	v_mul_lo_u32 v13, s41, v11
	v_mad_co_u64_u32 v[9:10], null, s40, v11, 0
	v_mul_lo_u32 v14, s40, v12
	s_delay_alu instid0(VALU_DEP_2) | instskip(NEXT) | instid1(VALU_DEP_2)
	v_sub_co_u32 v5, vcc_lo, v5, v9
	v_add3_u32 v10, v10, v14, v13
	s_delay_alu instid0(VALU_DEP_1) | instskip(SKIP_2) | instid1(VALU_DEP_2)
	v_sub_nc_u32_e32 v13, v7, v10
	s_wait_alu 0xfffd
	v_sub_co_ci_u32_e64 v7, null, v7, v10, vcc_lo
	v_subrev_co_ci_u32_e64 v9, null, s41, v13, vcc_lo
	v_add_co_u32 v13, s2, v11, 2
	s_wait_alu 0xf1ff
	v_add_co_ci_u32_e64 v14, null, 0, v12, s2
	v_sub_co_u32 v15, s2, v5, s40
	s_wait_alu 0xf1ff
	v_subrev_co_ci_u32_e64 v9, null, 0, v9, s2
	s_delay_alu instid0(VALU_DEP_2) | instskip(SKIP_2) | instid1(VALU_DEP_3)
	v_cmp_le_u32_e32 vcc_lo, s40, v15
	s_wait_alu 0xfffd
	v_cndmask_b32_e64 v10, 0, -1, vcc_lo
	v_cmp_le_u32_e32 vcc_lo, s41, v9
	s_wait_alu 0xfffd
	v_cndmask_b32_e64 v15, 0, -1, vcc_lo
	;; [unrolled: 3-line block ×4, first 2 shown]
	v_cmp_eq_u32_e32 vcc_lo, s41, v9
	s_wait_alu 0xfffd
	v_cndmask_b32_e32 v9, v15, v10, vcc_lo
	v_add_co_u32 v10, vcc_lo, v11, 1
	s_wait_alu 0xfffd
	v_add_co_ci_u32_e64 v15, null, 0, v12, vcc_lo
	v_cmp_eq_u32_e32 vcc_lo, s41, v7
	s_wait_alu 0xfffd
	v_cndmask_b32_e32 v5, v16, v5, vcc_lo
	v_cmp_ne_u32_e32 vcc_lo, 0, v9
	s_delay_alu instid0(VALU_DEP_2) | instskip(SKIP_4) | instid1(VALU_DEP_2)
	v_cmp_ne_u32_e64 s2, 0, v5
	s_wait_alu 0xfffd
	v_cndmask_b32_e32 v5, v10, v13, vcc_lo
	v_cndmask_b32_e32 v7, v15, v14, vcc_lo
	s_wait_alu 0xf1ff
	v_cndmask_b32_e64 v5, v11, v5, s2
	s_delay_alu instid0(VALU_DEP_2) | instskip(NEXT) | instid1(VALU_DEP_2)
	v_cndmask_b32_e64 v7, v12, v7, s2
	v_xor_b32_e32 v5, v5, v3
	s_delay_alu instid0(VALU_DEP_2) | instskip(NEXT) | instid1(VALU_DEP_2)
	v_xor_b32_e32 v7, v7, v3
	v_sub_co_u32 v10, vcc_lo, v5, v3
	s_wait_alu 0xfffd
	s_delay_alu instid0(VALU_DEP_2)
	v_sub_co_ci_u32_e64 v11, null, v7, v3, vcc_lo
.LBB93_17:                              ;   in Loop: Header=BB93_15 Depth=2
	s_wait_alu 0xfffe
	s_and_not1_saveexec_b32 s2, s42
	s_cbranch_execz .LBB93_14
; %bb.18:                               ;   in Loop: Header=BB93_15 Depth=2
	v_cvt_f32_u32_e32 v3, s30
	s_sub_co_i32 s31, 0, s30
	v_mov_b32_e32 v11, v2
	s_delay_alu instid0(VALU_DEP_2) | instskip(NEXT) | instid1(TRANS32_DEP_1)
	v_rcp_iflag_f32_e32 v3, v3
	v_mul_f32_e32 v3, 0x4f7ffffe, v3
	s_delay_alu instid0(VALU_DEP_1) | instskip(SKIP_1) | instid1(VALU_DEP_1)
	v_cvt_u32_f32_e32 v3, v3
	s_wait_alu 0xfffe
	v_mul_lo_u32 v5, s31, v3
	s_delay_alu instid0(VALU_DEP_1) | instskip(NEXT) | instid1(VALU_DEP_1)
	v_mul_hi_u32 v5, v3, v5
	v_add_nc_u32_e32 v3, v3, v5
	s_delay_alu instid0(VALU_DEP_1) | instskip(NEXT) | instid1(VALU_DEP_1)
	v_mul_hi_u32 v3, v8, v3
	v_mul_lo_u32 v5, v3, s30
	v_add_nc_u32_e32 v7, 1, v3
	s_delay_alu instid0(VALU_DEP_2) | instskip(NEXT) | instid1(VALU_DEP_1)
	v_sub_nc_u32_e32 v5, v8, v5
	v_cmp_le_u32_e32 vcc_lo, s30, v5
	v_subrev_nc_u32_e32 v9, s30, v5
	s_wait_alu 0xfffd
	v_cndmask_b32_e32 v3, v3, v7, vcc_lo
	s_delay_alu instid0(VALU_DEP_1) | instskip(NEXT) | instid1(VALU_DEP_3)
	v_add_nc_u32_e32 v7, 1, v3
	v_cndmask_b32_e32 v5, v5, v9, vcc_lo
	s_delay_alu instid0(VALU_DEP_1) | instskip(SKIP_1) | instid1(VALU_DEP_3)
	v_cmp_le_u32_e32 vcc_lo, s30, v5
	s_wait_alu 0xfffd
	v_cndmask_b32_e32 v10, v3, v7, vcc_lo
	s_branch .LBB93_14
.LBB93_19:                              ;   in Loop: Header=BB93_3 Depth=1
	s_mov_b32 s2, s20
	s_and_b32 vcc_lo, exec_lo, s52
	s_wait_alu 0xfffe
	s_mov_b32 s20, s2
	s_cbranch_vccz .LBB93_38
.LBB93_20:                              ;   Parent Loop BB93_3 Depth=1
                                        ; =>  This Inner Loop Header: Depth=2
	s_wait_alu 0xfffe
	s_lshl_b64 s[42:43], s[20:21], 2
                                        ; implicit-def: $vgpr10_vgpr11
	s_mov_b32 s2, exec_lo
	s_wait_alu 0xfffe
	s_add_nc_u64 s[36:37], s[12:13], s[42:43]
	s_load_b32 s30, s[36:37], 0x8
	s_wait_kmcnt 0x0
	s_ashr_i32 s31, s30, 31
	s_wait_alu 0xfffe
	v_or_b32_e32 v3, s31, v9
	s_delay_alu instid0(VALU_DEP_1)
	v_cmpx_ne_u64_e32 0, v[2:3]
	s_xor_b32 s29, exec_lo, s2
	s_cbranch_execz .LBB93_22
; %bb.21:                               ;   in Loop: Header=BB93_20 Depth=2
	s_ashr_i32 s34, s31, 31
	s_mov_b32 s47, s21
	s_wait_alu 0xfffe
	s_mov_b32 s35, s34
	s_mov_b32 s57, s21
	s_wait_alu 0xfffe
	s_add_nc_u64 s[38:39], s[30:31], s[34:35]
	v_ashrrev_i32_e32 v3, 31, v9
	s_wait_alu 0xfffe
	s_xor_b64 s[38:39], s[38:39], s[34:35]
	s_wait_alu 0xfffe
	s_cvt_f32_u32 s2, s38
	s_cvt_f32_u32 s31, s39
	s_sub_nc_u64 s[44:45], 0, s[38:39]
	v_add_co_u32 v5, vcc_lo, v8, v3
	s_wait_alu 0xfffe
	s_fmamk_f32 s2, s31, 0x4f800000, s2
	s_wait_alu 0xfffd
	v_add_co_ci_u32_e64 v7, null, v9, v3, vcc_lo
	v_xor_b32_e32 v5, v5, v3
	s_wait_alu 0xfffe
	v_s_rcp_f32 s2, s2
	s_delay_alu instid0(VALU_DEP_2) | instskip(SKIP_1) | instid1(TRANS32_DEP_1)
	v_xor_b32_e32 v7, v7, v3
	v_xor_b32_e32 v3, s34, v3
	s_mul_f32 s2, s2, 0x5f7ffffc
	s_wait_alu 0xfffe
	s_delay_alu instid0(SALU_CYCLE_2) | instskip(SKIP_1) | instid1(SALU_CYCLE_2)
	s_mul_f32 s31, s2, 0x2f800000
	s_wait_alu 0xfffe
	s_trunc_f32 s31, s31
	s_wait_alu 0xfffe
	s_delay_alu instid0(SALU_CYCLE_2) | instskip(SKIP_2) | instid1(SALU_CYCLE_1)
	s_fmamk_f32 s2, s31, 0xcf800000, s2
	s_cvt_u32_f32 s41, s31
	s_wait_alu 0xfffe
	s_cvt_u32_f32 s40, s2
	s_wait_alu 0xfffe
	s_delay_alu instid0(SALU_CYCLE_2)
	s_mul_u64 s[54:55], s[44:45], s[40:41]
	s_wait_alu 0xfffe
	s_mul_hi_u32 s59, s40, s55
	s_mul_i32 s58, s40, s55
	s_mul_hi_u32 s46, s40, s54
	s_mul_i32 s31, s41, s54
	s_wait_alu 0xfffe
	s_add_nc_u64 s[46:47], s[46:47], s[58:59]
	s_mul_hi_u32 s2, s41, s54
	s_mul_hi_u32 s35, s41, s55
	s_wait_alu 0xfffe
	s_add_co_u32 s31, s46, s31
	s_add_co_ci_u32 s56, s47, s2
	s_mul_i32 s54, s41, s55
	s_add_co_ci_u32 s55, s35, 0
	s_wait_alu 0xfffe
	s_add_nc_u64 s[46:47], s[56:57], s[54:55]
	s_mov_b32 s55, s21
	s_wait_alu 0xfffe
	s_add_co_u32 s40, s40, s46
	s_cselect_b32 s2, -1, 0
	s_wait_alu 0xfffe
	s_cmp_lg_u32 s2, 0
	s_add_co_ci_u32 s41, s41, s47
	s_mov_b32 s47, s21
	s_wait_alu 0xfffe
	s_mul_u64 s[44:45], s[44:45], s[40:41]
	s_wait_alu 0xfffe
	s_mul_hi_u32 s57, s40, s45
	s_mul_i32 s56, s40, s45
	s_mul_hi_u32 s54, s40, s44
	s_mul_i32 s31, s41, s44
	s_wait_alu 0xfffe
	s_add_nc_u64 s[54:55], s[54:55], s[56:57]
	s_mul_hi_u32 s2, s41, s44
	s_mul_hi_u32 s35, s41, s45
	s_wait_alu 0xfffe
	s_add_co_u32 s31, s54, s31
	s_add_co_ci_u32 s46, s55, s2
	s_mul_i32 s44, s41, s45
	s_add_co_ci_u32 s45, s35, 0
	s_wait_alu 0xfffe
	s_add_nc_u64 s[44:45], s[46:47], s[44:45]
	s_wait_alu 0xfffe
	s_add_co_u32 s2, s40, s44
	s_cselect_b32 s31, -1, 0
	s_wait_alu 0xfffe
	v_mul_hi_u32 v15, v5, s2
	s_cmp_lg_u32 s31, 0
	v_mad_co_u64_u32 v[11:12], null, v7, s2, 0
	s_add_co_ci_u32 s31, s41, s45
	s_wait_alu 0xfffe
	v_mad_co_u64_u32 v[9:10], null, v5, s31, 0
	v_mad_co_u64_u32 v[13:14], null, v7, s31, 0
	s_delay_alu instid0(VALU_DEP_2) | instskip(SKIP_1) | instid1(VALU_DEP_3)
	v_add_co_u32 v9, vcc_lo, v15, v9
	s_wait_alu 0xfffd
	v_add_co_ci_u32_e64 v10, null, 0, v10, vcc_lo
	s_delay_alu instid0(VALU_DEP_2) | instskip(SKIP_1) | instid1(VALU_DEP_2)
	v_add_co_u32 v9, vcc_lo, v9, v11
	s_wait_alu 0xfffd
	v_add_co_ci_u32_e32 v9, vcc_lo, v10, v12, vcc_lo
	s_wait_alu 0xfffd
	v_add_co_ci_u32_e32 v10, vcc_lo, 0, v14, vcc_lo
	s_delay_alu instid0(VALU_DEP_2) | instskip(SKIP_1) | instid1(VALU_DEP_2)
	v_add_co_u32 v11, vcc_lo, v9, v13
	s_wait_alu 0xfffd
	v_add_co_ci_u32_e64 v12, null, 0, v10, vcc_lo
	s_delay_alu instid0(VALU_DEP_2) | instskip(SKIP_1) | instid1(VALU_DEP_3)
	v_mul_lo_u32 v13, s39, v11
	v_mad_co_u64_u32 v[9:10], null, s38, v11, 0
	v_mul_lo_u32 v14, s38, v12
	s_delay_alu instid0(VALU_DEP_2) | instskip(NEXT) | instid1(VALU_DEP_2)
	v_sub_co_u32 v5, vcc_lo, v5, v9
	v_add3_u32 v10, v10, v14, v13
	s_delay_alu instid0(VALU_DEP_1) | instskip(SKIP_2) | instid1(VALU_DEP_2)
	v_sub_nc_u32_e32 v13, v7, v10
	s_wait_alu 0xfffd
	v_sub_co_ci_u32_e64 v7, null, v7, v10, vcc_lo
	v_subrev_co_ci_u32_e64 v9, null, s39, v13, vcc_lo
	v_add_co_u32 v13, s2, v11, 2
	s_wait_alu 0xf1ff
	v_add_co_ci_u32_e64 v14, null, 0, v12, s2
	v_sub_co_u32 v15, s2, v5, s38
	s_wait_alu 0xf1ff
	v_subrev_co_ci_u32_e64 v9, null, 0, v9, s2
	s_delay_alu instid0(VALU_DEP_2) | instskip(SKIP_2) | instid1(VALU_DEP_3)
	v_cmp_le_u32_e32 vcc_lo, s38, v15
	s_wait_alu 0xfffd
	v_cndmask_b32_e64 v10, 0, -1, vcc_lo
	v_cmp_le_u32_e32 vcc_lo, s39, v9
	s_wait_alu 0xfffd
	v_cndmask_b32_e64 v15, 0, -1, vcc_lo
	;; [unrolled: 3-line block ×4, first 2 shown]
	v_cmp_eq_u32_e32 vcc_lo, s39, v9
	s_wait_alu 0xfffd
	v_cndmask_b32_e32 v9, v15, v10, vcc_lo
	v_add_co_u32 v10, vcc_lo, v11, 1
	s_wait_alu 0xfffd
	v_add_co_ci_u32_e64 v15, null, 0, v12, vcc_lo
	v_cmp_eq_u32_e32 vcc_lo, s39, v7
	s_wait_alu 0xfffd
	v_cndmask_b32_e32 v5, v16, v5, vcc_lo
	v_cmp_ne_u32_e32 vcc_lo, 0, v9
	s_delay_alu instid0(VALU_DEP_2) | instskip(SKIP_4) | instid1(VALU_DEP_2)
	v_cmp_ne_u32_e64 s2, 0, v5
	s_wait_alu 0xfffd
	v_cndmask_b32_e32 v5, v10, v13, vcc_lo
	v_cndmask_b32_e32 v7, v15, v14, vcc_lo
	s_wait_alu 0xf1ff
	v_cndmask_b32_e64 v5, v11, v5, s2
	s_delay_alu instid0(VALU_DEP_2) | instskip(NEXT) | instid1(VALU_DEP_2)
	v_cndmask_b32_e64 v7, v12, v7, s2
	v_xor_b32_e32 v5, v5, v3
	s_delay_alu instid0(VALU_DEP_2) | instskip(NEXT) | instid1(VALU_DEP_2)
	v_xor_b32_e32 v7, v7, v3
	v_sub_co_u32 v10, vcc_lo, v5, v3
	s_wait_alu 0xfffd
	s_delay_alu instid0(VALU_DEP_2)
	v_sub_co_ci_u32_e64 v11, null, v7, v3, vcc_lo
.LBB93_22:                              ;   in Loop: Header=BB93_20 Depth=2
	s_wait_alu 0xfffe
	s_and_not1_saveexec_b32 s2, s29
	s_cbranch_execz .LBB93_24
; %bb.23:                               ;   in Loop: Header=BB93_20 Depth=2
	v_cvt_f32_u32_e32 v3, s30
	s_sub_co_i32 s29, 0, s30
	v_mov_b32_e32 v11, v2
	s_delay_alu instid0(VALU_DEP_2) | instskip(NEXT) | instid1(TRANS32_DEP_1)
	v_rcp_iflag_f32_e32 v3, v3
	v_mul_f32_e32 v3, 0x4f7ffffe, v3
	s_delay_alu instid0(VALU_DEP_1) | instskip(SKIP_1) | instid1(VALU_DEP_1)
	v_cvt_u32_f32_e32 v3, v3
	s_wait_alu 0xfffe
	v_mul_lo_u32 v5, s29, v3
	s_delay_alu instid0(VALU_DEP_1) | instskip(NEXT) | instid1(VALU_DEP_1)
	v_mul_hi_u32 v5, v3, v5
	v_add_nc_u32_e32 v3, v3, v5
	s_delay_alu instid0(VALU_DEP_1) | instskip(NEXT) | instid1(VALU_DEP_1)
	v_mul_hi_u32 v3, v8, v3
	v_mul_lo_u32 v5, v3, s30
	v_add_nc_u32_e32 v7, 1, v3
	s_delay_alu instid0(VALU_DEP_2) | instskip(NEXT) | instid1(VALU_DEP_1)
	v_sub_nc_u32_e32 v5, v8, v5
	v_cmp_le_u32_e32 vcc_lo, s30, v5
	v_subrev_nc_u32_e32 v9, s30, v5
	s_wait_alu 0xfffd
	v_cndmask_b32_e32 v3, v3, v7, vcc_lo
	s_delay_alu instid0(VALU_DEP_1) | instskip(NEXT) | instid1(VALU_DEP_3)
	v_add_nc_u32_e32 v7, 1, v3
	v_cndmask_b32_e32 v5, v5, v9, vcc_lo
	s_delay_alu instid0(VALU_DEP_1) | instskip(SKIP_1) | instid1(VALU_DEP_3)
	v_cmp_le_u32_e32 vcc_lo, s30, v5
	s_wait_alu 0xfffd
	v_cndmask_b32_e32 v10, v3, v7, vcc_lo
.LBB93_24:                              ;   in Loop: Header=BB93_20 Depth=2
	s_wait_alu 0xfffe
	s_or_b32 exec_lo, exec_lo, s2
	s_add_co_i32 s34, s20, -1
	s_mov_b32 s35, s21
	s_add_nc_u64 s[42:43], s[0:1], s[42:43]
	s_wait_alu 0xfffe
	s_lshl_b64 s[40:41], s[34:35], 2
                                        ; implicit-def: $vgpr12_vgpr13
	s_mov_b32 s2, exec_lo
	s_wait_alu 0xfffe
	s_add_nc_u64 s[38:39], s[12:13], s[40:41]
	s_clause 0x2
	s_load_b32 s34, s[38:39], 0x8
	s_load_b32 s29, s[36:37], 0x6c
	;; [unrolled: 1-line block ×3, first 2 shown]
	s_wait_kmcnt 0x0
	s_ashr_i32 s35, s34, 31
	s_wait_alu 0xfffe
	v_or_b32_e32 v3, s35, v11
	s_delay_alu instid0(VALU_DEP_1)
	v_cmpx_ne_u64_e32 0, v[2:3]
	s_xor_b32 s44, exec_lo, s2
	s_cbranch_execz .LBB93_26
; %bb.25:                               ;   in Loop: Header=BB93_20 Depth=2
	s_ashr_i32 s36, s35, 31
	s_mov_b32 s57, s21
	s_wait_alu 0xfffe
	s_mov_b32 s37, s36
	s_mov_b32 s61, s21
	s_wait_alu 0xfffe
	s_add_nc_u64 s[42:43], s[34:35], s[36:37]
	v_ashrrev_i32_e32 v3, 31, v11
	s_wait_alu 0xfffe
	s_xor_b64 s[42:43], s[42:43], s[36:37]
	s_wait_alu 0xfffe
	s_cvt_f32_u32 s2, s42
	s_cvt_f32_u32 s35, s43
	s_sub_nc_u64 s[54:55], 0, s[42:43]
	v_add_co_u32 v5, vcc_lo, v10, v3
	s_wait_alu 0xfffe
	s_fmamk_f32 s2, s35, 0x4f800000, s2
	s_wait_alu 0xfffd
	v_add_co_ci_u32_e64 v7, null, v11, v3, vcc_lo
	v_xor_b32_e32 v5, v5, v3
	s_wait_alu 0xfffe
	v_s_rcp_f32 s2, s2
	s_delay_alu instid0(VALU_DEP_2) | instskip(SKIP_1) | instid1(TRANS32_DEP_1)
	v_xor_b32_e32 v7, v7, v3
	v_xor_b32_e32 v3, s36, v3
	s_mul_f32 s2, s2, 0x5f7ffffc
	s_wait_alu 0xfffe
	s_delay_alu instid0(SALU_CYCLE_2) | instskip(SKIP_1) | instid1(SALU_CYCLE_2)
	s_mul_f32 s35, s2, 0x2f800000
	s_wait_alu 0xfffe
	s_trunc_f32 s35, s35
	s_wait_alu 0xfffe
	s_delay_alu instid0(SALU_CYCLE_2) | instskip(SKIP_2) | instid1(SALU_CYCLE_1)
	s_fmamk_f32 s2, s35, 0xcf800000, s2
	s_cvt_u32_f32 s47, s35
	s_wait_alu 0xfffe
	s_cvt_u32_f32 s46, s2
	s_wait_alu 0xfffe
	s_delay_alu instid0(SALU_CYCLE_2) | instskip(NEXT) | instid1(SALU_CYCLE_1)
	s_mul_u64 s[58:59], s[54:55], s[46:47]
	s_mul_hi_u32 s63, s46, s59
	s_mul_i32 s62, s46, s59
	s_mul_hi_u32 s56, s46, s58
	s_mul_i32 s35, s47, s58
	s_add_nc_u64 s[56:57], s[56:57], s[62:63]
	s_mul_hi_u32 s2, s47, s58
	s_mul_hi_u32 s37, s47, s59
	s_wait_alu 0xfffe
	s_add_co_u32 s35, s56, s35
	s_add_co_ci_u32 s60, s57, s2
	s_mul_i32 s58, s47, s59
	s_add_co_ci_u32 s59, s37, 0
	s_delay_alu instid0(SALU_CYCLE_1)
	s_add_nc_u64 s[56:57], s[60:61], s[58:59]
	s_mov_b32 s59, s21
	s_add_co_u32 s46, s46, s56
	s_cselect_b32 s2, -1, 0
	s_wait_alu 0xfffe
	s_cmp_lg_u32 s2, 0
	s_add_co_ci_u32 s47, s47, s57
	s_mov_b32 s57, s21
	s_wait_alu 0xfffe
	s_mul_u64 s[54:55], s[54:55], s[46:47]
	s_wait_alu 0xfffe
	s_mul_hi_u32 s61, s46, s55
	s_mul_i32 s60, s46, s55
	s_mul_hi_u32 s58, s46, s54
	s_mul_i32 s35, s47, s54
	s_add_nc_u64 s[58:59], s[58:59], s[60:61]
	s_mul_hi_u32 s2, s47, s54
	s_mul_hi_u32 s37, s47, s55
	s_wait_alu 0xfffe
	s_add_co_u32 s35, s58, s35
	s_add_co_ci_u32 s56, s59, s2
	s_mul_i32 s54, s47, s55
	s_add_co_ci_u32 s55, s37, 0
	s_wait_alu 0xfffe
	s_add_nc_u64 s[54:55], s[56:57], s[54:55]
	s_wait_alu 0xfffe
	s_add_co_u32 s2, s46, s54
	s_cselect_b32 s35, -1, 0
	s_wait_alu 0xfffe
	v_mul_hi_u32 v9, v5, s2
	s_cmp_lg_u32 s35, 0
	v_mad_co_u64_u32 v[13:14], null, v7, s2, 0
	s_add_co_ci_u32 s35, s47, s55
	s_wait_alu 0xfffe
	v_mad_co_u64_u32 v[11:12], null, v5, s35, 0
	v_mad_co_u64_u32 v[15:16], null, v7, s35, 0
	s_delay_alu instid0(VALU_DEP_2) | instskip(SKIP_1) | instid1(VALU_DEP_3)
	v_add_co_u32 v9, vcc_lo, v9, v11
	s_wait_alu 0xfffd
	v_add_co_ci_u32_e64 v11, null, 0, v12, vcc_lo
	s_delay_alu instid0(VALU_DEP_2) | instskip(SKIP_1) | instid1(VALU_DEP_2)
	v_add_co_u32 v9, vcc_lo, v9, v13
	s_wait_alu 0xfffd
	v_add_co_ci_u32_e32 v9, vcc_lo, v11, v14, vcc_lo
	s_wait_alu 0xfffd
	v_add_co_ci_u32_e32 v11, vcc_lo, 0, v16, vcc_lo
	s_delay_alu instid0(VALU_DEP_2) | instskip(SKIP_1) | instid1(VALU_DEP_2)
	v_add_co_u32 v9, vcc_lo, v9, v15
	s_wait_alu 0xfffd
	v_add_co_ci_u32_e64 v13, null, 0, v11, vcc_lo
	s_delay_alu instid0(VALU_DEP_2) | instskip(SKIP_1) | instid1(VALU_DEP_3)
	v_mul_lo_u32 v14, s43, v9
	v_mad_co_u64_u32 v[11:12], null, s42, v9, 0
	v_mul_lo_u32 v15, s42, v13
	s_delay_alu instid0(VALU_DEP_2) | instskip(NEXT) | instid1(VALU_DEP_2)
	v_sub_co_u32 v5, vcc_lo, v5, v11
	v_add3_u32 v12, v12, v15, v14
	s_delay_alu instid0(VALU_DEP_1) | instskip(SKIP_2) | instid1(VALU_DEP_2)
	v_sub_nc_u32_e32 v14, v7, v12
	s_wait_alu 0xfffd
	v_sub_co_ci_u32_e64 v7, null, v7, v12, vcc_lo
	v_subrev_co_ci_u32_e64 v11, null, s43, v14, vcc_lo
	v_add_co_u32 v14, s2, v9, 2
	s_wait_alu 0xf1ff
	v_add_co_ci_u32_e64 v15, null, 0, v13, s2
	v_sub_co_u32 v16, s2, v5, s42
	s_wait_alu 0xf1ff
	v_subrev_co_ci_u32_e64 v11, null, 0, v11, s2
	s_delay_alu instid0(VALU_DEP_2) | instskip(SKIP_2) | instid1(VALU_DEP_3)
	v_cmp_le_u32_e32 vcc_lo, s42, v16
	s_wait_alu 0xfffd
	v_cndmask_b32_e64 v12, 0, -1, vcc_lo
	v_cmp_le_u32_e32 vcc_lo, s43, v11
	s_wait_alu 0xfffd
	v_cndmask_b32_e64 v16, 0, -1, vcc_lo
	v_cmp_le_u32_e32 vcc_lo, s42, v5
	s_wait_alu 0xfffd
	v_cndmask_b32_e64 v5, 0, -1, vcc_lo
	v_cmp_le_u32_e32 vcc_lo, s43, v7
	s_wait_alu 0xfffd
	v_cndmask_b32_e64 v17, 0, -1, vcc_lo
	v_cmp_eq_u32_e32 vcc_lo, s43, v11
	s_wait_alu 0xfffd
	v_cndmask_b32_e32 v11, v16, v12, vcc_lo
	v_add_co_u32 v12, vcc_lo, v9, 1
	s_wait_alu 0xfffd
	v_add_co_ci_u32_e64 v16, null, 0, v13, vcc_lo
	v_cmp_eq_u32_e32 vcc_lo, s43, v7
	s_wait_alu 0xfffd
	v_cndmask_b32_e32 v5, v17, v5, vcc_lo
	v_cmp_ne_u32_e32 vcc_lo, 0, v11
	s_delay_alu instid0(VALU_DEP_2) | instskip(SKIP_4) | instid1(VALU_DEP_2)
	v_cmp_ne_u32_e64 s2, 0, v5
	s_wait_alu 0xfffd
	v_cndmask_b32_e32 v5, v12, v14, vcc_lo
	v_cndmask_b32_e32 v7, v16, v15, vcc_lo
	s_wait_alu 0xf1ff
	v_cndmask_b32_e64 v5, v9, v5, s2
	s_delay_alu instid0(VALU_DEP_2) | instskip(NEXT) | instid1(VALU_DEP_2)
	v_cndmask_b32_e64 v7, v13, v7, s2
	v_xor_b32_e32 v5, v5, v3
	s_delay_alu instid0(VALU_DEP_2) | instskip(NEXT) | instid1(VALU_DEP_2)
	v_xor_b32_e32 v7, v7, v3
	v_sub_co_u32 v12, vcc_lo, v5, v3
	s_wait_alu 0xfffd
	s_delay_alu instid0(VALU_DEP_2)
	v_sub_co_ci_u32_e64 v13, null, v7, v3, vcc_lo
.LBB93_26:                              ;   in Loop: Header=BB93_20 Depth=2
	s_wait_alu 0xfffe
	s_and_not1_saveexec_b32 s2, s44
	s_cbranch_execz .LBB93_28
; %bb.27:                               ;   in Loop: Header=BB93_20 Depth=2
	v_cvt_f32_u32_e32 v3, s34
	s_sub_co_i32 s35, 0, s34
	v_mov_b32_e32 v13, v2
	s_delay_alu instid0(VALU_DEP_2) | instskip(NEXT) | instid1(TRANS32_DEP_1)
	v_rcp_iflag_f32_e32 v3, v3
	v_mul_f32_e32 v3, 0x4f7ffffe, v3
	s_delay_alu instid0(VALU_DEP_1) | instskip(SKIP_1) | instid1(VALU_DEP_1)
	v_cvt_u32_f32_e32 v3, v3
	s_wait_alu 0xfffe
	v_mul_lo_u32 v5, s35, v3
	s_delay_alu instid0(VALU_DEP_1) | instskip(NEXT) | instid1(VALU_DEP_1)
	v_mul_hi_u32 v5, v3, v5
	v_add_nc_u32_e32 v3, v3, v5
	s_delay_alu instid0(VALU_DEP_1) | instskip(NEXT) | instid1(VALU_DEP_1)
	v_mul_hi_u32 v3, v10, v3
	v_mul_lo_u32 v5, v3, s34
	v_add_nc_u32_e32 v7, 1, v3
	s_delay_alu instid0(VALU_DEP_2) | instskip(NEXT) | instid1(VALU_DEP_1)
	v_sub_nc_u32_e32 v5, v10, v5
	v_cmp_le_u32_e32 vcc_lo, s34, v5
	v_subrev_nc_u32_e32 v9, s34, v5
	s_wait_alu 0xfffd
	v_cndmask_b32_e32 v3, v3, v7, vcc_lo
	s_delay_alu instid0(VALU_DEP_1) | instskip(NEXT) | instid1(VALU_DEP_3)
	v_add_nc_u32_e32 v7, 1, v3
	v_cndmask_b32_e32 v5, v5, v9, vcc_lo
	s_delay_alu instid0(VALU_DEP_1) | instskip(SKIP_1) | instid1(VALU_DEP_3)
	v_cmp_le_u32_e32 vcc_lo, s34, v5
	s_wait_alu 0xfffd
	v_cndmask_b32_e32 v12, v3, v7, vcc_lo
.LBB93_28:                              ;   in Loop: Header=BB93_20 Depth=2
	s_wait_alu 0xfffe
	s_or_b32 exec_lo, exec_lo, s2
	s_add_co_i32 s36, s20, -2
	s_mov_b32 s37, s21
	s_add_nc_u64 s[40:41], s[0:1], s[40:41]
	s_wait_alu 0xfffe
	s_lshl_b64 s[46:47], s[36:37], 2
                                        ; implicit-def: $vgpr14_vgpr15
	s_mov_b32 s2, exec_lo
	s_wait_alu 0xfffe
	s_add_nc_u64 s[44:45], s[12:13], s[46:47]
	s_clause 0x2
	s_load_b32 s36, s[44:45], 0x8
	s_load_b32 s35, s[38:39], 0x6c
	;; [unrolled: 1-line block ×3, first 2 shown]
	s_wait_kmcnt 0x0
	s_ashr_i32 s37, s36, 31
	s_wait_alu 0xfffe
	v_or_b32_e32 v3, s37, v13
	s_delay_alu instid0(VALU_DEP_1)
	v_cmpx_ne_u64_e32 0, v[2:3]
	s_xor_b32 s42, exec_lo, s2
	s_cbranch_execz .LBB93_30
; %bb.29:                               ;   in Loop: Header=BB93_20 Depth=2
	s_ashr_i32 s38, s37, 31
	s_mov_b32 s61, s21
	s_wait_alu 0xfffe
	s_mov_b32 s39, s38
	s_mov_b32 s65, s21
	s_wait_alu 0xfffe
	s_add_nc_u64 s[40:41], s[36:37], s[38:39]
	v_ashrrev_i32_e32 v3, 31, v13
	s_wait_alu 0xfffe
	s_xor_b64 s[40:41], s[40:41], s[38:39]
	s_wait_alu 0xfffe
	s_cvt_f32_u32 s2, s40
	s_cvt_f32_u32 s37, s41
	s_sub_nc_u64 s[58:59], 0, s[40:41]
	v_add_co_u32 v5, vcc_lo, v12, v3
	s_wait_alu 0xfffe
	s_fmamk_f32 s2, s37, 0x4f800000, s2
	s_wait_alu 0xfffd
	v_add_co_ci_u32_e64 v7, null, v13, v3, vcc_lo
	v_xor_b32_e32 v5, v5, v3
	s_wait_alu 0xfffe
	v_s_rcp_f32 s2, s2
	s_delay_alu instid0(VALU_DEP_2) | instskip(SKIP_1) | instid1(TRANS32_DEP_1)
	v_xor_b32_e32 v7, v7, v3
	v_xor_b32_e32 v3, s38, v3
	s_mul_f32 s2, s2, 0x5f7ffffc
	s_wait_alu 0xfffe
	s_delay_alu instid0(SALU_CYCLE_2) | instskip(SKIP_1) | instid1(SALU_CYCLE_2)
	s_mul_f32 s37, s2, 0x2f800000
	s_wait_alu 0xfffe
	s_trunc_f32 s37, s37
	s_wait_alu 0xfffe
	s_delay_alu instid0(SALU_CYCLE_2) | instskip(SKIP_2) | instid1(SALU_CYCLE_1)
	s_fmamk_f32 s2, s37, 0xcf800000, s2
	s_cvt_u32_f32 s57, s37
	s_wait_alu 0xfffe
	s_cvt_u32_f32 s56, s2
	s_delay_alu instid0(SALU_CYCLE_3) | instskip(NEXT) | instid1(SALU_CYCLE_1)
	s_mul_u64 s[62:63], s[58:59], s[56:57]
	s_mul_hi_u32 s67, s56, s63
	s_mul_i32 s66, s56, s63
	s_mul_hi_u32 s60, s56, s62
	s_mul_i32 s37, s57, s62
	s_add_nc_u64 s[60:61], s[60:61], s[66:67]
	s_mul_hi_u32 s2, s57, s62
	s_mul_hi_u32 s39, s57, s63
	s_wait_alu 0xfffe
	s_add_co_u32 s37, s60, s37
	s_add_co_ci_u32 s64, s61, s2
	s_mul_i32 s62, s57, s63
	s_add_co_ci_u32 s63, s39, 0
	s_delay_alu instid0(SALU_CYCLE_1)
	s_add_nc_u64 s[60:61], s[64:65], s[62:63]
	s_mov_b32 s63, s21
	s_add_co_u32 s56, s56, s60
	s_cselect_b32 s2, -1, 0
	s_wait_alu 0xfffe
	s_cmp_lg_u32 s2, 0
	s_add_co_ci_u32 s57, s57, s61
	s_mov_b32 s61, s21
	s_mul_u64 s[58:59], s[58:59], s[56:57]
	s_delay_alu instid0(SALU_CYCLE_1)
	s_mul_hi_u32 s65, s56, s59
	s_mul_i32 s64, s56, s59
	s_mul_hi_u32 s62, s56, s58
	s_mul_i32 s37, s57, s58
	s_add_nc_u64 s[62:63], s[62:63], s[64:65]
	s_mul_hi_u32 s2, s57, s58
	s_mul_hi_u32 s39, s57, s59
	s_wait_alu 0xfffe
	s_add_co_u32 s37, s62, s37
	s_add_co_ci_u32 s60, s63, s2
	s_mul_i32 s58, s57, s59
	s_add_co_ci_u32 s59, s39, 0
	s_delay_alu instid0(SALU_CYCLE_1) | instskip(NEXT) | instid1(SALU_CYCLE_1)
	s_add_nc_u64 s[58:59], s[60:61], s[58:59]
	s_add_co_u32 s2, s56, s58
	s_cselect_b32 s37, -1, 0
	s_wait_alu 0xfffe
	v_mul_hi_u32 v9, v5, s2
	s_cmp_lg_u32 s37, 0
	v_mad_co_u64_u32 v[15:16], null, v7, s2, 0
	s_add_co_ci_u32 s37, s57, s59
	s_wait_alu 0xfffe
	v_mad_co_u64_u32 v[13:14], null, v5, s37, 0
	v_mad_co_u64_u32 v[22:23], null, v7, s37, 0
	s_delay_alu instid0(VALU_DEP_2) | instskip(SKIP_1) | instid1(VALU_DEP_3)
	v_add_co_u32 v9, vcc_lo, v9, v13
	s_wait_alu 0xfffd
	v_add_co_ci_u32_e64 v11, null, 0, v14, vcc_lo
	s_delay_alu instid0(VALU_DEP_2) | instskip(SKIP_1) | instid1(VALU_DEP_2)
	v_add_co_u32 v9, vcc_lo, v9, v15
	s_wait_alu 0xfffd
	v_add_co_ci_u32_e32 v9, vcc_lo, v11, v16, vcc_lo
	s_wait_alu 0xfffd
	v_add_co_ci_u32_e32 v11, vcc_lo, 0, v23, vcc_lo
	s_delay_alu instid0(VALU_DEP_2) | instskip(SKIP_1) | instid1(VALU_DEP_2)
	v_add_co_u32 v9, vcc_lo, v9, v22
	s_wait_alu 0xfffd
	v_add_co_ci_u32_e64 v11, null, 0, v11, vcc_lo
	s_delay_alu instid0(VALU_DEP_2) | instskip(SKIP_1) | instid1(VALU_DEP_3)
	v_mul_lo_u32 v15, s41, v9
	v_mad_co_u64_u32 v[13:14], null, s40, v9, 0
	v_mul_lo_u32 v16, s40, v11
	s_delay_alu instid0(VALU_DEP_2) | instskip(NEXT) | instid1(VALU_DEP_2)
	v_sub_co_u32 v5, vcc_lo, v5, v13
	v_add3_u32 v14, v14, v16, v15
	s_delay_alu instid0(VALU_DEP_1) | instskip(SKIP_2) | instid1(VALU_DEP_2)
	v_sub_nc_u32_e32 v15, v7, v14
	s_wait_alu 0xfffd
	v_sub_co_ci_u32_e64 v7, null, v7, v14, vcc_lo
	v_subrev_co_ci_u32_e64 v13, null, s41, v15, vcc_lo
	v_add_co_u32 v15, s2, v9, 2
	s_wait_alu 0xf1ff
	v_add_co_ci_u32_e64 v16, null, 0, v11, s2
	v_sub_co_u32 v17, s2, v5, s40
	s_wait_alu 0xf1ff
	v_subrev_co_ci_u32_e64 v13, null, 0, v13, s2
	s_delay_alu instid0(VALU_DEP_2) | instskip(SKIP_2) | instid1(VALU_DEP_3)
	v_cmp_le_u32_e32 vcc_lo, s40, v17
	s_wait_alu 0xfffd
	v_cndmask_b32_e64 v14, 0, -1, vcc_lo
	v_cmp_le_u32_e32 vcc_lo, s41, v13
	s_wait_alu 0xfffd
	v_cndmask_b32_e64 v17, 0, -1, vcc_lo
	;; [unrolled: 3-line block ×4, first 2 shown]
	v_cmp_eq_u32_e32 vcc_lo, s41, v13
	s_wait_alu 0xfffd
	v_cndmask_b32_e32 v13, v17, v14, vcc_lo
	v_add_co_u32 v14, vcc_lo, v9, 1
	s_wait_alu 0xfffd
	v_add_co_ci_u32_e64 v17, null, 0, v11, vcc_lo
	v_cmp_eq_u32_e32 vcc_lo, s41, v7
	s_wait_alu 0xfffd
	v_cndmask_b32_e32 v5, v22, v5, vcc_lo
	v_cmp_ne_u32_e32 vcc_lo, 0, v13
	s_delay_alu instid0(VALU_DEP_2) | instskip(SKIP_4) | instid1(VALU_DEP_2)
	v_cmp_ne_u32_e64 s2, 0, v5
	s_wait_alu 0xfffd
	v_cndmask_b32_e32 v5, v14, v15, vcc_lo
	v_cndmask_b32_e32 v7, v17, v16, vcc_lo
	s_wait_alu 0xf1ff
	v_cndmask_b32_e64 v5, v9, v5, s2
	s_delay_alu instid0(VALU_DEP_2) | instskip(NEXT) | instid1(VALU_DEP_2)
	v_cndmask_b32_e64 v7, v11, v7, s2
	v_xor_b32_e32 v5, v5, v3
	s_delay_alu instid0(VALU_DEP_2) | instskip(NEXT) | instid1(VALU_DEP_2)
	v_xor_b32_e32 v7, v7, v3
	v_sub_co_u32 v14, vcc_lo, v5, v3
	s_wait_alu 0xfffd
	s_delay_alu instid0(VALU_DEP_2)
	v_sub_co_ci_u32_e64 v15, null, v7, v3, vcc_lo
.LBB93_30:                              ;   in Loop: Header=BB93_20 Depth=2
	s_wait_alu 0xfffe
	s_and_not1_saveexec_b32 s2, s42
	s_cbranch_execz .LBB93_32
; %bb.31:                               ;   in Loop: Header=BB93_20 Depth=2
	v_cvt_f32_u32_e32 v3, s36
	s_sub_co_i32 s37, 0, s36
	v_mov_b32_e32 v15, v2
	s_delay_alu instid0(VALU_DEP_2) | instskip(NEXT) | instid1(TRANS32_DEP_1)
	v_rcp_iflag_f32_e32 v3, v3
	v_mul_f32_e32 v3, 0x4f7ffffe, v3
	s_delay_alu instid0(VALU_DEP_1) | instskip(SKIP_1) | instid1(VALU_DEP_1)
	v_cvt_u32_f32_e32 v3, v3
	s_wait_alu 0xfffe
	v_mul_lo_u32 v5, s37, v3
	s_delay_alu instid0(VALU_DEP_1) | instskip(NEXT) | instid1(VALU_DEP_1)
	v_mul_hi_u32 v5, v3, v5
	v_add_nc_u32_e32 v3, v3, v5
	s_delay_alu instid0(VALU_DEP_1) | instskip(NEXT) | instid1(VALU_DEP_1)
	v_mul_hi_u32 v3, v12, v3
	v_mul_lo_u32 v5, v3, s36
	v_add_nc_u32_e32 v7, 1, v3
	s_delay_alu instid0(VALU_DEP_2) | instskip(NEXT) | instid1(VALU_DEP_1)
	v_sub_nc_u32_e32 v5, v12, v5
	v_cmp_le_u32_e32 vcc_lo, s36, v5
	v_subrev_nc_u32_e32 v9, s36, v5
	s_wait_alu 0xfffd
	v_cndmask_b32_e32 v3, v3, v7, vcc_lo
	s_delay_alu instid0(VALU_DEP_1) | instskip(NEXT) | instid1(VALU_DEP_3)
	v_add_nc_u32_e32 v7, 1, v3
	v_cndmask_b32_e32 v5, v5, v9, vcc_lo
	s_delay_alu instid0(VALU_DEP_1) | instskip(SKIP_1) | instid1(VALU_DEP_3)
	v_cmp_le_u32_e32 vcc_lo, s36, v5
	s_wait_alu 0xfffd
	v_cndmask_b32_e32 v14, v3, v7, vcc_lo
.LBB93_32:                              ;   in Loop: Header=BB93_20 Depth=2
	s_wait_alu 0xfffe
	s_or_b32 exec_lo, exec_lo, s2
	s_add_co_i32 s38, s20, -3
	s_mov_b32 s39, s21
	s_add_nc_u64 s[46:47], s[0:1], s[46:47]
	s_wait_alu 0xfffe
	s_lshl_b64 s[42:43], s[38:39], 2
                                        ; implicit-def: $vgpr16_vgpr17
	s_mov_b32 s2, exec_lo
	s_wait_alu 0xfffe
	s_add_nc_u64 s[40:41], s[12:13], s[42:43]
	s_clause 0x2
	s_load_b32 s38, s[40:41], 0x8
	s_load_b32 s37, s[44:45], 0x6c
	;; [unrolled: 1-line block ×3, first 2 shown]
	s_wait_kmcnt 0x0
	s_ashr_i32 s39, s38, 31
	s_wait_alu 0xfffe
	v_or_b32_e32 v3, s39, v15
	s_delay_alu instid0(VALU_DEP_1)
	v_cmpx_ne_u64_e32 0, v[2:3]
	s_xor_b32 s56, exec_lo, s2
	s_cbranch_execz .LBB93_34
; %bb.33:                               ;   in Loop: Header=BB93_20 Depth=2
	s_ashr_i32 s44, s39, 31
	s_mov_b32 s63, s21
	s_wait_alu 0xfffe
	s_mov_b32 s45, s44
	s_mov_b32 s67, s21
	s_wait_alu 0xfffe
	s_add_nc_u64 s[46:47], s[38:39], s[44:45]
	v_ashrrev_i32_e32 v3, 31, v15
	s_wait_alu 0xfffe
	s_xor_b64 s[46:47], s[46:47], s[44:45]
	s_wait_alu 0xfffe
	s_cvt_f32_u32 s2, s46
	s_cvt_f32_u32 s39, s47
	s_sub_nc_u64 s[60:61], 0, s[46:47]
	v_add_co_u32 v5, vcc_lo, v14, v3
	s_wait_alu 0xfffe
	s_fmamk_f32 s2, s39, 0x4f800000, s2
	s_wait_alu 0xfffd
	v_add_co_ci_u32_e64 v7, null, v15, v3, vcc_lo
	v_xor_b32_e32 v5, v5, v3
	s_wait_alu 0xfffe
	v_s_rcp_f32 s2, s2
	s_delay_alu instid0(VALU_DEP_2) | instskip(SKIP_1) | instid1(TRANS32_DEP_1)
	v_xor_b32_e32 v7, v7, v3
	v_xor_b32_e32 v3, s44, v3
	s_mul_f32 s2, s2, 0x5f7ffffc
	s_wait_alu 0xfffe
	s_delay_alu instid0(SALU_CYCLE_2) | instskip(SKIP_1) | instid1(SALU_CYCLE_2)
	s_mul_f32 s39, s2, 0x2f800000
	s_wait_alu 0xfffe
	s_trunc_f32 s39, s39
	s_wait_alu 0xfffe
	s_delay_alu instid0(SALU_CYCLE_2) | instskip(SKIP_2) | instid1(SALU_CYCLE_1)
	s_fmamk_f32 s2, s39, 0xcf800000, s2
	s_cvt_u32_f32 s59, s39
	s_wait_alu 0xfffe
	s_cvt_u32_f32 s58, s2
	s_delay_alu instid0(SALU_CYCLE_3) | instskip(NEXT) | instid1(SALU_CYCLE_1)
	s_mul_u64 s[64:65], s[60:61], s[58:59]
	s_mul_hi_u32 s69, s58, s65
	s_mul_i32 s68, s58, s65
	s_mul_hi_u32 s62, s58, s64
	s_mul_i32 s39, s59, s64
	s_add_nc_u64 s[62:63], s[62:63], s[68:69]
	s_mul_hi_u32 s2, s59, s64
	s_mul_hi_u32 s45, s59, s65
	s_wait_alu 0xfffe
	s_add_co_u32 s39, s62, s39
	s_add_co_ci_u32 s66, s63, s2
	s_mul_i32 s64, s59, s65
	s_add_co_ci_u32 s65, s45, 0
	s_delay_alu instid0(SALU_CYCLE_1)
	s_add_nc_u64 s[62:63], s[66:67], s[64:65]
	s_mov_b32 s65, s21
	s_add_co_u32 s58, s58, s62
	s_cselect_b32 s2, -1, 0
	s_wait_alu 0xfffe
	s_cmp_lg_u32 s2, 0
	s_add_co_ci_u32 s59, s59, s63
	s_mov_b32 s63, s21
	s_mul_u64 s[60:61], s[60:61], s[58:59]
	s_delay_alu instid0(SALU_CYCLE_1)
	s_mul_hi_u32 s67, s58, s61
	s_mul_i32 s66, s58, s61
	s_mul_hi_u32 s64, s58, s60
	s_mul_i32 s39, s59, s60
	s_add_nc_u64 s[64:65], s[64:65], s[66:67]
	s_mul_hi_u32 s2, s59, s60
	s_mul_hi_u32 s45, s59, s61
	s_wait_alu 0xfffe
	s_add_co_u32 s39, s64, s39
	s_add_co_ci_u32 s62, s65, s2
	s_mul_i32 s60, s59, s61
	s_add_co_ci_u32 s61, s45, 0
	s_delay_alu instid0(SALU_CYCLE_1) | instskip(NEXT) | instid1(SALU_CYCLE_1)
	s_add_nc_u64 s[60:61], s[62:63], s[60:61]
	s_add_co_u32 s2, s58, s60
	s_cselect_b32 s39, -1, 0
	s_wait_alu 0xfffe
	v_mul_hi_u32 v9, v5, s2
	s_cmp_lg_u32 s39, 0
	v_mad_co_u64_u32 v[22:23], null, v7, s2, 0
	s_add_co_ci_u32 s39, s59, s61
	s_wait_alu 0xfffe
	v_mad_co_u64_u32 v[15:16], null, v5, s39, 0
	v_mad_co_u64_u32 v[24:25], null, v7, s39, 0
	s_delay_alu instid0(VALU_DEP_2) | instskip(SKIP_1) | instid1(VALU_DEP_3)
	v_add_co_u32 v9, vcc_lo, v9, v15
	s_wait_alu 0xfffd
	v_add_co_ci_u32_e64 v11, null, 0, v16, vcc_lo
	s_delay_alu instid0(VALU_DEP_2) | instskip(SKIP_1) | instid1(VALU_DEP_2)
	v_add_co_u32 v9, vcc_lo, v9, v22
	s_wait_alu 0xfffd
	v_add_co_ci_u32_e32 v9, vcc_lo, v11, v23, vcc_lo
	s_wait_alu 0xfffd
	v_add_co_ci_u32_e32 v11, vcc_lo, 0, v25, vcc_lo
	s_delay_alu instid0(VALU_DEP_2) | instskip(SKIP_1) | instid1(VALU_DEP_2)
	v_add_co_u32 v9, vcc_lo, v9, v24
	s_wait_alu 0xfffd
	v_add_co_ci_u32_e64 v11, null, 0, v11, vcc_lo
	s_delay_alu instid0(VALU_DEP_2) | instskip(SKIP_1) | instid1(VALU_DEP_3)
	v_mul_lo_u32 v13, s47, v9
	v_mad_co_u64_u32 v[15:16], null, s46, v9, 0
	v_mul_lo_u32 v17, s46, v11
	s_delay_alu instid0(VALU_DEP_2) | instskip(NEXT) | instid1(VALU_DEP_2)
	v_sub_co_u32 v5, vcc_lo, v5, v15
	v_add3_u32 v13, v16, v17, v13
	s_delay_alu instid0(VALU_DEP_1) | instskip(SKIP_2) | instid1(VALU_DEP_2)
	v_sub_nc_u32_e32 v16, v7, v13
	s_wait_alu 0xfffd
	v_sub_co_ci_u32_e64 v7, null, v7, v13, vcc_lo
	v_subrev_co_ci_u32_e64 v15, null, s47, v16, vcc_lo
	v_add_co_u32 v16, s2, v9, 2
	s_wait_alu 0xf1ff
	v_add_co_ci_u32_e64 v17, null, 0, v11, s2
	v_sub_co_u32 v22, s2, v5, s46
	s_wait_alu 0xf1ff
	v_subrev_co_ci_u32_e64 v15, null, 0, v15, s2
	s_delay_alu instid0(VALU_DEP_2) | instskip(SKIP_2) | instid1(VALU_DEP_3)
	v_cmp_le_u32_e32 vcc_lo, s46, v22
	s_wait_alu 0xfffd
	v_cndmask_b32_e64 v13, 0, -1, vcc_lo
	v_cmp_le_u32_e32 vcc_lo, s47, v15
	s_wait_alu 0xfffd
	v_cndmask_b32_e64 v22, 0, -1, vcc_lo
	;; [unrolled: 3-line block ×4, first 2 shown]
	v_cmp_eq_u32_e32 vcc_lo, s47, v15
	s_wait_alu 0xfffd
	v_cndmask_b32_e32 v13, v22, v13, vcc_lo
	v_add_co_u32 v15, vcc_lo, v9, 1
	s_wait_alu 0xfffd
	v_add_co_ci_u32_e64 v22, null, 0, v11, vcc_lo
	v_cmp_eq_u32_e32 vcc_lo, s47, v7
	s_wait_alu 0xfffd
	v_cndmask_b32_e32 v5, v23, v5, vcc_lo
	v_cmp_ne_u32_e32 vcc_lo, 0, v13
	s_delay_alu instid0(VALU_DEP_2) | instskip(SKIP_4) | instid1(VALU_DEP_2)
	v_cmp_ne_u32_e64 s2, 0, v5
	s_wait_alu 0xfffd
	v_cndmask_b32_e32 v5, v15, v16, vcc_lo
	v_cndmask_b32_e32 v7, v22, v17, vcc_lo
	s_wait_alu 0xf1ff
	v_cndmask_b32_e64 v5, v9, v5, s2
	s_delay_alu instid0(VALU_DEP_2) | instskip(NEXT) | instid1(VALU_DEP_2)
	v_cndmask_b32_e64 v7, v11, v7, s2
	v_xor_b32_e32 v5, v5, v3
	s_delay_alu instid0(VALU_DEP_2) | instskip(NEXT) | instid1(VALU_DEP_2)
	v_xor_b32_e32 v7, v7, v3
	v_sub_co_u32 v16, vcc_lo, v5, v3
	s_wait_alu 0xfffd
	s_delay_alu instid0(VALU_DEP_2)
	v_sub_co_ci_u32_e64 v17, null, v7, v3, vcc_lo
.LBB93_34:                              ;   in Loop: Header=BB93_20 Depth=2
	s_and_not1_saveexec_b32 s2, s56
	s_cbranch_execz .LBB93_36
; %bb.35:                               ;   in Loop: Header=BB93_20 Depth=2
	v_cvt_f32_u32_e32 v3, s38
	s_sub_co_i32 s39, 0, s38
	v_mov_b32_e32 v17, v2
	s_delay_alu instid0(VALU_DEP_2) | instskip(NEXT) | instid1(TRANS32_DEP_1)
	v_rcp_iflag_f32_e32 v3, v3
	v_mul_f32_e32 v3, 0x4f7ffffe, v3
	s_delay_alu instid0(VALU_DEP_1) | instskip(SKIP_1) | instid1(VALU_DEP_1)
	v_cvt_u32_f32_e32 v3, v3
	s_wait_alu 0xfffe
	v_mul_lo_u32 v5, s39, v3
	s_delay_alu instid0(VALU_DEP_1) | instskip(NEXT) | instid1(VALU_DEP_1)
	v_mul_hi_u32 v5, v3, v5
	v_add_nc_u32_e32 v3, v3, v5
	s_delay_alu instid0(VALU_DEP_1) | instskip(NEXT) | instid1(VALU_DEP_1)
	v_mul_hi_u32 v3, v14, v3
	v_mul_lo_u32 v5, v3, s38
	v_add_nc_u32_e32 v7, 1, v3
	s_delay_alu instid0(VALU_DEP_2) | instskip(NEXT) | instid1(VALU_DEP_1)
	v_sub_nc_u32_e32 v5, v14, v5
	v_cmp_le_u32_e32 vcc_lo, s38, v5
	v_subrev_nc_u32_e32 v9, s38, v5
	s_wait_alu 0xfffd
	v_cndmask_b32_e32 v3, v3, v7, vcc_lo
	s_delay_alu instid0(VALU_DEP_1) | instskip(NEXT) | instid1(VALU_DEP_3)
	v_add_nc_u32_e32 v7, 1, v3
	v_cndmask_b32_e32 v5, v5, v9, vcc_lo
	s_delay_alu instid0(VALU_DEP_1) | instskip(SKIP_1) | instid1(VALU_DEP_3)
	v_cmp_le_u32_e32 vcc_lo, s38, v5
	s_wait_alu 0xfffd
	v_cndmask_b32_e32 v16, v3, v7, vcc_lo
.LBB93_36:                              ;   in Loop: Header=BB93_20 Depth=2
	s_wait_alu 0xfffe
	s_or_b32 exec_lo, exec_lo, s2
	s_add_nc_u64 s[42:43], s[0:1], s[42:43]
	v_mul_lo_u32 v3, v10, s30
	s_clause 0x1
	s_load_b32 s2, s[40:41], 0x6c
	s_load_b32 s30, s[42:43], 0x6c
	v_mul_lo_u32 v5, v12, s34
	v_mul_lo_u32 v7, v14, s36
	;; [unrolled: 1-line block ×3, first 2 shown]
	s_add_co_i32 s20, s20, -4
	s_wait_alu 0xfffe
	s_cmp_eq_u32 s20, -1
	v_sub_nc_u32_e32 v3, v8, v3
	s_delay_alu instid0(VALU_DEP_4) | instskip(NEXT) | instid1(VALU_DEP_4)
	v_sub_nc_u32_e32 v5, v10, v5
	v_sub_nc_u32_e32 v7, v12, v7
	s_delay_alu instid0(VALU_DEP_4) | instskip(NEXT) | instid1(VALU_DEP_4)
	v_sub_nc_u32_e32 v8, v14, v9
	v_mul_lo_u32 v9, s29, v3
	v_mul_lo_u32 v3, s31, v3
	;; [unrolled: 1-line block ×6, first 2 shown]
	s_wait_kmcnt 0x0
	v_mul_lo_u32 v12, s2, v8
	v_mul_lo_u32 v8, s30, v8
	v_add3_u32 v6, v9, v6, v10
	v_add3_u32 v3, v3, v4, v5
	s_delay_alu instid0(VALU_DEP_2) | instskip(NEXT) | instid1(VALU_DEP_2)
	v_add3_u32 v6, v11, v6, v12
	v_add3_u32 v4, v7, v3, v8
	s_cbranch_scc1 .LBB93_38
; %bb.37:                               ;   in Loop: Header=BB93_20 Depth=2
	v_dual_mov_b32 v8, v16 :: v_dual_mov_b32 v9, v17
	s_branch .LBB93_20
.LBB93_38:                              ;   in Loop: Header=BB93_3 Depth=1
	v_sub_nc_u32_e32 v5, v20, v21
	v_dual_mov_b32 v3, 0 :: v_dual_mov_b32 v12, 0
	s_delay_alu instid0(VALU_DEP_2) | instskip(NEXT) | instid1(VALU_DEP_1)
	v_add_nc_u32_e32 v7, 4, v5
	v_ashrrev_i32_e32 v8, 31, v7
	s_delay_alu instid0(VALU_DEP_1)
	v_cmp_le_i64_e32 vcc_lo, s[4:5], v[7:8]
	v_dual_mov_b32 v8, 0 :: v_dual_mov_b32 v7, 0
	s_and_saveexec_b32 s2, vcc_lo
	s_cbranch_execz .LBB93_48
; %bb.39:                               ;   in Loop: Header=BB93_3 Depth=1
	v_dual_mov_b32 v11, 0 :: v_dual_mov_b32 v10, 0
	v_mov_b32_e32 v9, 0
	v_mov_b32_e32 v3, 0
	s_mov_b32 s20, exec_lo
	v_cmpx_gt_i32_e64 s3, v20
	s_cbranch_execz .LBB93_47
; %bb.40:                               ;   in Loop: Header=BB93_3 Depth=1
	v_ashrrev_i32_e32 v7, 31, v6
	v_dual_mov_b32 v10, 0 :: v_dual_add_nc_u32 v9, 1, v20
	v_mov_b32_e32 v11, 0
	s_delay_alu instid0(VALU_DEP_3) | instskip(NEXT) | instid1(VALU_DEP_1)
	v_lshlrev_b64_e32 v[7:8], 1, v[6:7]
	v_add_co_u32 v7, vcc_lo, s10, v7
	s_wait_alu 0xfffd
	s_delay_alu instid0(VALU_DEP_2)
	v_add_co_ci_u32_e64 v8, null, s11, v8, vcc_lo
	v_cmp_gt_i32_e32 vcc_lo, s3, v9
	v_mov_b32_e32 v9, 0
	global_load_u16 v3, v[7:8], off
	s_and_saveexec_b32 s29, vcc_lo
	s_wait_alu 0xfffe
	s_xor_b32 s29, exec_lo, s29
	s_cbranch_execz .LBB93_46
; %bb.41:                               ;   in Loop: Header=BB93_3 Depth=1
	s_lshl_b64 s[30:31], s[24:25], 1
	v_mov_b32_e32 v11, 0
	s_wait_alu 0xfffe
	v_add_co_u32 v7, vcc_lo, v7, s30
	s_wait_alu 0xfffd
	v_add_co_ci_u32_e64 v8, null, s31, v8, vcc_lo
	s_mov_b32 s30, exec_lo
	v_mov_b32_e32 v10, 0
	global_load_u16 v9, v[7:8], off
	v_add_nc_u32_e32 v7, 2, v20
	s_delay_alu instid0(VALU_DEP_1)
	v_cmpx_gt_i32_e64 s3, v7
	s_wait_alu 0xfffe
	s_xor_b32 s30, exec_lo, s30
	s_cbranch_execz .LBB93_45
; %bb.42:                               ;   in Loop: Header=BB93_3 Depth=1
	v_dual_mov_b32 v11, 0 :: v_dual_add_nc_u32 v6, s15, v6
	s_mov_b32 s31, exec_lo
	s_delay_alu instid0(VALU_DEP_1) | instskip(NEXT) | instid1(VALU_DEP_1)
	v_ashrrev_i32_e32 v7, 31, v6
	v_lshlrev_b64_e32 v[7:8], 1, v[6:7]
	s_delay_alu instid0(VALU_DEP_1) | instskip(SKIP_1) | instid1(VALU_DEP_2)
	v_add_co_u32 v7, vcc_lo, s10, v7
	s_wait_alu 0xfffd
	v_add_co_ci_u32_e64 v8, null, s11, v8, vcc_lo
	global_load_u16 v10, v[7:8], off
	v_add_nc_u32_e32 v7, 3, v20
	s_delay_alu instid0(VALU_DEP_1)
	v_cmpx_gt_i32_e64 s3, v7
	s_wait_alu 0xfffe
	s_xor_b32 s31, exec_lo, s31
	s_cbranch_execz .LBB93_44
; %bb.43:                               ;   in Loop: Header=BB93_3 Depth=1
	v_add_nc_u32_e32 v6, s24, v6
	s_delay_alu instid0(VALU_DEP_1) | instskip(NEXT) | instid1(VALU_DEP_1)
	v_ashrrev_i32_e32 v7, 31, v6
	v_lshlrev_b64_e32 v[6:7], 1, v[6:7]
	s_delay_alu instid0(VALU_DEP_1) | instskip(SKIP_1) | instid1(VALU_DEP_2)
	v_add_co_u32 v6, vcc_lo, s10, v6
	s_wait_alu 0xfffd
	v_add_co_ci_u32_e64 v7, null, s11, v7, vcc_lo
	global_load_u16 v11, v[6:7], off
.LBB93_44:                              ;   in Loop: Header=BB93_3 Depth=1
	s_wait_alu 0xfffe
	s_or_b32 exec_lo, exec_lo, s31
.LBB93_45:                              ;   in Loop: Header=BB93_3 Depth=1
	s_wait_alu 0xfffe
	s_or_b32 exec_lo, exec_lo, s30
.LBB93_46:                              ;   in Loop: Header=BB93_3 Depth=1
	s_wait_alu 0xfffe
	s_or_b32 exec_lo, exec_lo, s29
.LBB93_47:                              ;   in Loop: Header=BB93_3 Depth=1
	s_wait_alu 0xfffe
	s_or_b32 exec_lo, exec_lo, s20
	v_ashrrev_i32_e32 v6, 31, v5
	v_add_nc_u32_e32 v13, 2, v5
	v_add_nc_u32_e32 v15, 3, v5
	s_delay_alu instid0(VALU_DEP_3) | instskip(SKIP_1) | instid1(VALU_DEP_4)
	v_cmp_le_i64_e32 vcc_lo, s[4:5], v[5:6]
	v_add_nc_u32_e32 v7, 1, v5
	v_ashrrev_i32_e32 v14, 31, v13
	s_delay_alu instid0(VALU_DEP_4) | instskip(SKIP_4) | instid1(VALU_DEP_1)
	v_ashrrev_i32_e32 v16, 31, v15
	s_wait_loadcnt 0x0
	s_wait_alu 0xfffd
	v_cndmask_b32_e32 v12, 0, v3, vcc_lo
	v_ashrrev_i32_e32 v8, 31, v7
	v_cmp_le_i64_e32 vcc_lo, s[4:5], v[7:8]
	s_wait_alu 0xfffd
	v_cndmask_b32_e32 v3, 0, v9, vcc_lo
	v_cmp_le_i64_e32 vcc_lo, s[4:5], v[13:14]
	s_wait_alu 0xfffd
	v_cndmask_b32_e32 v8, 0, v10, vcc_lo
	;; [unrolled: 3-line block ×3, first 2 shown]
.LBB93_48:                              ;   in Loop: Header=BB93_3 Depth=1
	s_wait_alu 0xfffe
	s_or_b32 exec_lo, exec_lo, s2
	s_delay_alu instid0(SALU_CYCLE_1)
	s_mov_b32 s2, exec_lo
	v_cmpx_gt_i32_e64 s3, v20
	s_cbranch_execz .LBB93_2
; %bb.49:                               ;   in Loop: Header=BB93_3 Depth=1
	v_ashrrev_i32_e32 v5, 31, v4
	v_add_nc_u32_e32 v9, 1, v20
	s_mov_b32 s20, exec_lo
	s_delay_alu instid0(VALU_DEP_2) | instskip(NEXT) | instid1(VALU_DEP_1)
	v_lshlrev_b64_e32 v[5:6], 1, v[4:5]
	v_add_co_u32 v5, vcc_lo, s18, v5
	s_wait_alu 0xfffd
	s_delay_alu instid0(VALU_DEP_2)
	v_add_co_ci_u32_e64 v6, null, s19, v6, vcc_lo
	global_store_b16 v[5:6], v12, off
	v_cmpx_gt_i32_e64 s3, v9
	s_wait_alu 0xfffe
	s_xor_b32 s20, exec_lo, s20
	s_cbranch_execz .LBB93_2
; %bb.50:                               ;   in Loop: Header=BB93_3 Depth=1
	s_lshl_b64 s[30:31], s[26:27], 1
	v_add_nc_u32_e32 v9, 2, v20
	s_wait_alu 0xfffe
	v_add_co_u32 v5, vcc_lo, v5, s30
	s_wait_alu 0xfffd
	v_add_co_ci_u32_e64 v6, null, s31, v6, vcc_lo
	s_mov_b32 s20, exec_lo
	global_store_b16 v[5:6], v3, off
	v_cmpx_gt_i32_e64 s3, v9
	s_wait_alu 0xfffe
	s_xor_b32 s20, exec_lo, s20
	s_cbranch_execz .LBB93_2
; %bb.51:                               ;   in Loop: Header=BB93_3 Depth=1
	v_add_nc_u32_e32 v3, s17, v4
	v_add_nc_u32_e32 v6, 3, v20
	s_mov_b32 s20, exec_lo
	s_delay_alu instid0(VALU_DEP_2) | instskip(NEXT) | instid1(VALU_DEP_1)
	v_ashrrev_i32_e32 v4, 31, v3
	v_lshlrev_b64_e32 v[4:5], 1, v[3:4]
	s_delay_alu instid0(VALU_DEP_1) | instskip(SKIP_1) | instid1(VALU_DEP_2)
	v_add_co_u32 v4, vcc_lo, s18, v4
	s_wait_alu 0xfffd
	v_add_co_ci_u32_e64 v5, null, s19, v5, vcc_lo
	global_store_b16 v[4:5], v8, off
	v_cmpx_gt_i32_e64 s3, v6
	s_wait_alu 0xfffe
	s_xor_b32 s20, exec_lo, s20
	s_cbranch_execz .LBB93_2
; %bb.52:                               ;   in Loop: Header=BB93_3 Depth=1
	v_add_nc_u32_e32 v3, s26, v3
	s_delay_alu instid0(VALU_DEP_1) | instskip(NEXT) | instid1(VALU_DEP_1)
	v_ashrrev_i32_e32 v4, 31, v3
	v_lshlrev_b64_e32 v[3:4], 1, v[3:4]
	s_delay_alu instid0(VALU_DEP_1) | instskip(SKIP_1) | instid1(VALU_DEP_2)
	v_add_co_u32 v3, vcc_lo, s18, v3
	s_wait_alu 0xfffd
	v_add_co_ci_u32_e64 v4, null, s19, v4, vcc_lo
	global_store_b16 v[3:4], v7, off
	s_branch .LBB93_2
.LBB93_53:
	s_endpgm
	.section	.rodata,"a",@progbits
	.p2align	6, 0x0
	.amdhsa_kernel _ZN2at6native16triu_tril_kernelIN3c104HalfEiLb1ELi4ELb0EEEvNS_4cuda6detail10TensorInfoIT_T0_EENS6_IKS7_S8_EEllS8_
		.amdhsa_group_segment_fixed_size 0
		.amdhsa_private_segment_fixed_size 0
		.amdhsa_kernarg_size 712
		.amdhsa_user_sgpr_count 2
		.amdhsa_user_sgpr_dispatch_ptr 0
		.amdhsa_user_sgpr_queue_ptr 0
		.amdhsa_user_sgpr_kernarg_segment_ptr 1
		.amdhsa_user_sgpr_dispatch_id 0
		.amdhsa_user_sgpr_private_segment_size 0
		.amdhsa_wavefront_size32 1
		.amdhsa_uses_dynamic_stack 0
		.amdhsa_enable_private_segment 0
		.amdhsa_system_sgpr_workgroup_id_x 1
		.amdhsa_system_sgpr_workgroup_id_y 0
		.amdhsa_system_sgpr_workgroup_id_z 0
		.amdhsa_system_sgpr_workgroup_info 0
		.amdhsa_system_vgpr_workitem_id 0
		.amdhsa_next_free_vgpr 26
		.amdhsa_next_free_sgpr 70
		.amdhsa_reserve_vcc 1
		.amdhsa_float_round_mode_32 0
		.amdhsa_float_round_mode_16_64 0
		.amdhsa_float_denorm_mode_32 3
		.amdhsa_float_denorm_mode_16_64 3
		.amdhsa_fp16_overflow 0
		.amdhsa_workgroup_processor_mode 1
		.amdhsa_memory_ordered 1
		.amdhsa_forward_progress 1
		.amdhsa_inst_pref_size 68
		.amdhsa_round_robin_scheduling 0
		.amdhsa_exception_fp_ieee_invalid_op 0
		.amdhsa_exception_fp_denorm_src 0
		.amdhsa_exception_fp_ieee_div_zero 0
		.amdhsa_exception_fp_ieee_overflow 0
		.amdhsa_exception_fp_ieee_underflow 0
		.amdhsa_exception_fp_ieee_inexact 0
		.amdhsa_exception_int_div_zero 0
	.end_amdhsa_kernel
	.section	.text._ZN2at6native16triu_tril_kernelIN3c104HalfEiLb1ELi4ELb0EEEvNS_4cuda6detail10TensorInfoIT_T0_EENS6_IKS7_S8_EEllS8_,"axG",@progbits,_ZN2at6native16triu_tril_kernelIN3c104HalfEiLb1ELi4ELb0EEEvNS_4cuda6detail10TensorInfoIT_T0_EENS6_IKS7_S8_EEllS8_,comdat
.Lfunc_end93:
	.size	_ZN2at6native16triu_tril_kernelIN3c104HalfEiLb1ELi4ELb0EEEvNS_4cuda6detail10TensorInfoIT_T0_EENS6_IKS7_S8_EEllS8_, .Lfunc_end93-_ZN2at6native16triu_tril_kernelIN3c104HalfEiLb1ELi4ELb0EEEvNS_4cuda6detail10TensorInfoIT_T0_EENS6_IKS7_S8_EEllS8_
                                        ; -- End function
	.set _ZN2at6native16triu_tril_kernelIN3c104HalfEiLb1ELi4ELb0EEEvNS_4cuda6detail10TensorInfoIT_T0_EENS6_IKS7_S8_EEllS8_.num_vgpr, 26
	.set _ZN2at6native16triu_tril_kernelIN3c104HalfEiLb1ELi4ELb0EEEvNS_4cuda6detail10TensorInfoIT_T0_EENS6_IKS7_S8_EEllS8_.num_agpr, 0
	.set _ZN2at6native16triu_tril_kernelIN3c104HalfEiLb1ELi4ELb0EEEvNS_4cuda6detail10TensorInfoIT_T0_EENS6_IKS7_S8_EEllS8_.numbered_sgpr, 70
	.set _ZN2at6native16triu_tril_kernelIN3c104HalfEiLb1ELi4ELb0EEEvNS_4cuda6detail10TensorInfoIT_T0_EENS6_IKS7_S8_EEllS8_.num_named_barrier, 0
	.set _ZN2at6native16triu_tril_kernelIN3c104HalfEiLb1ELi4ELb0EEEvNS_4cuda6detail10TensorInfoIT_T0_EENS6_IKS7_S8_EEllS8_.private_seg_size, 0
	.set _ZN2at6native16triu_tril_kernelIN3c104HalfEiLb1ELi4ELb0EEEvNS_4cuda6detail10TensorInfoIT_T0_EENS6_IKS7_S8_EEllS8_.uses_vcc, 1
	.set _ZN2at6native16triu_tril_kernelIN3c104HalfEiLb1ELi4ELb0EEEvNS_4cuda6detail10TensorInfoIT_T0_EENS6_IKS7_S8_EEllS8_.uses_flat_scratch, 0
	.set _ZN2at6native16triu_tril_kernelIN3c104HalfEiLb1ELi4ELb0EEEvNS_4cuda6detail10TensorInfoIT_T0_EENS6_IKS7_S8_EEllS8_.has_dyn_sized_stack, 0
	.set _ZN2at6native16triu_tril_kernelIN3c104HalfEiLb1ELi4ELb0EEEvNS_4cuda6detail10TensorInfoIT_T0_EENS6_IKS7_S8_EEllS8_.has_recursion, 0
	.set _ZN2at6native16triu_tril_kernelIN3c104HalfEiLb1ELi4ELb0EEEvNS_4cuda6detail10TensorInfoIT_T0_EENS6_IKS7_S8_EEllS8_.has_indirect_call, 0
	.section	.AMDGPU.csdata,"",@progbits
; Kernel info:
; codeLenInByte = 8700
; TotalNumSgprs: 72
; NumVgprs: 26
; ScratchSize: 0
; MemoryBound: 0
; FloatMode: 240
; IeeeMode: 1
; LDSByteSize: 0 bytes/workgroup (compile time only)
; SGPRBlocks: 0
; VGPRBlocks: 3
; NumSGPRsForWavesPerEU: 72
; NumVGPRsForWavesPerEU: 26
; Occupancy: 16
; WaveLimiterHint : 1
; COMPUTE_PGM_RSRC2:SCRATCH_EN: 0
; COMPUTE_PGM_RSRC2:USER_SGPR: 2
; COMPUTE_PGM_RSRC2:TRAP_HANDLER: 0
; COMPUTE_PGM_RSRC2:TGID_X_EN: 1
; COMPUTE_PGM_RSRC2:TGID_Y_EN: 0
; COMPUTE_PGM_RSRC2:TGID_Z_EN: 0
; COMPUTE_PGM_RSRC2:TIDIG_COMP_CNT: 0
	.section	.text._ZN2at6native16triu_tril_kernelIN3c104HalfElLb1ELi4ELb1EEEvNS_4cuda6detail10TensorInfoIT_T0_EENS6_IKS7_S8_EEllS8_,"axG",@progbits,_ZN2at6native16triu_tril_kernelIN3c104HalfElLb1ELi4ELb1EEEvNS_4cuda6detail10TensorInfoIT_T0_EENS6_IKS7_S8_EEllS8_,comdat
	.protected	_ZN2at6native16triu_tril_kernelIN3c104HalfElLb1ELi4ELb1EEEvNS_4cuda6detail10TensorInfoIT_T0_EENS6_IKS7_S8_EEllS8_ ; -- Begin function _ZN2at6native16triu_tril_kernelIN3c104HalfElLb1ELi4ELb1EEEvNS_4cuda6detail10TensorInfoIT_T0_EENS6_IKS7_S8_EEllS8_
	.globl	_ZN2at6native16triu_tril_kernelIN3c104HalfElLb1ELi4ELb1EEEvNS_4cuda6detail10TensorInfoIT_T0_EENS6_IKS7_S8_EEllS8_
	.p2align	8
	.type	_ZN2at6native16triu_tril_kernelIN3c104HalfElLb1ELi4ELb1EEEvNS_4cuda6detail10TensorInfoIT_T0_EENS6_IKS7_S8_EEllS8_,@function
_ZN2at6native16triu_tril_kernelIN3c104HalfElLb1ELi4ELb1EEEvNS_4cuda6detail10TensorInfoIT_T0_EENS6_IKS7_S8_EEllS8_: ; @_ZN2at6native16triu_tril_kernelIN3c104HalfElLb1ELi4ELb1EEEvNS_4cuda6detail10TensorInfoIT_T0_EENS6_IKS7_S8_EEllS8_
; %bb.0:
	s_clause 0x1
	s_load_b32 s2, s[0:1], 0x364
	s_load_b128 s[4:7], s[0:1], 0x340
	v_mov_b32_e32 v2, 0
	s_mov_b32 s3, exec_lo
	s_delay_alu instid0(VALU_DEP_1)
	v_mov_b32_e32 v1, v2
	s_wait_kmcnt 0x0
	s_and_b32 s2, s2, 0xffff
	s_delay_alu instid0(VALU_DEP_1) | instid1(SALU_CYCLE_1)
	v_mad_co_u64_u32 v[0:1], null, s2, ttmp9, v[0:1]
	s_delay_alu instid0(VALU_DEP_1) | instskip(NEXT) | instid1(VALU_DEP_1)
	v_lshlrev_b64_e32 v[0:1], 2, v[0:1]
	v_cmpx_gt_i64_e64 s[6:7], v[0:1]
	s_cbranch_execz .LBB94_47
; %bb.1:
	s_load_b32 s22, s[0:1], 0x338
	s_add_nc_u64 s[12:13], s[0:1], 0x358
	s_clause 0x1
	s_load_b64 s[8:9], s[0:1], 0x350
	s_load_b64 s[10:11], s[0:1], 0x0
	s_add_nc_u64 s[28:29], s[0:1], 0x1a0
	s_load_b32 s3, s[12:13], 0x0
	s_movk_i32 s18, 0xffe0
	s_add_nc_u64 s[16:17], s[0:1], 0xb8
	s_mov_b32 s19, -1
	s_add_nc_u64 s[34:35], s[0:1], 0x190
	s_mov_b32 s65, 0
	s_wait_kmcnt 0x0
	s_add_co_i32 s14, s22, -2
	v_cvt_f32_u32_e32 v3, s8
	s_ashr_i32 s15, s14, 31
	s_add_co_i32 s20, s22, -3
	s_lshl_b64 s[12:13], s[14:15], 3
	s_ashr_i32 s23, s22, 31
	s_add_nc_u64 s[12:13], s[28:29], s[12:13]
	v_rcp_iflag_f32_e32 v3, v3
	s_load_b64 s[12:13], s[12:13], 0x8
	s_mul_i32 s24, s3, s2
	s_and_b32 s25, s20, 3
	s_lshl_b64 s[2:3], s[22:23], 3
	s_ashr_i32 s21, s20, 31
	s_and_b32 s14, s14, 3
	s_lshl_b32 s62, s24, 2
	s_cmp_lg_u32 s25, 3
	v_cmp_gt_i64_e64 s33, s[22:23], 2
	s_cselect_b32 s63, -1, 0
	s_cmp_gt_u32 s20, 2
	s_wait_alu 0xfffe
	s_add_nc_u64 s[22:23], s[0:1], s[2:3]
	s_add_nc_u64 s[24:25], s[28:29], s[2:3]
	s_cselect_b32 s64, -1, 0
	s_lshl_b64 s[2:3], s[20:21], 3
	s_mov_b32 s15, 0
	s_wait_alu 0xfffe
	s_add_nc_u64 s[30:31], s[0:1], s[2:3]
	s_add_nc_u64 s[2:3], s[28:29], s[2:3]
	s_mov_b64 s[26:27], s[14:15]
	s_add_nc_u64 s[28:29], s[30:31], 0xd0
	s_wait_kmcnt 0x0
	v_cvt_f32_u32_e32 v4, s12
	s_wait_alu 0xfffe
	s_add_nc_u64 s[30:31], s[2:3], 8
	s_ashr_i32 s36, s9, 31
	s_delay_alu instid0(VALU_DEP_1) | instskip(NEXT) | instid1(TRANS32_DEP_1)
	v_rcp_iflag_f32_e32 v4, v4
	v_dual_mul_f32 v3, 0x4f7ffffe, v3 :: v_dual_mul_f32 v4, 0x4f7ffffe, v4
	s_delay_alu instid0(VALU_DEP_1) | instskip(NEXT) | instid1(VALU_DEP_2)
	v_cvt_u32_f32_e32 v18, v3
	v_cvt_u32_f32_e32 v19, v4
	s_branch .LBB94_3
.LBB94_2:                               ;   in Loop: Header=BB94_3 Depth=1
	s_wait_alu 0xfffe
	s_or_b32 exec_lo, exec_lo, s37
	v_add_co_u32 v0, vcc_lo, v0, s62
	s_wait_alu 0xfffd
	v_add_co_ci_u32_e64 v1, null, 0, v1, vcc_lo
	s_delay_alu instid0(VALU_DEP_1) | instskip(SKIP_1) | instid1(SALU_CYCLE_1)
	v_cmp_le_i64_e32 vcc_lo, s[6:7], v[0:1]
	s_or_b32 s65, vcc_lo, s65
	s_and_not1_b32 exec_lo, exec_lo, s65
	s_cbranch_execz .LBB94_47
.LBB94_3:                               ; =>This Loop Header: Depth=1
                                        ;     Child Loop BB94_17 Depth 2
                                        ;     Child Loop BB94_22 Depth 2
	v_or_b32_e32 v3, s9, v1
                                        ; implicit-def: $vgpr6_vgpr7
	s_mov_b32 s0, exec_lo
	s_delay_alu instid0(VALU_DEP_1)
	v_cmpx_ne_u64_e32 0, v[2:3]
	s_wait_alu 0xfffe
	s_xor_b32 s1, exec_lo, s0
	s_cbranch_execz .LBB94_5
; %bb.4:                                ;   in Loop: Header=BB94_3 Depth=1
	s_mov_b32 s37, s36
	v_ashrrev_i32_e32 v9, 31, v1
	s_wait_alu 0xfffe
	s_add_nc_u64 s[2:3], s[8:9], s[36:37]
	s_wait_alu 0xfffe
	s_xor_b64 s[2:3], s[2:3], s[36:37]
	v_add_co_u32 v3, vcc_lo, v0, v9
	s_wait_alu 0xfffe
	s_cvt_f32_u32 s0, s2
	s_cvt_f32_u32 s14, s3
	s_sub_nc_u64 s[40:41], 0, s[2:3]
	s_wait_alu 0xfffd
	v_add_co_ci_u32_e64 v4, null, v1, v9, vcc_lo
	s_wait_alu 0xfffe
	s_fmamk_f32 s0, s14, 0x4f800000, s0
	v_xor_b32_e32 v10, v3, v9
	s_delay_alu instid0(VALU_DEP_2) | instskip(SKIP_2) | instid1(TRANS32_DEP_1)
	v_xor_b32_e32 v11, v4, v9
	s_wait_alu 0xfffe
	v_s_rcp_f32 s0, s0
	s_mul_f32 s0, s0, 0x5f7ffffc
	s_wait_alu 0xfffe
	s_delay_alu instid0(SALU_CYCLE_2) | instskip(SKIP_1) | instid1(SALU_CYCLE_2)
	s_mul_f32 s14, s0, 0x2f800000
	s_wait_alu 0xfffe
	s_trunc_f32 s14, s14
	s_wait_alu 0xfffe
	s_delay_alu instid0(SALU_CYCLE_2) | instskip(SKIP_2) | instid1(SALU_CYCLE_1)
	s_fmamk_f32 s0, s14, 0xcf800000, s0
	s_cvt_u32_f32 s39, s14
	s_wait_alu 0xfffe
	s_cvt_u32_f32 s38, s0
	s_wait_alu 0xfffe
	s_delay_alu instid0(SALU_CYCLE_2) | instskip(NEXT) | instid1(SALU_CYCLE_1)
	s_mul_u64 s[42:43], s[40:41], s[38:39]
	s_mul_hi_u32 s45, s38, s43
	s_mul_i32 s44, s38, s43
	s_mul_hi_u32 s14, s38, s42
	s_mul_i32 s37, s39, s42
	s_wait_alu 0xfffe
	s_add_nc_u64 s[44:45], s[14:15], s[44:45]
	s_mul_hi_u32 s0, s39, s42
	s_mul_hi_u32 s46, s39, s43
	s_wait_alu 0xfffe
	s_add_co_u32 s14, s44, s37
	s_add_co_ci_u32 s14, s45, s0
	s_mul_i32 s42, s39, s43
	s_add_co_ci_u32 s43, s46, 0
	s_wait_alu 0xfffe
	s_add_nc_u64 s[42:43], s[14:15], s[42:43]
	s_delay_alu instid0(SALU_CYCLE_1)
	s_add_co_u32 s38, s38, s42
	s_cselect_b32 s0, -1, 0
	s_wait_alu 0xfffe
	s_cmp_lg_u32 s0, 0
	s_add_co_ci_u32 s39, s39, s43
	s_wait_alu 0xfffe
	s_mul_u64 s[40:41], s[40:41], s[38:39]
	s_delay_alu instid0(SALU_CYCLE_1)
	s_mul_hi_u32 s43, s38, s41
	s_mul_i32 s42, s38, s41
	s_mul_hi_u32 s14, s38, s40
	s_mul_i32 s37, s39, s40
	s_wait_alu 0xfffe
	s_add_nc_u64 s[42:43], s[14:15], s[42:43]
	s_mul_hi_u32 s0, s39, s40
	s_mul_hi_u32 s44, s39, s41
	s_add_co_u32 s14, s42, s37
	s_wait_alu 0xfffe
	s_add_co_ci_u32 s14, s43, s0
	s_mul_i32 s40, s39, s41
	s_add_co_ci_u32 s41, s44, 0
	s_wait_alu 0xfffe
	s_add_nc_u64 s[40:41], s[14:15], s[40:41]
	s_delay_alu instid0(SALU_CYCLE_1)
	s_add_co_u32 s0, s38, s40
	s_cselect_b32 s14, -1, 0
	s_wait_alu 0xfffe
	v_mul_hi_u32 v12, v10, s0
	s_cmp_lg_u32 s14, 0
	v_mad_co_u64_u32 v[5:6], null, v11, s0, 0
	s_add_co_ci_u32 s14, s39, s41
	s_wait_alu 0xfffe
	v_mad_co_u64_u32 v[3:4], null, v10, s14, 0
	v_mad_co_u64_u32 v[7:8], null, v11, s14, 0
	s_delay_alu instid0(VALU_DEP_2) | instskip(SKIP_1) | instid1(VALU_DEP_3)
	v_add_co_u32 v3, vcc_lo, v12, v3
	s_wait_alu 0xfffd
	v_add_co_ci_u32_e64 v4, null, 0, v4, vcc_lo
	s_delay_alu instid0(VALU_DEP_2) | instskip(SKIP_1) | instid1(VALU_DEP_2)
	v_add_co_u32 v3, vcc_lo, v3, v5
	s_wait_alu 0xfffd
	v_add_co_ci_u32_e32 v3, vcc_lo, v4, v6, vcc_lo
	s_wait_alu 0xfffd
	v_add_co_ci_u32_e32 v4, vcc_lo, 0, v8, vcc_lo
	s_delay_alu instid0(VALU_DEP_2) | instskip(SKIP_1) | instid1(VALU_DEP_2)
	v_add_co_u32 v5, vcc_lo, v3, v7
	s_wait_alu 0xfffd
	v_add_co_ci_u32_e64 v6, null, 0, v4, vcc_lo
	s_delay_alu instid0(VALU_DEP_2) | instskip(SKIP_1) | instid1(VALU_DEP_3)
	v_mul_lo_u32 v7, s3, v5
	v_mad_co_u64_u32 v[3:4], null, s2, v5, 0
	v_mul_lo_u32 v8, s2, v6
	s_delay_alu instid0(VALU_DEP_2) | instskip(NEXT) | instid1(VALU_DEP_2)
	v_sub_co_u32 v3, vcc_lo, v10, v3
	v_add3_u32 v4, v4, v8, v7
	v_add_co_u32 v8, s0, v5, 2
	s_wait_alu 0xf1ff
	v_add_co_ci_u32_e64 v10, null, 0, v6, s0
	s_delay_alu instid0(VALU_DEP_3) | instskip(SKIP_3) | instid1(VALU_DEP_3)
	v_sub_nc_u32_e32 v7, v11, v4
	v_sub_co_u32 v12, s0, v3, s2
	s_wait_alu 0xfffd
	v_sub_co_ci_u32_e64 v4, null, v11, v4, vcc_lo
	v_subrev_co_ci_u32_e64 v7, null, s3, v7, vcc_lo
	s_delay_alu instid0(VALU_DEP_3) | instskip(SKIP_1) | instid1(VALU_DEP_2)
	v_cmp_le_u32_e32 vcc_lo, s2, v12
	s_wait_alu 0xf1ff
	v_subrev_co_ci_u32_e64 v7, null, 0, v7, s0
	s_wait_alu 0xfffd
	v_cndmask_b32_e64 v11, 0, -1, vcc_lo
	s_delay_alu instid0(VALU_DEP_2)
	v_cmp_le_u32_e32 vcc_lo, s3, v7
	s_wait_alu 0xfffd
	v_cndmask_b32_e64 v12, 0, -1, vcc_lo
	v_cmp_le_u32_e32 vcc_lo, s2, v3
	s_wait_alu 0xfffd
	v_cndmask_b32_e64 v3, 0, -1, vcc_lo
	;; [unrolled: 3-line block ×3, first 2 shown]
	v_cmp_eq_u32_e32 vcc_lo, s3, v7
	s_wait_alu 0xfffd
	v_cndmask_b32_e32 v7, v12, v11, vcc_lo
	v_add_co_u32 v11, vcc_lo, v5, 1
	s_wait_alu 0xfffd
	v_add_co_ci_u32_e64 v12, null, 0, v6, vcc_lo
	v_cmp_eq_u32_e32 vcc_lo, s3, v4
	s_wait_alu 0xfffd
	v_cndmask_b32_e32 v3, v13, v3, vcc_lo
	v_cmp_ne_u32_e32 vcc_lo, 0, v7
	v_xor_b32_e32 v7, s36, v9
	s_wait_alu 0xfffd
	v_cndmask_b32_e32 v4, v12, v10, vcc_lo
	v_cmp_ne_u32_e64 s0, 0, v3
	v_cndmask_b32_e32 v3, v11, v8, vcc_lo
	s_wait_alu 0xf1ff
	s_delay_alu instid0(VALU_DEP_2) | instskip(NEXT) | instid1(VALU_DEP_2)
	v_cndmask_b32_e64 v4, v6, v4, s0
	v_cndmask_b32_e64 v3, v5, v3, s0
	s_delay_alu instid0(VALU_DEP_2) | instskip(NEXT) | instid1(VALU_DEP_2)
	v_xor_b32_e32 v4, v4, v7
	v_xor_b32_e32 v3, v3, v7
	s_delay_alu instid0(VALU_DEP_1) | instskip(SKIP_1) | instid1(VALU_DEP_3)
	v_sub_co_u32 v6, vcc_lo, v3, v7
	s_wait_alu 0xfffd
	v_sub_co_ci_u32_e64 v7, null, v4, v7, vcc_lo
.LBB94_5:                               ;   in Loop: Header=BB94_3 Depth=1
	s_wait_alu 0xfffe
	s_and_not1_saveexec_b32 s0, s1
	s_cbranch_execz .LBB94_7
; %bb.6:                                ;   in Loop: Header=BB94_3 Depth=1
	s_sub_co_i32 s1, 0, s8
	v_mov_b32_e32 v7, v2
	s_wait_alu 0xfffe
	v_mul_lo_u32 v3, s1, v18
	s_delay_alu instid0(VALU_DEP_1) | instskip(NEXT) | instid1(VALU_DEP_1)
	v_mul_hi_u32 v3, v18, v3
	v_add_nc_u32_e32 v3, v18, v3
	s_delay_alu instid0(VALU_DEP_1) | instskip(NEXT) | instid1(VALU_DEP_1)
	v_mul_hi_u32 v3, v0, v3
	v_mul_lo_u32 v4, v3, s8
	v_add_nc_u32_e32 v5, 1, v3
	s_delay_alu instid0(VALU_DEP_2) | instskip(NEXT) | instid1(VALU_DEP_1)
	v_sub_nc_u32_e32 v4, v0, v4
	v_subrev_nc_u32_e32 v6, s8, v4
	v_cmp_le_u32_e32 vcc_lo, s8, v4
	s_wait_alu 0xfffd
	s_delay_alu instid0(VALU_DEP_2) | instskip(NEXT) | instid1(VALU_DEP_1)
	v_dual_cndmask_b32 v4, v4, v6 :: v_dual_cndmask_b32 v3, v3, v5
	v_cmp_le_u32_e32 vcc_lo, s8, v4
	s_delay_alu instid0(VALU_DEP_2) | instskip(SKIP_1) | instid1(VALU_DEP_1)
	v_add_nc_u32_e32 v5, 1, v3
	s_wait_alu 0xfffd
	v_cndmask_b32_e32 v6, v3, v5, vcc_lo
.LBB94_7:                               ;   in Loop: Header=BB94_3 Depth=1
	s_wait_alu 0xfffe
	s_or_b32 exec_lo, exec_lo, s0
	v_or_b32_e32 v3, s13, v7
                                        ; implicit-def: $vgpr8_vgpr9
	s_mov_b32 s0, exec_lo
	s_delay_alu instid0(VALU_DEP_1)
	v_cmpx_ne_u64_e32 0, v[2:3]
	s_wait_alu 0xfffe
	s_xor_b32 s1, exec_lo, s0
	s_cbranch_execz .LBB94_9
; %bb.8:                                ;   in Loop: Header=BB94_3 Depth=1
	s_ashr_i32 s2, s13, 31
	v_ashrrev_i32_e32 v5, 31, v7
	s_wait_alu 0xfffe
	s_mov_b32 s3, s2
	s_wait_alu 0xfffe
	s_add_nc_u64 s[38:39], s[12:13], s[2:3]
	v_add_co_u32 v3, vcc_lo, v6, v5
	s_wait_alu 0xfffe
	s_xor_b64 s[38:39], s[38:39], s[2:3]
	s_wait_alu 0xfffd
	v_add_co_ci_u32_e64 v4, null, v7, v5, vcc_lo
	s_wait_alu 0xfffe
	s_cvt_f32_u32 s0, s38
	s_cvt_f32_u32 s3, s39
	s_sub_nc_u64 s[42:43], 0, s[38:39]
	v_xor_b32_e32 v12, v3, v5
	v_xor_b32_e32 v13, v4, v5
	s_wait_alu 0xfffe
	s_fmamk_f32 s0, s3, 0x4f800000, s0
	v_xor_b32_e32 v5, s2, v5
	s_wait_alu 0xfffe
	s_delay_alu instid0(SALU_CYCLE_1) | instskip(NEXT) | instid1(TRANS32_DEP_1)
	v_s_rcp_f32 s0, s0
	s_mul_f32 s0, s0, 0x5f7ffffc
	s_wait_alu 0xfffe
	s_delay_alu instid0(SALU_CYCLE_2) | instskip(SKIP_1) | instid1(SALU_CYCLE_2)
	s_mul_f32 s3, s0, 0x2f800000
	s_wait_alu 0xfffe
	s_trunc_f32 s3, s3
	s_wait_alu 0xfffe
	s_delay_alu instid0(SALU_CYCLE_2) | instskip(SKIP_2) | instid1(SALU_CYCLE_1)
	s_fmamk_f32 s0, s3, 0xcf800000, s0
	s_cvt_u32_f32 s41, s3
	s_wait_alu 0xfffe
	s_cvt_u32_f32 s40, s0
	s_delay_alu instid0(SALU_CYCLE_3)
	s_mul_u64 s[44:45], s[42:43], s[40:41]
	s_wait_alu 0xfffe
	s_mul_hi_u32 s47, s40, s45
	s_mul_i32 s46, s40, s45
	s_mul_hi_u32 s14, s40, s44
	s_mul_i32 s3, s41, s44
	s_wait_alu 0xfffe
	s_add_nc_u64 s[46:47], s[14:15], s[46:47]
	s_mul_hi_u32 s0, s41, s44
	s_mul_hi_u32 s37, s41, s45
	s_wait_alu 0xfffe
	s_add_co_u32 s3, s46, s3
	s_add_co_ci_u32 s14, s47, s0
	s_mul_i32 s44, s41, s45
	s_add_co_ci_u32 s45, s37, 0
	s_wait_alu 0xfffe
	s_add_nc_u64 s[44:45], s[14:15], s[44:45]
	s_wait_alu 0xfffe
	s_add_co_u32 s40, s40, s44
	s_cselect_b32 s0, -1, 0
	s_wait_alu 0xfffe
	s_cmp_lg_u32 s0, 0
	s_add_co_ci_u32 s41, s41, s45
	s_delay_alu instid0(SALU_CYCLE_1) | instskip(NEXT) | instid1(SALU_CYCLE_1)
	s_mul_u64 s[42:43], s[42:43], s[40:41]
	s_mul_hi_u32 s45, s40, s43
	s_mul_i32 s44, s40, s43
	s_mul_hi_u32 s14, s40, s42
	s_mul_i32 s3, s41, s42
	s_wait_alu 0xfffe
	s_add_nc_u64 s[44:45], s[14:15], s[44:45]
	s_mul_hi_u32 s0, s41, s42
	s_mul_hi_u32 s37, s41, s43
	s_wait_alu 0xfffe
	s_add_co_u32 s3, s44, s3
	s_add_co_ci_u32 s14, s45, s0
	s_mul_i32 s42, s41, s43
	s_add_co_ci_u32 s43, s37, 0
	s_wait_alu 0xfffe
	s_add_nc_u64 s[42:43], s[14:15], s[42:43]
	s_delay_alu instid0(SALU_CYCLE_1)
	s_add_co_u32 s0, s40, s42
	s_cselect_b32 s3, -1, 0
	s_wait_alu 0xfffe
	v_mul_hi_u32 v14, v12, s0
	s_cmp_lg_u32 s3, 0
	v_mad_co_u64_u32 v[8:9], null, v13, s0, 0
	s_add_co_ci_u32 s3, s41, s43
	s_wait_alu 0xfffe
	v_mad_co_u64_u32 v[3:4], null, v12, s3, 0
	v_mad_co_u64_u32 v[10:11], null, v13, s3, 0
	s_delay_alu instid0(VALU_DEP_2) | instskip(SKIP_1) | instid1(VALU_DEP_3)
	v_add_co_u32 v3, vcc_lo, v14, v3
	s_wait_alu 0xfffd
	v_add_co_ci_u32_e64 v4, null, 0, v4, vcc_lo
	s_delay_alu instid0(VALU_DEP_2) | instskip(SKIP_1) | instid1(VALU_DEP_2)
	v_add_co_u32 v3, vcc_lo, v3, v8
	s_wait_alu 0xfffd
	v_add_co_ci_u32_e32 v3, vcc_lo, v4, v9, vcc_lo
	s_wait_alu 0xfffd
	v_add_co_ci_u32_e32 v4, vcc_lo, 0, v11, vcc_lo
	s_delay_alu instid0(VALU_DEP_2) | instskip(SKIP_1) | instid1(VALU_DEP_2)
	v_add_co_u32 v8, vcc_lo, v3, v10
	s_wait_alu 0xfffd
	v_add_co_ci_u32_e64 v9, null, 0, v4, vcc_lo
	s_delay_alu instid0(VALU_DEP_2) | instskip(SKIP_1) | instid1(VALU_DEP_3)
	v_mul_lo_u32 v10, s39, v8
	v_mad_co_u64_u32 v[3:4], null, s38, v8, 0
	v_mul_lo_u32 v11, s38, v9
	s_delay_alu instid0(VALU_DEP_2) | instskip(NEXT) | instid1(VALU_DEP_2)
	v_sub_co_u32 v3, vcc_lo, v12, v3
	v_add3_u32 v4, v4, v11, v10
	v_add_co_u32 v11, s0, v8, 2
	s_wait_alu 0xf1ff
	v_add_co_ci_u32_e64 v12, null, 0, v9, s0
	s_delay_alu instid0(VALU_DEP_3) | instskip(SKIP_3) | instid1(VALU_DEP_3)
	v_sub_nc_u32_e32 v10, v13, v4
	v_sub_co_u32 v14, s0, v3, s38
	s_wait_alu 0xfffd
	v_sub_co_ci_u32_e64 v4, null, v13, v4, vcc_lo
	v_subrev_co_ci_u32_e64 v10, null, s39, v10, vcc_lo
	s_delay_alu instid0(VALU_DEP_3) | instskip(SKIP_1) | instid1(VALU_DEP_2)
	v_cmp_le_u32_e32 vcc_lo, s38, v14
	s_wait_alu 0xf1ff
	v_subrev_co_ci_u32_e64 v10, null, 0, v10, s0
	s_wait_alu 0xfffd
	v_cndmask_b32_e64 v13, 0, -1, vcc_lo
	s_delay_alu instid0(VALU_DEP_2)
	v_cmp_le_u32_e32 vcc_lo, s39, v10
	s_wait_alu 0xfffd
	v_cndmask_b32_e64 v14, 0, -1, vcc_lo
	v_cmp_le_u32_e32 vcc_lo, s38, v3
	s_wait_alu 0xfffd
	v_cndmask_b32_e64 v3, 0, -1, vcc_lo
	;; [unrolled: 3-line block ×3, first 2 shown]
	v_cmp_eq_u32_e32 vcc_lo, s39, v10
	s_wait_alu 0xfffd
	v_cndmask_b32_e32 v10, v14, v13, vcc_lo
	v_add_co_u32 v13, vcc_lo, v8, 1
	s_wait_alu 0xfffd
	v_add_co_ci_u32_e64 v14, null, 0, v9, vcc_lo
	v_cmp_eq_u32_e32 vcc_lo, s39, v4
	s_wait_alu 0xfffd
	v_cndmask_b32_e32 v3, v15, v3, vcc_lo
	v_cmp_ne_u32_e32 vcc_lo, 0, v10
	s_delay_alu instid0(VALU_DEP_2) | instskip(SKIP_3) | instid1(VALU_DEP_1)
	v_cmp_ne_u32_e64 s0, 0, v3
	s_wait_alu 0xfffd
	v_dual_cndmask_b32 v4, v14, v12 :: v_dual_cndmask_b32 v3, v13, v11
	s_wait_alu 0xf1ff
	v_cndmask_b32_e64 v4, v9, v4, s0
	s_delay_alu instid0(VALU_DEP_2) | instskip(NEXT) | instid1(VALU_DEP_2)
	v_cndmask_b32_e64 v3, v8, v3, s0
	v_xor_b32_e32 v4, v4, v5
	s_delay_alu instid0(VALU_DEP_2) | instskip(NEXT) | instid1(VALU_DEP_1)
	v_xor_b32_e32 v3, v3, v5
	v_sub_co_u32 v8, vcc_lo, v3, v5
	s_wait_alu 0xfffd
	s_delay_alu instid0(VALU_DEP_3)
	v_sub_co_ci_u32_e64 v9, null, v4, v5, vcc_lo
.LBB94_9:                               ;   in Loop: Header=BB94_3 Depth=1
	s_wait_alu 0xfffe
	s_and_not1_saveexec_b32 s0, s1
	s_cbranch_execz .LBB94_11
; %bb.10:                               ;   in Loop: Header=BB94_3 Depth=1
	s_sub_co_i32 s1, 0, s12
	v_mov_b32_e32 v9, v2
	s_wait_alu 0xfffe
	v_mul_lo_u32 v3, s1, v19
	s_delay_alu instid0(VALU_DEP_1) | instskip(NEXT) | instid1(VALU_DEP_1)
	v_mul_hi_u32 v3, v19, v3
	v_add_nc_u32_e32 v3, v19, v3
	s_delay_alu instid0(VALU_DEP_1) | instskip(NEXT) | instid1(VALU_DEP_1)
	v_mul_hi_u32 v3, v6, v3
	v_mul_lo_u32 v4, v3, s12
	v_add_nc_u32_e32 v5, 1, v3
	s_delay_alu instid0(VALU_DEP_2) | instskip(NEXT) | instid1(VALU_DEP_1)
	v_sub_nc_u32_e32 v4, v6, v4
	v_subrev_nc_u32_e32 v8, s12, v4
	v_cmp_le_u32_e32 vcc_lo, s12, v4
	s_wait_alu 0xfffd
	s_delay_alu instid0(VALU_DEP_2) | instskip(NEXT) | instid1(VALU_DEP_1)
	v_dual_cndmask_b32 v4, v4, v8 :: v_dual_cndmask_b32 v3, v3, v5
	v_cmp_le_u32_e32 vcc_lo, s12, v4
	s_delay_alu instid0(VALU_DEP_2) | instskip(SKIP_1) | instid1(VALU_DEP_1)
	v_add_nc_u32_e32 v5, 1, v3
	s_wait_alu 0xfffd
	v_cndmask_b32_e32 v8, v3, v5, vcc_lo
.LBB94_11:                              ;   in Loop: Header=BB94_3 Depth=1
	s_wait_alu 0xfffe
	s_or_b32 exec_lo, exec_lo, s0
	v_mul_lo_u32 v5, v7, s8
	v_mul_lo_u32 v12, v6, s9
	v_mad_co_u64_u32 v[3:4], null, v6, s8, 0
	v_mul_lo_u32 v13, v9, s12
	v_mul_lo_u32 v14, v8, s13
	v_mad_co_u64_u32 v[10:11], null, v8, s12, 0
	s_mov_b32 s37, exec_lo
	v_add3_u32 v5, v4, v12, v5
	v_sub_co_u32 v4, vcc_lo, v0, v3
	v_add3_u32 v11, v11, v14, v13
	s_wait_alu 0xfffd
	s_delay_alu instid0(VALU_DEP_3) | instskip(SKIP_3) | instid1(VALU_DEP_2)
	v_sub_co_ci_u32_e64 v5, null, v1, v5, vcc_lo
	v_sub_co_u32 v20, vcc_lo, v6, v10
	s_wait_alu 0xfffd
	v_sub_co_ci_u32_e64 v21, null, v7, v11, vcc_lo
	v_sub_co_u32 v6, vcc_lo, v4, v20
	s_wait_alu 0xfffd
	s_delay_alu instid0(VALU_DEP_2) | instskip(NEXT) | instid1(VALU_DEP_1)
	v_sub_co_ci_u32_e64 v7, null, v5, v21, vcc_lo
	v_cmpx_gt_i64_e64 s[4:5], v[6:7]
	s_cbranch_execz .LBB94_2
; %bb.12:                               ;   in Loop: Header=BB94_3 Depth=1
	s_load_b128 s[0:3], s[22:23], 0xc0
	s_and_not1_b32 vcc_lo, exec_lo, s33
	s_wait_kmcnt 0x0
	v_mul_lo_u32 v3, s3, v4
	v_mul_lo_u32 v10, s2, v5
	v_mad_co_u64_u32 v[6:7], null, s2, v4, 0
	s_delay_alu instid0(VALU_DEP_1) | instskip(SKIP_2) | instid1(VALU_DEP_3)
	v_add3_u32 v7, v7, v10, v3
	v_mul_lo_u32 v3, s0, v21
	v_mul_lo_u32 v10, s1, v20
	v_mad_co_u64_u32 v[6:7], null, s0, v20, v[6:7]
	s_delay_alu instid0(VALU_DEP_1)
	v_add3_u32 v7, v10, v7, v3
	s_wait_alu 0xfffe
	s_cbranch_vccnz .LBB94_38
; %bb.13:                               ;   in Loop: Header=BB94_3 Depth=1
	s_mov_b64 s[38:39], s[26:27]
	s_mov_b64 s[40:41], s[30:31]
	s_and_not1_b32 vcc_lo, exec_lo, s63
	s_mov_b64 s[44:45], s[28:29]
	s_mov_b64 s[42:43], s[20:21]
	s_wait_alu 0xfffe
	s_cbranch_vccz .LBB94_17
.LBB94_14:                              ;   in Loop: Header=BB94_3 Depth=1
	s_and_not1_b32 vcc_lo, exec_lo, s64
	s_wait_alu 0xfffe
	s_cbranch_vccnz .LBB94_38
; %bb.15:                               ;   in Loop: Header=BB94_3 Depth=1
	s_lshl_b64 s[0:1], s[42:43], 3
	s_add_nc_u64 s[42:43], s[42:43], 1
	s_wait_alu 0xfffe
	s_add_nc_u64 s[38:39], s[16:17], s[0:1]
	s_add_nc_u64 s[40:41], s[34:35], s[0:1]
	s_branch .LBB94_22
.LBB94_16:                              ;   in Loop: Header=BB94_17 Depth=2
	s_wait_alu 0xfffe
	s_or_b32 exec_lo, exec_lo, s0
	s_load_b64 s[0:1], s[44:45], 0x0
	v_mul_lo_u32 v3, v11, s46
	v_mul_lo_u32 v14, v10, s47
	v_mad_co_u64_u32 v[12:13], null, v10, s46, 0
	s_add_nc_u64 s[38:39], s[38:39], -1
	s_add_nc_u64 s[42:43], s[42:43], -1
	;; [unrolled: 1-line block ×3, first 2 shown]
	s_wait_alu 0xfffe
	s_cmp_lg_u64 s[38:39], 0
	s_add_nc_u64 s[40:41], s[40:41], -8
	v_add3_u32 v3, v13, v14, v3
	v_sub_co_u32 v8, vcc_lo, v8, v12
	s_wait_alu 0xfffd
	s_delay_alu instid0(VALU_DEP_2) | instskip(SKIP_1) | instid1(VALU_DEP_2)
	v_sub_co_ci_u32_e64 v3, null, v9, v3, vcc_lo
	s_wait_kmcnt 0x0
	v_mul_lo_u32 v9, s1, v8
	s_delay_alu instid0(VALU_DEP_2) | instskip(SKIP_1) | instid1(VALU_DEP_1)
	v_mul_lo_u32 v3, s0, v3
	v_mad_co_u64_u32 v[6:7], null, s0, v8, v[6:7]
	v_add3_u32 v7, v9, v7, v3
	v_dual_mov_b32 v8, v10 :: v_dual_mov_b32 v9, v11
	s_cbranch_scc0 .LBB94_14
.LBB94_17:                              ;   Parent Loop BB94_3 Depth=1
                                        ; =>  This Inner Loop Header: Depth=2
	s_load_b64 s[46:47], s[40:41], 0x0
                                        ; implicit-def: $vgpr10_vgpr11
	s_mov_b32 s0, exec_lo
	s_wait_kmcnt 0x0
	v_or_b32_e32 v3, s47, v9
	s_delay_alu instid0(VALU_DEP_1)
	v_cmpx_ne_u64_e32 0, v[2:3]
	s_wait_alu 0xfffe
	s_xor_b32 s1, exec_lo, s0
	s_cbranch_execz .LBB94_19
; %bb.18:                               ;   in Loop: Header=BB94_17 Depth=2
	s_ashr_i32 s48, s47, 31
	v_ashrrev_i32_e32 v3, 31, v9
	s_wait_alu 0xfffe
	s_mov_b32 s49, s48
	s_wait_alu 0xfffe
	s_add_nc_u64 s[50:51], s[46:47], s[48:49]
	v_add_co_u32 v10, vcc_lo, v8, v3
	s_wait_alu 0xfffe
	s_xor_b64 s[50:51], s[50:51], s[48:49]
	s_wait_alu 0xfffd
	v_add_co_ci_u32_e64 v11, null, v9, v3, vcc_lo
	s_wait_alu 0xfffe
	s_cvt_f32_u32 s0, s50
	s_cvt_f32_u32 s14, s51
	s_sub_nc_u64 s[54:55], 0, s[50:51]
	v_xor_b32_e32 v16, v10, v3
	v_xor_b32_e32 v17, v11, v3
	s_wait_alu 0xfffe
	s_fmamk_f32 s0, s14, 0x4f800000, s0
	v_xor_b32_e32 v3, s48, v3
	s_wait_alu 0xfffe
	s_delay_alu instid0(SALU_CYCLE_1) | instskip(NEXT) | instid1(TRANS32_DEP_1)
	v_s_rcp_f32 s0, s0
	s_mul_f32 s0, s0, 0x5f7ffffc
	s_wait_alu 0xfffe
	s_delay_alu instid0(SALU_CYCLE_2) | instskip(SKIP_1) | instid1(SALU_CYCLE_2)
	s_mul_f32 s14, s0, 0x2f800000
	s_wait_alu 0xfffe
	s_trunc_f32 s14, s14
	s_wait_alu 0xfffe
	s_delay_alu instid0(SALU_CYCLE_2) | instskip(SKIP_2) | instid1(SALU_CYCLE_1)
	s_fmamk_f32 s0, s14, 0xcf800000, s0
	s_cvt_u32_f32 s53, s14
	s_wait_alu 0xfffe
	s_cvt_u32_f32 s52, s0
	s_wait_alu 0xfffe
	s_delay_alu instid0(SALU_CYCLE_2)
	s_mul_u64 s[56:57], s[54:55], s[52:53]
	s_wait_alu 0xfffe
	s_mul_hi_u32 s59, s52, s57
	s_mul_i32 s58, s52, s57
	s_mul_hi_u32 s14, s52, s56
	s_mul_i32 s49, s53, s56
	s_wait_alu 0xfffe
	s_add_nc_u64 s[58:59], s[14:15], s[58:59]
	s_mul_hi_u32 s0, s53, s56
	s_mul_hi_u32 s60, s53, s57
	s_wait_alu 0xfffe
	s_add_co_u32 s14, s58, s49
	s_add_co_ci_u32 s14, s59, s0
	s_mul_i32 s56, s53, s57
	s_add_co_ci_u32 s57, s60, 0
	s_wait_alu 0xfffe
	s_add_nc_u64 s[56:57], s[14:15], s[56:57]
	s_wait_alu 0xfffe
	s_add_co_u32 s52, s52, s56
	s_cselect_b32 s0, -1, 0
	s_wait_alu 0xfffe
	s_cmp_lg_u32 s0, 0
	s_add_co_ci_u32 s53, s53, s57
	s_wait_alu 0xfffe
	s_mul_u64 s[54:55], s[54:55], s[52:53]
	s_wait_alu 0xfffe
	s_mul_hi_u32 s57, s52, s55
	s_mul_i32 s56, s52, s55
	s_mul_hi_u32 s14, s52, s54
	s_mul_i32 s49, s53, s54
	s_wait_alu 0xfffe
	s_add_nc_u64 s[56:57], s[14:15], s[56:57]
	s_mul_hi_u32 s0, s53, s54
	s_mul_hi_u32 s58, s53, s55
	s_wait_alu 0xfffe
	s_add_co_u32 s14, s56, s49
	s_add_co_ci_u32 s14, s57, s0
	s_mul_i32 s54, s53, s55
	s_add_co_ci_u32 s55, s58, 0
	s_wait_alu 0xfffe
	s_add_nc_u64 s[54:55], s[14:15], s[54:55]
	s_wait_alu 0xfffe
	s_add_co_u32 s0, s52, s54
	s_cselect_b32 s14, -1, 0
	s_wait_alu 0xfffe
	v_mul_hi_u32 v22, v16, s0
	s_cmp_lg_u32 s14, 0
	v_mad_co_u64_u32 v[12:13], null, v17, s0, 0
	s_add_co_ci_u32 s14, s53, s55
	s_wait_alu 0xfffe
	v_mad_co_u64_u32 v[10:11], null, v16, s14, 0
	v_mad_co_u64_u32 v[14:15], null, v17, s14, 0
	s_delay_alu instid0(VALU_DEP_2) | instskip(SKIP_1) | instid1(VALU_DEP_3)
	v_add_co_u32 v10, vcc_lo, v22, v10
	s_wait_alu 0xfffd
	v_add_co_ci_u32_e64 v11, null, 0, v11, vcc_lo
	s_delay_alu instid0(VALU_DEP_2) | instskip(SKIP_1) | instid1(VALU_DEP_2)
	v_add_co_u32 v10, vcc_lo, v10, v12
	s_wait_alu 0xfffd
	v_add_co_ci_u32_e32 v10, vcc_lo, v11, v13, vcc_lo
	s_wait_alu 0xfffd
	v_add_co_ci_u32_e32 v11, vcc_lo, 0, v15, vcc_lo
	s_delay_alu instid0(VALU_DEP_2) | instskip(SKIP_1) | instid1(VALU_DEP_2)
	v_add_co_u32 v12, vcc_lo, v10, v14
	s_wait_alu 0xfffd
	v_add_co_ci_u32_e64 v13, null, 0, v11, vcc_lo
	s_delay_alu instid0(VALU_DEP_2) | instskip(SKIP_1) | instid1(VALU_DEP_3)
	v_mul_lo_u32 v14, s51, v12
	v_mad_co_u64_u32 v[10:11], null, s50, v12, 0
	v_mul_lo_u32 v15, s50, v13
	s_delay_alu instid0(VALU_DEP_2) | instskip(NEXT) | instid1(VALU_DEP_2)
	v_sub_co_u32 v10, vcc_lo, v16, v10
	v_add3_u32 v11, v11, v15, v14
	v_add_co_u32 v15, s0, v12, 2
	s_wait_alu 0xf1ff
	v_add_co_ci_u32_e64 v16, null, 0, v13, s0
	s_delay_alu instid0(VALU_DEP_3) | instskip(SKIP_3) | instid1(VALU_DEP_3)
	v_sub_nc_u32_e32 v14, v17, v11
	v_sub_co_u32 v22, s0, v10, s50
	s_wait_alu 0xfffd
	v_sub_co_ci_u32_e64 v11, null, v17, v11, vcc_lo
	v_subrev_co_ci_u32_e64 v14, null, s51, v14, vcc_lo
	s_delay_alu instid0(VALU_DEP_3) | instskip(SKIP_1) | instid1(VALU_DEP_2)
	v_cmp_le_u32_e32 vcc_lo, s50, v22
	s_wait_alu 0xf1ff
	v_subrev_co_ci_u32_e64 v14, null, 0, v14, s0
	s_wait_alu 0xfffd
	v_cndmask_b32_e64 v17, 0, -1, vcc_lo
	s_delay_alu instid0(VALU_DEP_2)
	v_cmp_le_u32_e32 vcc_lo, s51, v14
	s_wait_alu 0xfffd
	v_cndmask_b32_e64 v22, 0, -1, vcc_lo
	v_cmp_le_u32_e32 vcc_lo, s50, v10
	s_wait_alu 0xfffd
	v_cndmask_b32_e64 v10, 0, -1, vcc_lo
	;; [unrolled: 3-line block ×3, first 2 shown]
	v_cmp_eq_u32_e32 vcc_lo, s51, v14
	s_wait_alu 0xfffd
	v_cndmask_b32_e32 v14, v22, v17, vcc_lo
	v_add_co_u32 v17, vcc_lo, v12, 1
	s_wait_alu 0xfffd
	v_add_co_ci_u32_e64 v22, null, 0, v13, vcc_lo
	v_cmp_eq_u32_e32 vcc_lo, s51, v11
	s_wait_alu 0xfffd
	v_cndmask_b32_e32 v10, v23, v10, vcc_lo
	v_cmp_ne_u32_e32 vcc_lo, 0, v14
	s_wait_alu 0xfffd
	v_cndmask_b32_e32 v11, v22, v16, vcc_lo
	s_delay_alu instid0(VALU_DEP_3) | instskip(SKIP_2) | instid1(VALU_DEP_2)
	v_cmp_ne_u32_e64 s0, 0, v10
	v_cndmask_b32_e32 v10, v17, v15, vcc_lo
	s_wait_alu 0xf1ff
	v_cndmask_b32_e64 v11, v13, v11, s0
	s_delay_alu instid0(VALU_DEP_2) | instskip(NEXT) | instid1(VALU_DEP_2)
	v_cndmask_b32_e64 v10, v12, v10, s0
	v_xor_b32_e32 v11, v11, v3
	s_delay_alu instid0(VALU_DEP_2) | instskip(NEXT) | instid1(VALU_DEP_1)
	v_xor_b32_e32 v10, v10, v3
	v_sub_co_u32 v10, vcc_lo, v10, v3
	s_wait_alu 0xfffd
	s_delay_alu instid0(VALU_DEP_3)
	v_sub_co_ci_u32_e64 v11, null, v11, v3, vcc_lo
.LBB94_19:                              ;   in Loop: Header=BB94_17 Depth=2
	s_wait_alu 0xfffe
	s_and_not1_saveexec_b32 s0, s1
	s_cbranch_execz .LBB94_16
; %bb.20:                               ;   in Loop: Header=BB94_17 Depth=2
	v_cvt_f32_u32_e32 v3, s46
	s_sub_co_i32 s1, 0, s46
	s_delay_alu instid0(VALU_DEP_1) | instskip(NEXT) | instid1(TRANS32_DEP_1)
	v_rcp_iflag_f32_e32 v3, v3
	v_mul_f32_e32 v3, 0x4f7ffffe, v3
	s_delay_alu instid0(VALU_DEP_1) | instskip(SKIP_1) | instid1(VALU_DEP_1)
	v_cvt_u32_f32_e32 v3, v3
	s_wait_alu 0xfffe
	v_mul_lo_u32 v10, s1, v3
	s_delay_alu instid0(VALU_DEP_1) | instskip(NEXT) | instid1(VALU_DEP_1)
	v_mul_hi_u32 v10, v3, v10
	v_add_nc_u32_e32 v3, v3, v10
	s_delay_alu instid0(VALU_DEP_1) | instskip(NEXT) | instid1(VALU_DEP_1)
	v_mul_hi_u32 v3, v8, v3
	v_mul_lo_u32 v10, v3, s46
	v_add_nc_u32_e32 v11, 1, v3
	s_delay_alu instid0(VALU_DEP_2) | instskip(NEXT) | instid1(VALU_DEP_1)
	v_sub_nc_u32_e32 v10, v8, v10
	v_subrev_nc_u32_e32 v12, s46, v10
	v_cmp_le_u32_e32 vcc_lo, s46, v10
	s_wait_alu 0xfffd
	s_delay_alu instid0(VALU_DEP_2) | instskip(NEXT) | instid1(VALU_DEP_1)
	v_dual_cndmask_b32 v10, v10, v12 :: v_dual_cndmask_b32 v3, v3, v11
	v_cmp_le_u32_e32 vcc_lo, s46, v10
	s_delay_alu instid0(VALU_DEP_2) | instskip(SKIP_1) | instid1(VALU_DEP_1)
	v_add_nc_u32_e32 v11, 1, v3
	s_wait_alu 0xfffd
	v_dual_cndmask_b32 v10, v3, v11 :: v_dual_mov_b32 v11, v2
	s_branch .LBB94_16
.LBB94_21:                              ;   in Loop: Header=BB94_22 Depth=2
	s_wait_alu 0xfffe
	s_or_b32 exec_lo, exec_lo, s0
	v_mul_lo_u32 v3, v11, s44
	v_mul_lo_u32 v26, v10, s45
	v_mad_co_u64_u32 v[22:23], null, v10, s44, 0
	v_mul_lo_u32 v27, v13, s48
	v_mul_lo_u32 v28, v12, s49
	v_mad_co_u64_u32 v[24:25], null, v12, s48, 0
	s_load_b64 s[0:1], s[38:39], 0x0
	s_add_nc_u64 s[42:43], s[42:43], -4
	v_add3_u32 v3, v23, v26, v3
	v_sub_co_u32 v8, vcc_lo, v8, v22
	v_mul_lo_u32 v22, v15, s52
	v_add3_u32 v23, v25, v28, v27
	s_wait_alu 0xfffd
	v_sub_co_ci_u32_e64 v3, null, v9, v3, vcc_lo
	v_mul_lo_u32 v25, s47, v8
	v_mad_co_u64_u32 v[6:7], null, s46, v8, v[6:7]
	s_delay_alu instid0(VALU_DEP_3)
	v_mul_lo_u32 v3, s46, v3
	v_mul_lo_u32 v26, v14, s53
	v_mad_co_u64_u32 v[8:9], null, v14, s52, 0
	v_sub_co_u32 v10, vcc_lo, v10, v24
	s_wait_alu 0xfffd
	v_sub_co_ci_u32_e64 v11, null, v11, v23, vcc_lo
	v_add3_u32 v7, v25, v7, v3
	s_add_nc_u64 s[38:39], s[38:39], s[18:19]
	s_delay_alu instid0(VALU_DEP_4)
	v_add3_u32 v3, v9, v26, v22
	v_mul_lo_u32 v22, s51, v10
	v_mul_lo_u32 v11, s50, v11
	v_mad_co_u64_u32 v[6:7], null, s50, v10, v[6:7]
	v_sub_co_u32 v10, vcc_lo, v12, v8
	s_wait_alu 0xfffd
	v_sub_co_ci_u32_e64 v3, null, v13, v3, vcc_lo
	v_mul_lo_u32 v12, v17, s56
	v_mul_lo_u32 v13, v16, s57
	v_mad_co_u64_u32 v[8:9], null, v16, s56, 0
	v_add3_u32 v7, v22, v7, v11
	v_mul_lo_u32 v3, s54, v3
	s_cmp_eq_u64 s[42:43], 0
	s_add_nc_u64 s[40:41], s[40:41], s[18:19]
	s_delay_alu instid0(VALU_DEP_2) | instskip(SKIP_4) | instid1(VALU_DEP_2)
	v_mad_co_u64_u32 v[6:7], null, s54, v10, v[6:7]
	v_mul_lo_u32 v10, s55, v10
	v_add3_u32 v9, v9, v13, v12
	v_sub_co_u32 v8, vcc_lo, v14, v8
	s_wait_alu 0xfffd
	v_sub_co_ci_u32_e64 v9, null, v15, v9, vcc_lo
	s_delay_alu instid0(VALU_DEP_4) | instskip(SKIP_1) | instid1(VALU_DEP_2)
	v_add3_u32 v7, v10, v7, v3
	s_wait_kmcnt 0x0
	v_mul_lo_u32 v3, s0, v9
	v_mul_lo_u32 v9, s1, v8
	s_delay_alu instid0(VALU_DEP_3) | instskip(NEXT) | instid1(VALU_DEP_1)
	v_mad_co_u64_u32 v[6:7], null, s0, v8, v[6:7]
	v_add3_u32 v7, v9, v7, v3
	v_dual_mov_b32 v8, v16 :: v_dual_mov_b32 v9, v17
	s_cbranch_scc1 .LBB94_38
.LBB94_22:                              ;   Parent Loop BB94_3 Depth=1
                                        ; =>  This Inner Loop Header: Depth=2
	s_load_b64 s[44:45], s[40:41], 0x18
                                        ; implicit-def: $vgpr10_vgpr11
	s_mov_b32 s0, exec_lo
	s_wait_kmcnt 0x0
	v_or_b32_e32 v3, s45, v9
	s_delay_alu instid0(VALU_DEP_1)
	v_cmpx_ne_u64_e32 0, v[2:3]
	s_wait_alu 0xfffe
	s_xor_b32 s1, exec_lo, s0
	s_cbranch_execz .LBB94_24
; %bb.23:                               ;   in Loop: Header=BB94_22 Depth=2
	s_ashr_i32 s46, s45, 31
	v_ashrrev_i32_e32 v3, 31, v9
	s_wait_alu 0xfffe
	s_mov_b32 s47, s46
	s_wait_alu 0xfffe
	s_add_nc_u64 s[48:49], s[44:45], s[46:47]
	v_add_co_u32 v10, vcc_lo, v8, v3
	s_wait_alu 0xfffe
	s_xor_b64 s[48:49], s[48:49], s[46:47]
	s_wait_alu 0xfffd
	v_add_co_ci_u32_e64 v11, null, v9, v3, vcc_lo
	s_wait_alu 0xfffe
	s_cvt_f32_u32 s0, s48
	s_cvt_f32_u32 s14, s49
	s_sub_nc_u64 s[52:53], 0, s[48:49]
	v_xor_b32_e32 v16, v10, v3
	v_xor_b32_e32 v17, v11, v3
	s_wait_alu 0xfffe
	s_fmamk_f32 s0, s14, 0x4f800000, s0
	v_xor_b32_e32 v3, s46, v3
	s_wait_alu 0xfffe
	s_delay_alu instid0(SALU_CYCLE_1) | instskip(NEXT) | instid1(TRANS32_DEP_1)
	v_s_rcp_f32 s0, s0
	s_mul_f32 s0, s0, 0x5f7ffffc
	s_wait_alu 0xfffe
	s_delay_alu instid0(SALU_CYCLE_2) | instskip(SKIP_1) | instid1(SALU_CYCLE_2)
	s_mul_f32 s14, s0, 0x2f800000
	s_wait_alu 0xfffe
	s_trunc_f32 s14, s14
	s_wait_alu 0xfffe
	s_delay_alu instid0(SALU_CYCLE_2) | instskip(SKIP_2) | instid1(SALU_CYCLE_1)
	s_fmamk_f32 s0, s14, 0xcf800000, s0
	s_cvt_u32_f32 s51, s14
	s_wait_alu 0xfffe
	s_cvt_u32_f32 s50, s0
	s_wait_alu 0xfffe
	s_delay_alu instid0(SALU_CYCLE_2)
	s_mul_u64 s[54:55], s[52:53], s[50:51]
	s_wait_alu 0xfffe
	s_mul_hi_u32 s57, s50, s55
	s_mul_i32 s56, s50, s55
	s_mul_hi_u32 s14, s50, s54
	s_mul_i32 s47, s51, s54
	s_wait_alu 0xfffe
	s_add_nc_u64 s[56:57], s[14:15], s[56:57]
	s_mul_hi_u32 s0, s51, s54
	s_mul_hi_u32 s58, s51, s55
	s_wait_alu 0xfffe
	s_add_co_u32 s14, s56, s47
	s_add_co_ci_u32 s14, s57, s0
	s_mul_i32 s54, s51, s55
	s_add_co_ci_u32 s55, s58, 0
	s_wait_alu 0xfffe
	s_add_nc_u64 s[54:55], s[14:15], s[54:55]
	s_wait_alu 0xfffe
	s_add_co_u32 s50, s50, s54
	s_cselect_b32 s0, -1, 0
	s_wait_alu 0xfffe
	s_cmp_lg_u32 s0, 0
	s_add_co_ci_u32 s51, s51, s55
	s_wait_alu 0xfffe
	s_mul_u64 s[52:53], s[52:53], s[50:51]
	s_wait_alu 0xfffe
	s_mul_hi_u32 s55, s50, s53
	s_mul_i32 s54, s50, s53
	s_mul_hi_u32 s14, s50, s52
	s_mul_i32 s47, s51, s52
	s_wait_alu 0xfffe
	s_add_nc_u64 s[54:55], s[14:15], s[54:55]
	s_mul_hi_u32 s0, s51, s52
	s_mul_hi_u32 s56, s51, s53
	s_wait_alu 0xfffe
	s_add_co_u32 s14, s54, s47
	s_add_co_ci_u32 s14, s55, s0
	s_mul_i32 s52, s51, s53
	s_add_co_ci_u32 s53, s56, 0
	s_wait_alu 0xfffe
	s_add_nc_u64 s[52:53], s[14:15], s[52:53]
	s_wait_alu 0xfffe
	s_add_co_u32 s0, s50, s52
	s_cselect_b32 s14, -1, 0
	s_wait_alu 0xfffe
	v_mul_hi_u32 v22, v16, s0
	s_cmp_lg_u32 s14, 0
	v_mad_co_u64_u32 v[12:13], null, v17, s0, 0
	s_add_co_ci_u32 s14, s51, s53
	s_wait_alu 0xfffe
	v_mad_co_u64_u32 v[10:11], null, v16, s14, 0
	v_mad_co_u64_u32 v[14:15], null, v17, s14, 0
	s_delay_alu instid0(VALU_DEP_2) | instskip(SKIP_1) | instid1(VALU_DEP_3)
	v_add_co_u32 v10, vcc_lo, v22, v10
	s_wait_alu 0xfffd
	v_add_co_ci_u32_e64 v11, null, 0, v11, vcc_lo
	s_delay_alu instid0(VALU_DEP_2) | instskip(SKIP_1) | instid1(VALU_DEP_2)
	v_add_co_u32 v10, vcc_lo, v10, v12
	s_wait_alu 0xfffd
	v_add_co_ci_u32_e32 v10, vcc_lo, v11, v13, vcc_lo
	s_wait_alu 0xfffd
	v_add_co_ci_u32_e32 v11, vcc_lo, 0, v15, vcc_lo
	s_delay_alu instid0(VALU_DEP_2) | instskip(SKIP_1) | instid1(VALU_DEP_2)
	v_add_co_u32 v12, vcc_lo, v10, v14
	s_wait_alu 0xfffd
	v_add_co_ci_u32_e64 v13, null, 0, v11, vcc_lo
	s_delay_alu instid0(VALU_DEP_2) | instskip(SKIP_1) | instid1(VALU_DEP_3)
	v_mul_lo_u32 v14, s49, v12
	v_mad_co_u64_u32 v[10:11], null, s48, v12, 0
	v_mul_lo_u32 v15, s48, v13
	s_delay_alu instid0(VALU_DEP_2) | instskip(NEXT) | instid1(VALU_DEP_2)
	v_sub_co_u32 v10, vcc_lo, v16, v10
	v_add3_u32 v11, v11, v15, v14
	v_add_co_u32 v15, s0, v12, 2
	s_wait_alu 0xf1ff
	v_add_co_ci_u32_e64 v16, null, 0, v13, s0
	s_delay_alu instid0(VALU_DEP_3) | instskip(SKIP_3) | instid1(VALU_DEP_3)
	v_sub_nc_u32_e32 v14, v17, v11
	v_sub_co_u32 v22, s0, v10, s48
	s_wait_alu 0xfffd
	v_sub_co_ci_u32_e64 v11, null, v17, v11, vcc_lo
	v_subrev_co_ci_u32_e64 v14, null, s49, v14, vcc_lo
	s_delay_alu instid0(VALU_DEP_3) | instskip(SKIP_1) | instid1(VALU_DEP_2)
	v_cmp_le_u32_e32 vcc_lo, s48, v22
	s_wait_alu 0xf1ff
	v_subrev_co_ci_u32_e64 v14, null, 0, v14, s0
	s_wait_alu 0xfffd
	v_cndmask_b32_e64 v17, 0, -1, vcc_lo
	s_delay_alu instid0(VALU_DEP_2)
	v_cmp_le_u32_e32 vcc_lo, s49, v14
	s_wait_alu 0xfffd
	v_cndmask_b32_e64 v22, 0, -1, vcc_lo
	v_cmp_le_u32_e32 vcc_lo, s48, v10
	s_wait_alu 0xfffd
	v_cndmask_b32_e64 v10, 0, -1, vcc_lo
	;; [unrolled: 3-line block ×3, first 2 shown]
	v_cmp_eq_u32_e32 vcc_lo, s49, v14
	s_wait_alu 0xfffd
	v_cndmask_b32_e32 v14, v22, v17, vcc_lo
	v_add_co_u32 v17, vcc_lo, v12, 1
	s_wait_alu 0xfffd
	v_add_co_ci_u32_e64 v22, null, 0, v13, vcc_lo
	v_cmp_eq_u32_e32 vcc_lo, s49, v11
	s_wait_alu 0xfffd
	v_cndmask_b32_e32 v10, v23, v10, vcc_lo
	v_cmp_ne_u32_e32 vcc_lo, 0, v14
	s_wait_alu 0xfffd
	v_cndmask_b32_e32 v11, v22, v16, vcc_lo
	s_delay_alu instid0(VALU_DEP_3) | instskip(SKIP_2) | instid1(VALU_DEP_2)
	v_cmp_ne_u32_e64 s0, 0, v10
	v_cndmask_b32_e32 v10, v17, v15, vcc_lo
	s_wait_alu 0xf1ff
	v_cndmask_b32_e64 v11, v13, v11, s0
	s_delay_alu instid0(VALU_DEP_2) | instskip(NEXT) | instid1(VALU_DEP_2)
	v_cndmask_b32_e64 v10, v12, v10, s0
	v_xor_b32_e32 v11, v11, v3
	s_delay_alu instid0(VALU_DEP_2) | instskip(NEXT) | instid1(VALU_DEP_1)
	v_xor_b32_e32 v10, v10, v3
	v_sub_co_u32 v10, vcc_lo, v10, v3
	s_wait_alu 0xfffd
	s_delay_alu instid0(VALU_DEP_3)
	v_sub_co_ci_u32_e64 v11, null, v11, v3, vcc_lo
.LBB94_24:                              ;   in Loop: Header=BB94_22 Depth=2
	s_wait_alu 0xfffe
	s_and_not1_saveexec_b32 s0, s1
	s_cbranch_execz .LBB94_26
; %bb.25:                               ;   in Loop: Header=BB94_22 Depth=2
	v_cvt_f32_u32_e32 v3, s44
	s_sub_co_i32 s1, 0, s44
	s_delay_alu instid0(VALU_DEP_1) | instskip(NEXT) | instid1(TRANS32_DEP_1)
	v_rcp_iflag_f32_e32 v3, v3
	v_mul_f32_e32 v3, 0x4f7ffffe, v3
	s_delay_alu instid0(VALU_DEP_1) | instskip(SKIP_1) | instid1(VALU_DEP_1)
	v_cvt_u32_f32_e32 v3, v3
	s_wait_alu 0xfffe
	v_mul_lo_u32 v10, s1, v3
	s_delay_alu instid0(VALU_DEP_1) | instskip(NEXT) | instid1(VALU_DEP_1)
	v_mul_hi_u32 v10, v3, v10
	v_add_nc_u32_e32 v3, v3, v10
	s_delay_alu instid0(VALU_DEP_1) | instskip(NEXT) | instid1(VALU_DEP_1)
	v_mul_hi_u32 v3, v8, v3
	v_mul_lo_u32 v10, v3, s44
	v_add_nc_u32_e32 v11, 1, v3
	s_delay_alu instid0(VALU_DEP_2) | instskip(NEXT) | instid1(VALU_DEP_1)
	v_sub_nc_u32_e32 v10, v8, v10
	v_subrev_nc_u32_e32 v12, s44, v10
	v_cmp_le_u32_e32 vcc_lo, s44, v10
	s_wait_alu 0xfffd
	s_delay_alu instid0(VALU_DEP_2) | instskip(NEXT) | instid1(VALU_DEP_1)
	v_dual_cndmask_b32 v10, v10, v12 :: v_dual_cndmask_b32 v3, v3, v11
	v_cmp_le_u32_e32 vcc_lo, s44, v10
	s_delay_alu instid0(VALU_DEP_2) | instskip(SKIP_1) | instid1(VALU_DEP_1)
	v_add_nc_u32_e32 v11, 1, v3
	s_wait_alu 0xfffd
	v_dual_cndmask_b32 v10, v3, v11 :: v_dual_mov_b32 v11, v2
.LBB94_26:                              ;   in Loop: Header=BB94_22 Depth=2
	s_wait_alu 0xfffe
	s_or_b32 exec_lo, exec_lo, s0
	s_load_b64 s[48:49], s[40:41], 0x10
	s_load_b64 s[46:47], s[38:39], 0x18
                                        ; implicit-def: $vgpr12_vgpr13
	s_mov_b32 s0, exec_lo
	s_wait_kmcnt 0x0
	v_or_b32_e32 v3, s49, v11
	s_delay_alu instid0(VALU_DEP_1)
	v_cmpx_ne_u64_e32 0, v[2:3]
	s_wait_alu 0xfffe
	s_xor_b32 s1, exec_lo, s0
	s_cbranch_execz .LBB94_28
; %bb.27:                               ;   in Loop: Header=BB94_22 Depth=2
	s_ashr_i32 s50, s49, 31
	v_ashrrev_i32_e32 v3, 31, v11
	s_wait_alu 0xfffe
	s_mov_b32 s51, s50
	s_wait_alu 0xfffe
	s_add_nc_u64 s[52:53], s[48:49], s[50:51]
	v_add_co_u32 v12, vcc_lo, v10, v3
	s_wait_alu 0xfffe
	s_xor_b64 s[52:53], s[52:53], s[50:51]
	s_wait_alu 0xfffd
	v_add_co_ci_u32_e64 v13, null, v11, v3, vcc_lo
	s_wait_alu 0xfffe
	s_cvt_f32_u32 s0, s52
	s_cvt_f32_u32 s14, s53
	s_sub_nc_u64 s[56:57], 0, s[52:53]
	v_xor_b32_e32 v22, v12, v3
	v_xor_b32_e32 v23, v13, v3
	s_wait_alu 0xfffe
	s_fmamk_f32 s0, s14, 0x4f800000, s0
	v_xor_b32_e32 v3, s50, v3
	s_wait_alu 0xfffe
	s_delay_alu instid0(SALU_CYCLE_1) | instskip(NEXT) | instid1(TRANS32_DEP_1)
	v_s_rcp_f32 s0, s0
	s_mul_f32 s0, s0, 0x5f7ffffc
	s_wait_alu 0xfffe
	s_delay_alu instid0(SALU_CYCLE_2) | instskip(SKIP_1) | instid1(SALU_CYCLE_2)
	s_mul_f32 s14, s0, 0x2f800000
	s_wait_alu 0xfffe
	s_trunc_f32 s14, s14
	s_wait_alu 0xfffe
	s_delay_alu instid0(SALU_CYCLE_2) | instskip(SKIP_2) | instid1(SALU_CYCLE_1)
	s_fmamk_f32 s0, s14, 0xcf800000, s0
	s_cvt_u32_f32 s55, s14
	s_wait_alu 0xfffe
	s_cvt_u32_f32 s54, s0
	s_wait_alu 0xfffe
	s_delay_alu instid0(SALU_CYCLE_2)
	s_mul_u64 s[58:59], s[56:57], s[54:55]
	s_wait_alu 0xfffe
	s_mul_hi_u32 s61, s54, s59
	s_mul_i32 s60, s54, s59
	s_mul_hi_u32 s14, s54, s58
	s_mul_i32 s51, s55, s58
	s_wait_alu 0xfffe
	s_add_nc_u64 s[60:61], s[14:15], s[60:61]
	s_mul_hi_u32 s0, s55, s58
	s_mul_hi_u32 s66, s55, s59
	s_wait_alu 0xfffe
	s_add_co_u32 s14, s60, s51
	s_add_co_ci_u32 s14, s61, s0
	s_mul_i32 s58, s55, s59
	s_add_co_ci_u32 s59, s66, 0
	s_wait_alu 0xfffe
	s_add_nc_u64 s[58:59], s[14:15], s[58:59]
	s_wait_alu 0xfffe
	s_add_co_u32 s54, s54, s58
	s_cselect_b32 s0, -1, 0
	s_wait_alu 0xfffe
	s_cmp_lg_u32 s0, 0
	s_add_co_ci_u32 s55, s55, s59
	s_wait_alu 0xfffe
	s_mul_u64 s[56:57], s[56:57], s[54:55]
	s_wait_alu 0xfffe
	s_mul_hi_u32 s59, s54, s57
	s_mul_i32 s58, s54, s57
	s_mul_hi_u32 s14, s54, s56
	s_mul_i32 s51, s55, s56
	s_wait_alu 0xfffe
	s_add_nc_u64 s[58:59], s[14:15], s[58:59]
	s_mul_hi_u32 s0, s55, s56
	s_mul_hi_u32 s60, s55, s57
	s_wait_alu 0xfffe
	s_add_co_u32 s14, s58, s51
	s_add_co_ci_u32 s14, s59, s0
	s_mul_i32 s56, s55, s57
	s_add_co_ci_u32 s57, s60, 0
	s_wait_alu 0xfffe
	s_add_nc_u64 s[56:57], s[14:15], s[56:57]
	s_wait_alu 0xfffe
	s_add_co_u32 s0, s54, s56
	s_cselect_b32 s14, -1, 0
	s_wait_alu 0xfffe
	v_mul_hi_u32 v24, v22, s0
	s_cmp_lg_u32 s14, 0
	v_mad_co_u64_u32 v[14:15], null, v23, s0, 0
	s_add_co_ci_u32 s14, s55, s57
	s_wait_alu 0xfffe
	v_mad_co_u64_u32 v[12:13], null, v22, s14, 0
	v_mad_co_u64_u32 v[16:17], null, v23, s14, 0
	s_delay_alu instid0(VALU_DEP_2) | instskip(SKIP_1) | instid1(VALU_DEP_3)
	v_add_co_u32 v12, vcc_lo, v24, v12
	s_wait_alu 0xfffd
	v_add_co_ci_u32_e64 v13, null, 0, v13, vcc_lo
	s_delay_alu instid0(VALU_DEP_2) | instskip(SKIP_1) | instid1(VALU_DEP_2)
	v_add_co_u32 v12, vcc_lo, v12, v14
	s_wait_alu 0xfffd
	v_add_co_ci_u32_e32 v12, vcc_lo, v13, v15, vcc_lo
	s_wait_alu 0xfffd
	v_add_co_ci_u32_e32 v13, vcc_lo, 0, v17, vcc_lo
	s_delay_alu instid0(VALU_DEP_2) | instskip(SKIP_1) | instid1(VALU_DEP_2)
	v_add_co_u32 v14, vcc_lo, v12, v16
	s_wait_alu 0xfffd
	v_add_co_ci_u32_e64 v15, null, 0, v13, vcc_lo
	s_delay_alu instid0(VALU_DEP_2) | instskip(SKIP_1) | instid1(VALU_DEP_3)
	v_mul_lo_u32 v16, s53, v14
	v_mad_co_u64_u32 v[12:13], null, s52, v14, 0
	v_mul_lo_u32 v17, s52, v15
	s_delay_alu instid0(VALU_DEP_2) | instskip(NEXT) | instid1(VALU_DEP_2)
	v_sub_co_u32 v12, vcc_lo, v22, v12
	v_add3_u32 v13, v13, v17, v16
	v_add_co_u32 v17, s0, v14, 2
	s_wait_alu 0xf1ff
	v_add_co_ci_u32_e64 v22, null, 0, v15, s0
	s_delay_alu instid0(VALU_DEP_3) | instskip(SKIP_3) | instid1(VALU_DEP_3)
	v_sub_nc_u32_e32 v16, v23, v13
	v_sub_co_u32 v24, s0, v12, s52
	s_wait_alu 0xfffd
	v_sub_co_ci_u32_e64 v13, null, v23, v13, vcc_lo
	v_subrev_co_ci_u32_e64 v16, null, s53, v16, vcc_lo
	s_delay_alu instid0(VALU_DEP_3) | instskip(SKIP_1) | instid1(VALU_DEP_2)
	v_cmp_le_u32_e32 vcc_lo, s52, v24
	s_wait_alu 0xf1ff
	v_subrev_co_ci_u32_e64 v16, null, 0, v16, s0
	s_wait_alu 0xfffd
	v_cndmask_b32_e64 v23, 0, -1, vcc_lo
	s_delay_alu instid0(VALU_DEP_2)
	v_cmp_le_u32_e32 vcc_lo, s53, v16
	s_wait_alu 0xfffd
	v_cndmask_b32_e64 v24, 0, -1, vcc_lo
	v_cmp_le_u32_e32 vcc_lo, s52, v12
	s_wait_alu 0xfffd
	v_cndmask_b32_e64 v12, 0, -1, vcc_lo
	v_cmp_le_u32_e32 vcc_lo, s53, v13
	s_wait_alu 0xfffd
	v_cndmask_b32_e64 v25, 0, -1, vcc_lo
	v_cmp_eq_u32_e32 vcc_lo, s53, v16
	s_wait_alu 0xfffd
	v_cndmask_b32_e32 v16, v24, v23, vcc_lo
	v_add_co_u32 v23, vcc_lo, v14, 1
	s_wait_alu 0xfffd
	v_add_co_ci_u32_e64 v24, null, 0, v15, vcc_lo
	v_cmp_eq_u32_e32 vcc_lo, s53, v13
	s_wait_alu 0xfffd
	v_cndmask_b32_e32 v12, v25, v12, vcc_lo
	v_cmp_ne_u32_e32 vcc_lo, 0, v16
	s_wait_alu 0xfffd
	v_cndmask_b32_e32 v13, v24, v22, vcc_lo
	s_delay_alu instid0(VALU_DEP_3) | instskip(SKIP_2) | instid1(VALU_DEP_2)
	v_cmp_ne_u32_e64 s0, 0, v12
	v_cndmask_b32_e32 v12, v23, v17, vcc_lo
	s_wait_alu 0xf1ff
	v_cndmask_b32_e64 v13, v15, v13, s0
	s_delay_alu instid0(VALU_DEP_2) | instskip(NEXT) | instid1(VALU_DEP_2)
	v_cndmask_b32_e64 v12, v14, v12, s0
	v_xor_b32_e32 v13, v13, v3
	s_delay_alu instid0(VALU_DEP_2) | instskip(NEXT) | instid1(VALU_DEP_1)
	v_xor_b32_e32 v12, v12, v3
	v_sub_co_u32 v12, vcc_lo, v12, v3
	s_wait_alu 0xfffd
	s_delay_alu instid0(VALU_DEP_3)
	v_sub_co_ci_u32_e64 v13, null, v13, v3, vcc_lo
.LBB94_28:                              ;   in Loop: Header=BB94_22 Depth=2
	s_wait_alu 0xfffe
	s_and_not1_saveexec_b32 s0, s1
	s_cbranch_execz .LBB94_30
; %bb.29:                               ;   in Loop: Header=BB94_22 Depth=2
	v_cvt_f32_u32_e32 v3, s48
	s_sub_co_i32 s1, 0, s48
	s_delay_alu instid0(VALU_DEP_1) | instskip(NEXT) | instid1(TRANS32_DEP_1)
	v_rcp_iflag_f32_e32 v3, v3
	v_mul_f32_e32 v3, 0x4f7ffffe, v3
	s_delay_alu instid0(VALU_DEP_1) | instskip(SKIP_1) | instid1(VALU_DEP_1)
	v_cvt_u32_f32_e32 v3, v3
	s_wait_alu 0xfffe
	v_mul_lo_u32 v12, s1, v3
	s_delay_alu instid0(VALU_DEP_1) | instskip(NEXT) | instid1(VALU_DEP_1)
	v_mul_hi_u32 v12, v3, v12
	v_add_nc_u32_e32 v3, v3, v12
	s_delay_alu instid0(VALU_DEP_1) | instskip(NEXT) | instid1(VALU_DEP_1)
	v_mul_hi_u32 v3, v10, v3
	v_mul_lo_u32 v12, v3, s48
	v_add_nc_u32_e32 v13, 1, v3
	s_delay_alu instid0(VALU_DEP_2) | instskip(NEXT) | instid1(VALU_DEP_1)
	v_sub_nc_u32_e32 v12, v10, v12
	v_subrev_nc_u32_e32 v14, s48, v12
	v_cmp_le_u32_e32 vcc_lo, s48, v12
	s_wait_alu 0xfffd
	s_delay_alu instid0(VALU_DEP_2) | instskip(NEXT) | instid1(VALU_DEP_1)
	v_dual_cndmask_b32 v12, v12, v14 :: v_dual_cndmask_b32 v3, v3, v13
	v_cmp_le_u32_e32 vcc_lo, s48, v12
	s_delay_alu instid0(VALU_DEP_2) | instskip(SKIP_1) | instid1(VALU_DEP_1)
	v_add_nc_u32_e32 v13, 1, v3
	s_wait_alu 0xfffd
	v_dual_cndmask_b32 v12, v3, v13 :: v_dual_mov_b32 v13, v2
.LBB94_30:                              ;   in Loop: Header=BB94_22 Depth=2
	s_wait_alu 0xfffe
	s_or_b32 exec_lo, exec_lo, s0
	s_load_b64 s[52:53], s[40:41], 0x8
	s_load_b64 s[50:51], s[38:39], 0x10
                                        ; implicit-def: $vgpr14_vgpr15
	s_mov_b32 s0, exec_lo
	s_wait_kmcnt 0x0
	v_or_b32_e32 v3, s53, v13
	s_delay_alu instid0(VALU_DEP_1)
	v_cmpx_ne_u64_e32 0, v[2:3]
	s_wait_alu 0xfffe
	s_xor_b32 s1, exec_lo, s0
	s_cbranch_execz .LBB94_32
; %bb.31:                               ;   in Loop: Header=BB94_22 Depth=2
	s_ashr_i32 s54, s53, 31
	v_ashrrev_i32_e32 v3, 31, v13
	s_wait_alu 0xfffe
	s_mov_b32 s55, s54
	s_wait_alu 0xfffe
	s_add_nc_u64 s[56:57], s[52:53], s[54:55]
	v_add_co_u32 v14, vcc_lo, v12, v3
	s_wait_alu 0xfffe
	s_xor_b64 s[56:57], s[56:57], s[54:55]
	s_wait_alu 0xfffd
	v_add_co_ci_u32_e64 v15, null, v13, v3, vcc_lo
	s_wait_alu 0xfffe
	s_cvt_f32_u32 s0, s56
	s_cvt_f32_u32 s14, s57
	s_sub_nc_u64 s[60:61], 0, s[56:57]
	v_xor_b32_e32 v24, v14, v3
	v_xor_b32_e32 v25, v15, v3
	s_wait_alu 0xfffe
	s_fmamk_f32 s0, s14, 0x4f800000, s0
	v_xor_b32_e32 v3, s54, v3
	s_wait_alu 0xfffe
	s_delay_alu instid0(SALU_CYCLE_1) | instskip(NEXT) | instid1(TRANS32_DEP_1)
	v_s_rcp_f32 s0, s0
	s_mul_f32 s0, s0, 0x5f7ffffc
	s_wait_alu 0xfffe
	s_delay_alu instid0(SALU_CYCLE_2) | instskip(SKIP_1) | instid1(SALU_CYCLE_2)
	s_mul_f32 s14, s0, 0x2f800000
	s_wait_alu 0xfffe
	s_trunc_f32 s14, s14
	s_wait_alu 0xfffe
	s_delay_alu instid0(SALU_CYCLE_2) | instskip(SKIP_2) | instid1(SALU_CYCLE_1)
	s_fmamk_f32 s0, s14, 0xcf800000, s0
	s_cvt_u32_f32 s59, s14
	s_wait_alu 0xfffe
	s_cvt_u32_f32 s58, s0
	s_wait_alu 0xfffe
	s_delay_alu instid0(SALU_CYCLE_2) | instskip(NEXT) | instid1(SALU_CYCLE_1)
	s_mul_u64 s[66:67], s[60:61], s[58:59]
	s_mul_hi_u32 s69, s58, s67
	s_mul_i32 s68, s58, s67
	s_mul_hi_u32 s14, s58, s66
	s_mul_i32 s55, s59, s66
	s_wait_alu 0xfffe
	s_add_nc_u64 s[68:69], s[14:15], s[68:69]
	s_mul_hi_u32 s0, s59, s66
	s_mul_hi_u32 s70, s59, s67
	s_add_co_u32 s14, s68, s55
	s_wait_alu 0xfffe
	s_add_co_ci_u32 s14, s69, s0
	s_mul_i32 s66, s59, s67
	s_add_co_ci_u32 s67, s70, 0
	s_wait_alu 0xfffe
	s_add_nc_u64 s[66:67], s[14:15], s[66:67]
	s_delay_alu instid0(SALU_CYCLE_1)
	s_add_co_u32 s58, s58, s66
	s_cselect_b32 s0, -1, 0
	s_wait_alu 0xfffe
	s_cmp_lg_u32 s0, 0
	s_add_co_ci_u32 s59, s59, s67
	s_wait_alu 0xfffe
	s_mul_u64 s[60:61], s[60:61], s[58:59]
	s_wait_alu 0xfffe
	s_mul_hi_u32 s67, s58, s61
	s_mul_i32 s66, s58, s61
	s_mul_hi_u32 s14, s58, s60
	s_mul_i32 s55, s59, s60
	s_wait_alu 0xfffe
	s_add_nc_u64 s[66:67], s[14:15], s[66:67]
	s_mul_hi_u32 s0, s59, s60
	s_mul_hi_u32 s68, s59, s61
	s_add_co_u32 s14, s66, s55
	s_wait_alu 0xfffe
	s_add_co_ci_u32 s14, s67, s0
	s_mul_i32 s60, s59, s61
	s_add_co_ci_u32 s61, s68, 0
	s_wait_alu 0xfffe
	s_add_nc_u64 s[60:61], s[14:15], s[60:61]
	s_wait_alu 0xfffe
	s_add_co_u32 s0, s58, s60
	s_cselect_b32 s14, -1, 0
	s_wait_alu 0xfffe
	v_mul_hi_u32 v26, v24, s0
	s_cmp_lg_u32 s14, 0
	v_mad_co_u64_u32 v[16:17], null, v25, s0, 0
	s_add_co_ci_u32 s14, s59, s61
	s_wait_alu 0xfffe
	v_mad_co_u64_u32 v[14:15], null, v24, s14, 0
	v_mad_co_u64_u32 v[22:23], null, v25, s14, 0
	s_delay_alu instid0(VALU_DEP_2) | instskip(SKIP_1) | instid1(VALU_DEP_3)
	v_add_co_u32 v14, vcc_lo, v26, v14
	s_wait_alu 0xfffd
	v_add_co_ci_u32_e64 v15, null, 0, v15, vcc_lo
	s_delay_alu instid0(VALU_DEP_2) | instskip(SKIP_1) | instid1(VALU_DEP_2)
	v_add_co_u32 v14, vcc_lo, v14, v16
	s_wait_alu 0xfffd
	v_add_co_ci_u32_e32 v14, vcc_lo, v15, v17, vcc_lo
	s_wait_alu 0xfffd
	v_add_co_ci_u32_e32 v15, vcc_lo, 0, v23, vcc_lo
	s_delay_alu instid0(VALU_DEP_2) | instskip(SKIP_1) | instid1(VALU_DEP_2)
	v_add_co_u32 v16, vcc_lo, v14, v22
	s_wait_alu 0xfffd
	v_add_co_ci_u32_e64 v17, null, 0, v15, vcc_lo
	s_delay_alu instid0(VALU_DEP_2) | instskip(SKIP_1) | instid1(VALU_DEP_3)
	v_mul_lo_u32 v22, s57, v16
	v_mad_co_u64_u32 v[14:15], null, s56, v16, 0
	v_mul_lo_u32 v23, s56, v17
	s_delay_alu instid0(VALU_DEP_2) | instskip(NEXT) | instid1(VALU_DEP_2)
	v_sub_co_u32 v14, vcc_lo, v24, v14
	v_add3_u32 v15, v15, v23, v22
	v_add_co_u32 v23, s0, v16, 2
	s_wait_alu 0xf1ff
	v_add_co_ci_u32_e64 v24, null, 0, v17, s0
	s_delay_alu instid0(VALU_DEP_3) | instskip(SKIP_3) | instid1(VALU_DEP_3)
	v_sub_nc_u32_e32 v22, v25, v15
	v_sub_co_u32 v26, s0, v14, s56
	s_wait_alu 0xfffd
	v_sub_co_ci_u32_e64 v15, null, v25, v15, vcc_lo
	v_subrev_co_ci_u32_e64 v22, null, s57, v22, vcc_lo
	s_delay_alu instid0(VALU_DEP_3) | instskip(SKIP_1) | instid1(VALU_DEP_2)
	v_cmp_le_u32_e32 vcc_lo, s56, v26
	s_wait_alu 0xf1ff
	v_subrev_co_ci_u32_e64 v22, null, 0, v22, s0
	s_wait_alu 0xfffd
	v_cndmask_b32_e64 v25, 0, -1, vcc_lo
	s_delay_alu instid0(VALU_DEP_2)
	v_cmp_le_u32_e32 vcc_lo, s57, v22
	s_wait_alu 0xfffd
	v_cndmask_b32_e64 v26, 0, -1, vcc_lo
	v_cmp_le_u32_e32 vcc_lo, s56, v14
	s_wait_alu 0xfffd
	v_cndmask_b32_e64 v14, 0, -1, vcc_lo
	;; [unrolled: 3-line block ×3, first 2 shown]
	v_cmp_eq_u32_e32 vcc_lo, s57, v22
	s_wait_alu 0xfffd
	v_cndmask_b32_e32 v22, v26, v25, vcc_lo
	v_add_co_u32 v25, vcc_lo, v16, 1
	s_wait_alu 0xfffd
	v_add_co_ci_u32_e64 v26, null, 0, v17, vcc_lo
	v_cmp_eq_u32_e32 vcc_lo, s57, v15
	s_wait_alu 0xfffd
	v_cndmask_b32_e32 v14, v27, v14, vcc_lo
	v_cmp_ne_u32_e32 vcc_lo, 0, v22
	s_wait_alu 0xfffd
	v_cndmask_b32_e32 v15, v26, v24, vcc_lo
	s_delay_alu instid0(VALU_DEP_3) | instskip(SKIP_2) | instid1(VALU_DEP_2)
	v_cmp_ne_u32_e64 s0, 0, v14
	v_cndmask_b32_e32 v14, v25, v23, vcc_lo
	s_wait_alu 0xf1ff
	v_cndmask_b32_e64 v15, v17, v15, s0
	s_delay_alu instid0(VALU_DEP_2) | instskip(NEXT) | instid1(VALU_DEP_2)
	v_cndmask_b32_e64 v14, v16, v14, s0
	v_xor_b32_e32 v15, v15, v3
	s_delay_alu instid0(VALU_DEP_2) | instskip(NEXT) | instid1(VALU_DEP_1)
	v_xor_b32_e32 v14, v14, v3
	v_sub_co_u32 v14, vcc_lo, v14, v3
	s_wait_alu 0xfffd
	s_delay_alu instid0(VALU_DEP_3)
	v_sub_co_ci_u32_e64 v15, null, v15, v3, vcc_lo
.LBB94_32:                              ;   in Loop: Header=BB94_22 Depth=2
	s_wait_alu 0xfffe
	s_and_not1_saveexec_b32 s0, s1
	s_cbranch_execz .LBB94_34
; %bb.33:                               ;   in Loop: Header=BB94_22 Depth=2
	v_cvt_f32_u32_e32 v3, s52
	s_sub_co_i32 s1, 0, s52
	s_delay_alu instid0(VALU_DEP_1) | instskip(NEXT) | instid1(TRANS32_DEP_1)
	v_rcp_iflag_f32_e32 v3, v3
	v_mul_f32_e32 v3, 0x4f7ffffe, v3
	s_delay_alu instid0(VALU_DEP_1) | instskip(SKIP_1) | instid1(VALU_DEP_1)
	v_cvt_u32_f32_e32 v3, v3
	s_wait_alu 0xfffe
	v_mul_lo_u32 v14, s1, v3
	s_delay_alu instid0(VALU_DEP_1) | instskip(NEXT) | instid1(VALU_DEP_1)
	v_mul_hi_u32 v14, v3, v14
	v_add_nc_u32_e32 v3, v3, v14
	s_delay_alu instid0(VALU_DEP_1) | instskip(NEXT) | instid1(VALU_DEP_1)
	v_mul_hi_u32 v3, v12, v3
	v_mul_lo_u32 v14, v3, s52
	v_add_nc_u32_e32 v15, 1, v3
	s_delay_alu instid0(VALU_DEP_2) | instskip(NEXT) | instid1(VALU_DEP_1)
	v_sub_nc_u32_e32 v14, v12, v14
	v_subrev_nc_u32_e32 v16, s52, v14
	v_cmp_le_u32_e32 vcc_lo, s52, v14
	s_wait_alu 0xfffd
	s_delay_alu instid0(VALU_DEP_2) | instskip(NEXT) | instid1(VALU_DEP_1)
	v_dual_cndmask_b32 v14, v14, v16 :: v_dual_cndmask_b32 v3, v3, v15
	v_cmp_le_u32_e32 vcc_lo, s52, v14
	s_delay_alu instid0(VALU_DEP_2) | instskip(SKIP_1) | instid1(VALU_DEP_1)
	v_add_nc_u32_e32 v15, 1, v3
	s_wait_alu 0xfffd
	v_dual_cndmask_b32 v14, v3, v15 :: v_dual_mov_b32 v15, v2
.LBB94_34:                              ;   in Loop: Header=BB94_22 Depth=2
	s_wait_alu 0xfffe
	s_or_b32 exec_lo, exec_lo, s0
	s_load_b64 s[56:57], s[40:41], 0x0
	s_load_b64 s[54:55], s[38:39], 0x8
                                        ; implicit-def: $vgpr16_vgpr17
	s_mov_b32 s0, exec_lo
	s_wait_kmcnt 0x0
	v_or_b32_e32 v3, s57, v15
	s_delay_alu instid0(VALU_DEP_1)
	v_cmpx_ne_u64_e32 0, v[2:3]
	s_wait_alu 0xfffe
	s_xor_b32 s1, exec_lo, s0
	s_cbranch_execz .LBB94_36
; %bb.35:                               ;   in Loop: Header=BB94_22 Depth=2
	s_ashr_i32 s58, s57, 31
	v_ashrrev_i32_e32 v3, 31, v15
	s_wait_alu 0xfffe
	s_mov_b32 s59, s58
	s_wait_alu 0xfffe
	s_add_nc_u64 s[60:61], s[56:57], s[58:59]
	v_add_co_u32 v16, vcc_lo, v14, v3
	s_wait_alu 0xfffe
	s_xor_b64 s[60:61], s[60:61], s[58:59]
	s_wait_alu 0xfffd
	v_add_co_ci_u32_e64 v17, null, v15, v3, vcc_lo
	s_wait_alu 0xfffe
	s_cvt_f32_u32 s0, s60
	s_cvt_f32_u32 s14, s61
	s_sub_nc_u64 s[68:69], 0, s[60:61]
	v_xor_b32_e32 v26, v16, v3
	v_xor_b32_e32 v27, v17, v3
	s_wait_alu 0xfffe
	s_fmamk_f32 s0, s14, 0x4f800000, s0
	v_xor_b32_e32 v3, s58, v3
	s_wait_alu 0xfffe
	s_delay_alu instid0(SALU_CYCLE_1) | instskip(NEXT) | instid1(TRANS32_DEP_1)
	v_s_rcp_f32 s0, s0
	s_mul_f32 s0, s0, 0x5f7ffffc
	s_wait_alu 0xfffe
	s_delay_alu instid0(SALU_CYCLE_2) | instskip(SKIP_1) | instid1(SALU_CYCLE_2)
	s_mul_f32 s14, s0, 0x2f800000
	s_wait_alu 0xfffe
	s_trunc_f32 s14, s14
	s_wait_alu 0xfffe
	s_delay_alu instid0(SALU_CYCLE_2) | instskip(SKIP_2) | instid1(SALU_CYCLE_1)
	s_fmamk_f32 s0, s14, 0xcf800000, s0
	s_cvt_u32_f32 s67, s14
	s_wait_alu 0xfffe
	s_cvt_u32_f32 s66, s0
	s_delay_alu instid0(SALU_CYCLE_3) | instskip(NEXT) | instid1(SALU_CYCLE_1)
	s_mul_u64 s[70:71], s[68:69], s[66:67]
	s_mul_hi_u32 s73, s66, s71
	s_mul_i32 s72, s66, s71
	s_mul_hi_u32 s14, s66, s70
	s_mul_i32 s59, s67, s70
	s_wait_alu 0xfffe
	s_add_nc_u64 s[72:73], s[14:15], s[72:73]
	s_mul_hi_u32 s0, s67, s70
	s_mul_hi_u32 s74, s67, s71
	s_add_co_u32 s14, s72, s59
	s_wait_alu 0xfffe
	s_add_co_ci_u32 s14, s73, s0
	s_mul_i32 s70, s67, s71
	s_add_co_ci_u32 s71, s74, 0
	s_wait_alu 0xfffe
	s_add_nc_u64 s[70:71], s[14:15], s[70:71]
	s_delay_alu instid0(SALU_CYCLE_1) | instskip(SKIP_4) | instid1(SALU_CYCLE_1)
	s_add_co_u32 s66, s66, s70
	s_cselect_b32 s0, -1, 0
	s_wait_alu 0xfffe
	s_cmp_lg_u32 s0, 0
	s_add_co_ci_u32 s67, s67, s71
	s_mul_u64 s[68:69], s[68:69], s[66:67]
	s_delay_alu instid0(SALU_CYCLE_1)
	s_mul_hi_u32 s71, s66, s69
	s_mul_i32 s70, s66, s69
	s_mul_hi_u32 s14, s66, s68
	s_mul_i32 s59, s67, s68
	s_wait_alu 0xfffe
	s_add_nc_u64 s[70:71], s[14:15], s[70:71]
	s_mul_hi_u32 s0, s67, s68
	s_mul_hi_u32 s72, s67, s69
	s_add_co_u32 s14, s70, s59
	s_wait_alu 0xfffe
	s_add_co_ci_u32 s14, s71, s0
	s_mul_i32 s68, s67, s69
	s_add_co_ci_u32 s69, s72, 0
	s_wait_alu 0xfffe
	s_add_nc_u64 s[68:69], s[14:15], s[68:69]
	s_delay_alu instid0(SALU_CYCLE_1)
	s_add_co_u32 s0, s66, s68
	s_cselect_b32 s14, -1, 0
	s_wait_alu 0xfffe
	v_mul_hi_u32 v28, v26, s0
	s_cmp_lg_u32 s14, 0
	v_mad_co_u64_u32 v[22:23], null, v27, s0, 0
	s_add_co_ci_u32 s14, s67, s69
	s_wait_alu 0xfffe
	v_mad_co_u64_u32 v[16:17], null, v26, s14, 0
	v_mad_co_u64_u32 v[24:25], null, v27, s14, 0
	s_delay_alu instid0(VALU_DEP_2) | instskip(SKIP_1) | instid1(VALU_DEP_3)
	v_add_co_u32 v16, vcc_lo, v28, v16
	s_wait_alu 0xfffd
	v_add_co_ci_u32_e64 v17, null, 0, v17, vcc_lo
	s_delay_alu instid0(VALU_DEP_2) | instskip(SKIP_1) | instid1(VALU_DEP_2)
	v_add_co_u32 v16, vcc_lo, v16, v22
	s_wait_alu 0xfffd
	v_add_co_ci_u32_e32 v16, vcc_lo, v17, v23, vcc_lo
	s_wait_alu 0xfffd
	v_add_co_ci_u32_e32 v17, vcc_lo, 0, v25, vcc_lo
	s_delay_alu instid0(VALU_DEP_2) | instskip(SKIP_1) | instid1(VALU_DEP_2)
	v_add_co_u32 v22, vcc_lo, v16, v24
	s_wait_alu 0xfffd
	v_add_co_ci_u32_e64 v23, null, 0, v17, vcc_lo
	s_delay_alu instid0(VALU_DEP_2) | instskip(SKIP_1) | instid1(VALU_DEP_3)
	v_mul_lo_u32 v24, s61, v22
	v_mad_co_u64_u32 v[16:17], null, s60, v22, 0
	v_mul_lo_u32 v25, s60, v23
	s_delay_alu instid0(VALU_DEP_2) | instskip(NEXT) | instid1(VALU_DEP_2)
	v_sub_co_u32 v16, vcc_lo, v26, v16
	v_add3_u32 v17, v17, v25, v24
	v_add_co_u32 v25, s0, v22, 2
	s_wait_alu 0xf1ff
	v_add_co_ci_u32_e64 v26, null, 0, v23, s0
	s_delay_alu instid0(VALU_DEP_3) | instskip(SKIP_3) | instid1(VALU_DEP_3)
	v_sub_nc_u32_e32 v24, v27, v17
	v_sub_co_u32 v28, s0, v16, s60
	s_wait_alu 0xfffd
	v_sub_co_ci_u32_e64 v17, null, v27, v17, vcc_lo
	v_subrev_co_ci_u32_e64 v24, null, s61, v24, vcc_lo
	s_delay_alu instid0(VALU_DEP_3) | instskip(SKIP_1) | instid1(VALU_DEP_2)
	v_cmp_le_u32_e32 vcc_lo, s60, v28
	s_wait_alu 0xf1ff
	v_subrev_co_ci_u32_e64 v24, null, 0, v24, s0
	s_wait_alu 0xfffd
	v_cndmask_b32_e64 v27, 0, -1, vcc_lo
	s_delay_alu instid0(VALU_DEP_2)
	v_cmp_le_u32_e32 vcc_lo, s61, v24
	s_wait_alu 0xfffd
	v_cndmask_b32_e64 v28, 0, -1, vcc_lo
	v_cmp_le_u32_e32 vcc_lo, s60, v16
	s_wait_alu 0xfffd
	v_cndmask_b32_e64 v16, 0, -1, vcc_lo
	;; [unrolled: 3-line block ×3, first 2 shown]
	v_cmp_eq_u32_e32 vcc_lo, s61, v24
	s_wait_alu 0xfffd
	v_cndmask_b32_e32 v24, v28, v27, vcc_lo
	v_add_co_u32 v27, vcc_lo, v22, 1
	s_wait_alu 0xfffd
	v_add_co_ci_u32_e64 v28, null, 0, v23, vcc_lo
	v_cmp_eq_u32_e32 vcc_lo, s61, v17
	s_wait_alu 0xfffd
	v_cndmask_b32_e32 v16, v29, v16, vcc_lo
	v_cmp_ne_u32_e32 vcc_lo, 0, v24
	s_wait_alu 0xfffd
	v_cndmask_b32_e32 v17, v28, v26, vcc_lo
	s_delay_alu instid0(VALU_DEP_3) | instskip(SKIP_2) | instid1(VALU_DEP_2)
	v_cmp_ne_u32_e64 s0, 0, v16
	v_cndmask_b32_e32 v16, v27, v25, vcc_lo
	s_wait_alu 0xf1ff
	v_cndmask_b32_e64 v17, v23, v17, s0
	s_delay_alu instid0(VALU_DEP_2) | instskip(NEXT) | instid1(VALU_DEP_2)
	v_cndmask_b32_e64 v16, v22, v16, s0
	v_xor_b32_e32 v17, v17, v3
	s_delay_alu instid0(VALU_DEP_2) | instskip(NEXT) | instid1(VALU_DEP_1)
	v_xor_b32_e32 v16, v16, v3
	v_sub_co_u32 v16, vcc_lo, v16, v3
	s_wait_alu 0xfffd
	s_delay_alu instid0(VALU_DEP_3)
	v_sub_co_ci_u32_e64 v17, null, v17, v3, vcc_lo
.LBB94_36:                              ;   in Loop: Header=BB94_22 Depth=2
	s_wait_alu 0xfffe
	s_and_not1_saveexec_b32 s0, s1
	s_cbranch_execz .LBB94_21
; %bb.37:                               ;   in Loop: Header=BB94_22 Depth=2
	v_cvt_f32_u32_e32 v3, s56
	s_sub_co_i32 s1, 0, s56
	s_delay_alu instid0(VALU_DEP_1) | instskip(NEXT) | instid1(TRANS32_DEP_1)
	v_rcp_iflag_f32_e32 v3, v3
	v_mul_f32_e32 v3, 0x4f7ffffe, v3
	s_delay_alu instid0(VALU_DEP_1) | instskip(SKIP_1) | instid1(VALU_DEP_1)
	v_cvt_u32_f32_e32 v3, v3
	s_wait_alu 0xfffe
	v_mul_lo_u32 v16, s1, v3
	s_delay_alu instid0(VALU_DEP_1) | instskip(NEXT) | instid1(VALU_DEP_1)
	v_mul_hi_u32 v16, v3, v16
	v_add_nc_u32_e32 v3, v3, v16
	s_delay_alu instid0(VALU_DEP_1) | instskip(NEXT) | instid1(VALU_DEP_1)
	v_mul_hi_u32 v3, v14, v3
	v_mul_lo_u32 v16, v3, s56
	v_add_nc_u32_e32 v17, 1, v3
	s_delay_alu instid0(VALU_DEP_2) | instskip(NEXT) | instid1(VALU_DEP_1)
	v_sub_nc_u32_e32 v16, v14, v16
	v_subrev_nc_u32_e32 v22, s56, v16
	v_cmp_le_u32_e32 vcc_lo, s56, v16
	s_wait_alu 0xfffd
	s_delay_alu instid0(VALU_DEP_2) | instskip(NEXT) | instid1(VALU_DEP_1)
	v_dual_cndmask_b32 v16, v16, v22 :: v_dual_cndmask_b32 v3, v3, v17
	v_cmp_le_u32_e32 vcc_lo, s56, v16
	s_delay_alu instid0(VALU_DEP_2) | instskip(SKIP_1) | instid1(VALU_DEP_1)
	v_add_nc_u32_e32 v17, 1, v3
	s_wait_alu 0xfffd
	v_dual_cndmask_b32 v16, v3, v17 :: v_dual_mov_b32 v17, v2
	s_branch .LBB94_21
.LBB94_38:                              ;   in Loop: Header=BB94_3 Depth=1
	s_load_b64 s[0:1], s[24:25], 0x0
	s_wait_kmcnt 0x0
	v_cmp_gt_i64_e32 vcc_lo, s[0:1], v[4:5]
	s_and_b32 exec_lo, exec_lo, vcc_lo
	s_cbranch_execz .LBB94_2
; %bb.39:                               ;   in Loop: Header=BB94_3 Depth=1
	v_lshlrev_b64_e32 v[6:7], 1, v[6:7]
	v_add_co_u32 v8, vcc_lo, v4, 1
	s_wait_alu 0xfffd
	v_add_co_ci_u32_e64 v9, null, 0, v5, vcc_lo
	s_delay_alu instid0(VALU_DEP_3) | instskip(SKIP_2) | instid1(VALU_DEP_3)
	v_add_co_u32 v6, vcc_lo, s10, v6
	s_wait_alu 0xfffd
	v_add_co_ci_u32_e64 v7, null, s11, v7, vcc_lo
	v_cmp_gt_i64_e32 vcc_lo, s[0:1], v[8:9]
	global_store_b16 v[6:7], v2, off
	s_and_b32 exec_lo, exec_lo, vcc_lo
	s_cbranch_execz .LBB94_2
; %bb.40:                               ;   in Loop: Header=BB94_3 Depth=1
	v_sub_co_u32 v8, vcc_lo, v8, v20
	s_wait_alu 0xfffd
	v_sub_co_ci_u32_e64 v9, null, v9, v21, vcc_lo
	s_mov_b32 s14, exec_lo
	v_cmpx_gt_i64_e64 s[4:5], v[8:9]
	s_cbranch_execz .LBB94_42
; %bb.41:                               ;   in Loop: Header=BB94_3 Depth=1
	s_lshl_b64 s[38:39], s[2:3], 1
	s_wait_alu 0xfffe
	v_add_co_u32 v8, vcc_lo, v6, s38
	s_wait_alu 0xfffd
	v_add_co_ci_u32_e64 v9, null, s39, v7, vcc_lo
	global_store_b16 v[8:9], v2, off
.LBB94_42:                              ;   in Loop: Header=BB94_3 Depth=1
	s_wait_alu 0xfffe
	s_or_b32 exec_lo, exec_lo, s14
	v_add_co_u32 v8, vcc_lo, v4, 2
	s_wait_alu 0xfffd
	v_add_co_ci_u32_e64 v9, null, 0, v5, vcc_lo
	s_delay_alu instid0(VALU_DEP_1)
	v_cmp_gt_i64_e32 vcc_lo, s[0:1], v[8:9]
	s_and_b32 exec_lo, exec_lo, vcc_lo
	s_cbranch_execz .LBB94_2
; %bb.43:                               ;   in Loop: Header=BB94_3 Depth=1
	v_sub_co_u32 v8, vcc_lo, v8, v20
	s_wait_alu 0xfffd
	v_sub_co_ci_u32_e64 v9, null, v9, v21, vcc_lo
	s_mov_b32 s14, exec_lo
	v_cmpx_gt_i64_e64 s[4:5], v[8:9]
	s_cbranch_execz .LBB94_45
; %bb.44:                               ;   in Loop: Header=BB94_3 Depth=1
	s_lshl_b64 s[38:39], s[2:3], 2
	s_wait_alu 0xfffe
	v_add_co_u32 v8, vcc_lo, v6, s38
	s_wait_alu 0xfffd
	v_add_co_ci_u32_e64 v9, null, s39, v7, vcc_lo
	global_store_b16 v[8:9], v2, off
.LBB94_45:                              ;   in Loop: Header=BB94_3 Depth=1
	s_wait_alu 0xfffe
	s_or_b32 exec_lo, exec_lo, s14
	v_add_co_u32 v3, vcc_lo, v4, 3
	s_wait_alu 0xfffd
	v_add_co_ci_u32_e64 v4, null, 0, v5, vcc_lo
	s_delay_alu instid0(VALU_DEP_2) | instskip(SKIP_1) | instid1(VALU_DEP_2)
	v_sub_co_u32 v8, vcc_lo, v3, v20
	s_wait_alu 0xfffd
	v_sub_co_ci_u32_e64 v9, null, v4, v21, vcc_lo
	v_cmp_gt_i64_e32 vcc_lo, s[0:1], v[3:4]
	s_delay_alu instid0(VALU_DEP_2)
	v_cmp_gt_i64_e64 s0, s[4:5], v[8:9]
	s_and_b32 s0, vcc_lo, s0
	s_wait_alu 0xfffe
	s_and_b32 exec_lo, exec_lo, s0
	s_cbranch_execz .LBB94_2
; %bb.46:                               ;   in Loop: Header=BB94_3 Depth=1
	v_mad_co_u64_u32 v[3:4], null, s2, 6, v[6:7]
	s_delay_alu instid0(VALU_DEP_1)
	v_mad_co_u64_u32 v[4:5], null, s3, 6, v[4:5]
	global_store_b16 v[3:4], v2, off
	s_branch .LBB94_2
.LBB94_47:
	s_endpgm
	.section	.rodata,"a",@progbits
	.p2align	6, 0x0
	.amdhsa_kernel _ZN2at6native16triu_tril_kernelIN3c104HalfElLb1ELi4ELb1EEEvNS_4cuda6detail10TensorInfoIT_T0_EENS6_IKS7_S8_EEllS8_
		.amdhsa_group_segment_fixed_size 0
		.amdhsa_private_segment_fixed_size 0
		.amdhsa_kernarg_size 1112
		.amdhsa_user_sgpr_count 2
		.amdhsa_user_sgpr_dispatch_ptr 0
		.amdhsa_user_sgpr_queue_ptr 0
		.amdhsa_user_sgpr_kernarg_segment_ptr 1
		.amdhsa_user_sgpr_dispatch_id 0
		.amdhsa_user_sgpr_private_segment_size 0
		.amdhsa_wavefront_size32 1
		.amdhsa_uses_dynamic_stack 0
		.amdhsa_enable_private_segment 0
		.amdhsa_system_sgpr_workgroup_id_x 1
		.amdhsa_system_sgpr_workgroup_id_y 0
		.amdhsa_system_sgpr_workgroup_id_z 0
		.amdhsa_system_sgpr_workgroup_info 0
		.amdhsa_system_vgpr_workitem_id 0
		.amdhsa_next_free_vgpr 30
		.amdhsa_next_free_sgpr 75
		.amdhsa_reserve_vcc 1
		.amdhsa_float_round_mode_32 0
		.amdhsa_float_round_mode_16_64 0
		.amdhsa_float_denorm_mode_32 3
		.amdhsa_float_denorm_mode_16_64 3
		.amdhsa_fp16_overflow 0
		.amdhsa_workgroup_processor_mode 1
		.amdhsa_memory_ordered 1
		.amdhsa_forward_progress 1
		.amdhsa_inst_pref_size 67
		.amdhsa_round_robin_scheduling 0
		.amdhsa_exception_fp_ieee_invalid_op 0
		.amdhsa_exception_fp_denorm_src 0
		.amdhsa_exception_fp_ieee_div_zero 0
		.amdhsa_exception_fp_ieee_overflow 0
		.amdhsa_exception_fp_ieee_underflow 0
		.amdhsa_exception_fp_ieee_inexact 0
		.amdhsa_exception_int_div_zero 0
	.end_amdhsa_kernel
	.section	.text._ZN2at6native16triu_tril_kernelIN3c104HalfElLb1ELi4ELb1EEEvNS_4cuda6detail10TensorInfoIT_T0_EENS6_IKS7_S8_EEllS8_,"axG",@progbits,_ZN2at6native16triu_tril_kernelIN3c104HalfElLb1ELi4ELb1EEEvNS_4cuda6detail10TensorInfoIT_T0_EENS6_IKS7_S8_EEllS8_,comdat
.Lfunc_end94:
	.size	_ZN2at6native16triu_tril_kernelIN3c104HalfElLb1ELi4ELb1EEEvNS_4cuda6detail10TensorInfoIT_T0_EENS6_IKS7_S8_EEllS8_, .Lfunc_end94-_ZN2at6native16triu_tril_kernelIN3c104HalfElLb1ELi4ELb1EEEvNS_4cuda6detail10TensorInfoIT_T0_EENS6_IKS7_S8_EEllS8_
                                        ; -- End function
	.set _ZN2at6native16triu_tril_kernelIN3c104HalfElLb1ELi4ELb1EEEvNS_4cuda6detail10TensorInfoIT_T0_EENS6_IKS7_S8_EEllS8_.num_vgpr, 30
	.set _ZN2at6native16triu_tril_kernelIN3c104HalfElLb1ELi4ELb1EEEvNS_4cuda6detail10TensorInfoIT_T0_EENS6_IKS7_S8_EEllS8_.num_agpr, 0
	.set _ZN2at6native16triu_tril_kernelIN3c104HalfElLb1ELi4ELb1EEEvNS_4cuda6detail10TensorInfoIT_T0_EENS6_IKS7_S8_EEllS8_.numbered_sgpr, 75
	.set _ZN2at6native16triu_tril_kernelIN3c104HalfElLb1ELi4ELb1EEEvNS_4cuda6detail10TensorInfoIT_T0_EENS6_IKS7_S8_EEllS8_.num_named_barrier, 0
	.set _ZN2at6native16triu_tril_kernelIN3c104HalfElLb1ELi4ELb1EEEvNS_4cuda6detail10TensorInfoIT_T0_EENS6_IKS7_S8_EEllS8_.private_seg_size, 0
	.set _ZN2at6native16triu_tril_kernelIN3c104HalfElLb1ELi4ELb1EEEvNS_4cuda6detail10TensorInfoIT_T0_EENS6_IKS7_S8_EEllS8_.uses_vcc, 1
	.set _ZN2at6native16triu_tril_kernelIN3c104HalfElLb1ELi4ELb1EEEvNS_4cuda6detail10TensorInfoIT_T0_EENS6_IKS7_S8_EEllS8_.uses_flat_scratch, 0
	.set _ZN2at6native16triu_tril_kernelIN3c104HalfElLb1ELi4ELb1EEEvNS_4cuda6detail10TensorInfoIT_T0_EENS6_IKS7_S8_EEllS8_.has_dyn_sized_stack, 0
	.set _ZN2at6native16triu_tril_kernelIN3c104HalfElLb1ELi4ELb1EEEvNS_4cuda6detail10TensorInfoIT_T0_EENS6_IKS7_S8_EEllS8_.has_recursion, 0
	.set _ZN2at6native16triu_tril_kernelIN3c104HalfElLb1ELi4ELb1EEEvNS_4cuda6detail10TensorInfoIT_T0_EENS6_IKS7_S8_EEllS8_.has_indirect_call, 0
	.section	.AMDGPU.csdata,"",@progbits
; Kernel info:
; codeLenInByte = 8544
; TotalNumSgprs: 77
; NumVgprs: 30
; ScratchSize: 0
; MemoryBound: 0
; FloatMode: 240
; IeeeMode: 1
; LDSByteSize: 0 bytes/workgroup (compile time only)
; SGPRBlocks: 0
; VGPRBlocks: 3
; NumSGPRsForWavesPerEU: 77
; NumVGPRsForWavesPerEU: 30
; Occupancy: 16
; WaveLimiterHint : 0
; COMPUTE_PGM_RSRC2:SCRATCH_EN: 0
; COMPUTE_PGM_RSRC2:USER_SGPR: 2
; COMPUTE_PGM_RSRC2:TRAP_HANDLER: 0
; COMPUTE_PGM_RSRC2:TGID_X_EN: 1
; COMPUTE_PGM_RSRC2:TGID_Y_EN: 0
; COMPUTE_PGM_RSRC2:TGID_Z_EN: 0
; COMPUTE_PGM_RSRC2:TIDIG_COMP_CNT: 0
	.section	.text._ZN2at6native16triu_tril_kernelIN3c104HalfElLb1ELi4ELb0EEEvNS_4cuda6detail10TensorInfoIT_T0_EENS6_IKS7_S8_EEllS8_,"axG",@progbits,_ZN2at6native16triu_tril_kernelIN3c104HalfElLb1ELi4ELb0EEEvNS_4cuda6detail10TensorInfoIT_T0_EENS6_IKS7_S8_EEllS8_,comdat
	.protected	_ZN2at6native16triu_tril_kernelIN3c104HalfElLb1ELi4ELb0EEEvNS_4cuda6detail10TensorInfoIT_T0_EENS6_IKS7_S8_EEllS8_ ; -- Begin function _ZN2at6native16triu_tril_kernelIN3c104HalfElLb1ELi4ELb0EEEvNS_4cuda6detail10TensorInfoIT_T0_EENS6_IKS7_S8_EEllS8_
	.globl	_ZN2at6native16triu_tril_kernelIN3c104HalfElLb1ELi4ELb0EEEvNS_4cuda6detail10TensorInfoIT_T0_EENS6_IKS7_S8_EEllS8_
	.p2align	8
	.type	_ZN2at6native16triu_tril_kernelIN3c104HalfElLb1ELi4ELb0EEEvNS_4cuda6detail10TensorInfoIT_T0_EENS6_IKS7_S8_EEllS8_,@function
_ZN2at6native16triu_tril_kernelIN3c104HalfElLb1ELi4ELb0EEEvNS_4cuda6detail10TensorInfoIT_T0_EENS6_IKS7_S8_EEllS8_: ; @_ZN2at6native16triu_tril_kernelIN3c104HalfElLb1ELi4ELb0EEEvNS_4cuda6detail10TensorInfoIT_T0_EENS6_IKS7_S8_EEllS8_
; %bb.0:
	s_clause 0x1
	s_load_b32 s2, s[0:1], 0x364
	s_load_b128 s[4:7], s[0:1], 0x340
	v_mov_b32_e32 v2, 0
	s_delay_alu instid0(VALU_DEP_1) | instskip(SKIP_3) | instid1(VALU_DEP_1)
	v_mov_b32_e32 v1, v2
	s_wait_kmcnt 0x0
	s_and_b32 s26, s2, 0xffff
	s_mov_b32 s2, exec_lo
	v_mad_co_u64_u32 v[0:1], null, s26, ttmp9, v[0:1]
	s_delay_alu instid0(VALU_DEP_1) | instskip(NEXT) | instid1(VALU_DEP_1)
	v_lshlrev_b64_e32 v[0:1], 2, v[0:1]
	v_cmpx_gt_i64_e64 s[6:7], v[0:1]
	s_cbranch_execz .LBB95_44
; %bb.1:
	s_clause 0x2
	s_load_b32 s46, s[0:1], 0x338
	s_load_b64 s[2:3], s[0:1], 0x350
	s_load_b64 s[20:21], s[0:1], 0x1a0
	s_add_nc_u64 s[22:23], s[0:1], 0x1a0
	s_add_nc_u64 s[14:15], s[0:1], 0x358
	s_load_b64 s[24:25], s[0:1], 0x0
	s_mov_b32 s27, 0
	s_mov_b32 s71, 0
	s_wait_kmcnt 0x0
	s_ashr_i32 s47, s46, 31
	v_cvt_f32_u32_e32 v3, s2
	s_lshl_b64 s[12:13], s[46:47], 3
	s_add_co_i32 s28, s46, -3
	s_add_nc_u64 s[16:17], s[22:23], s[12:13]
	s_add_nc_u64 s[12:13], s[0:1], s[12:13]
	s_add_nc_u64 s[8:9], s[16:17], -8
	v_rcp_iflag_f32_e32 v3, v3
	s_load_b128 s[8:11], s[8:9], 0x0
	s_load_b32 s29, s[14:15], 0x0
	s_clause 0x1
	s_load_b128 s[12:15], s[12:13], 0xc0
	s_load_b128 s[16:19], s[16:17], 0xc0
	v_cmp_gt_i64_e64 s70, s[46:47], 2
	s_add_nc_u64 s[46:47], s[0:1], 0xc8
	s_delay_alu instid0(TRANS32_DEP_1) | instskip(NEXT) | instid1(VALU_DEP_1)
	v_mul_f32_e32 v3, 0x4f7ffffe, v3
	v_cvt_u32_f32_e32 v16, v3
	s_wait_kmcnt 0x0
	v_cvt_f32_u32_e32 v4, s8
	s_mul_i32 s26, s29, s26
	s_ashr_i32 s29, s28, 31
	s_wait_alu 0xfffe
	s_lshl_b32 s33, s26, 2
	s_lshl_b64 s[34:35], s[14:15], 2
	v_rcp_iflag_f32_e32 v4, v4
	s_lshl_b64 s[38:39], s[18:19], 2
	s_bitcmp0_b32 s28, 0
	s_add_nc_u64 s[30:31], s[28:29], -1
	s_cselect_b32 s68, -1, 0
	s_lshl_b64 s[44:45], s[28:29], 3
	s_cmp_lg_u32 s28, 0
	s_mul_u64 s[36:37], s[14:15], 6
	s_mul_u64 s[40:41], s[18:19], 6
	s_add_nc_u64 s[42:43], s[22:23], s[44:45]
	v_mul_f32_e32 v3, 0x4f7ffffe, v4
	s_add_nc_u64 s[44:45], s[0:1], s[44:45]
	s_cselect_b32 s69, -1, 0
	s_ashr_i32 s48, s3, 31
	s_delay_alu instid0(VALU_DEP_1)
	v_cvt_u32_f32_e32 v17, v3
	s_branch .LBB95_3
.LBB95_2:                               ;   in Loop: Header=BB95_3 Depth=1
	s_wait_alu 0xfffe
	s_or_b32 exec_lo, exec_lo, s0
	v_add_co_u32 v0, vcc_lo, v0, s33
	s_wait_alu 0xfffd
	v_add_co_ci_u32_e64 v1, null, 0, v1, vcc_lo
	s_delay_alu instid0(VALU_DEP_1) | instskip(SKIP_1) | instid1(SALU_CYCLE_1)
	v_cmp_le_i64_e32 vcc_lo, s[6:7], v[0:1]
	s_or_b32 s71, vcc_lo, s71
	s_and_not1_b32 exec_lo, exec_lo, s71
	s_cbranch_execz .LBB95_44
.LBB95_3:                               ; =>This Loop Header: Depth=1
                                        ;     Child Loop BB95_21 Depth 2
	v_or_b32_e32 v3, s3, v1
                                        ; implicit-def: $vgpr6_vgpr7
	s_mov_b32 s0, exec_lo
	s_delay_alu instid0(VALU_DEP_1)
	v_cmpx_ne_u64_e32 0, v[2:3]
	s_wait_alu 0xfffe
	s_xor_b32 s1, exec_lo, s0
	s_cbranch_execz .LBB95_5
; %bb.4:                                ;   in Loop: Header=BB95_3 Depth=1
	s_mov_b32 s49, s48
	v_ashrrev_i32_e32 v9, 31, v1
	s_wait_alu 0xfffe
	s_add_nc_u64 s[50:51], s[2:3], s[48:49]
	s_wait_alu 0xfffe
	s_xor_b64 s[50:51], s[50:51], s[48:49]
	v_add_co_u32 v3, vcc_lo, v0, v9
	s_wait_alu 0xfffe
	s_cvt_f32_u32 s0, s50
	s_cvt_f32_u32 s26, s51
	s_sub_nc_u64 s[54:55], 0, s[50:51]
	s_wait_alu 0xfffd
	v_add_co_ci_u32_e64 v4, null, v1, v9, vcc_lo
	s_wait_alu 0xfffe
	s_fmamk_f32 s0, s26, 0x4f800000, s0
	v_xor_b32_e32 v10, v3, v9
	s_delay_alu instid0(VALU_DEP_2) | instskip(SKIP_2) | instid1(TRANS32_DEP_1)
	v_xor_b32_e32 v11, v4, v9
	s_wait_alu 0xfffe
	v_s_rcp_f32 s0, s0
	s_mul_f32 s0, s0, 0x5f7ffffc
	s_wait_alu 0xfffe
	s_delay_alu instid0(SALU_CYCLE_2) | instskip(SKIP_1) | instid1(SALU_CYCLE_2)
	s_mul_f32 s26, s0, 0x2f800000
	s_wait_alu 0xfffe
	s_trunc_f32 s26, s26
	s_wait_alu 0xfffe
	s_delay_alu instid0(SALU_CYCLE_2) | instskip(SKIP_2) | instid1(SALU_CYCLE_1)
	s_fmamk_f32 s0, s26, 0xcf800000, s0
	s_cvt_u32_f32 s53, s26
	s_wait_alu 0xfffe
	s_cvt_u32_f32 s52, s0
	s_wait_alu 0xfffe
	s_delay_alu instid0(SALU_CYCLE_2)
	s_mul_u64 s[56:57], s[54:55], s[52:53]
	s_wait_alu 0xfffe
	s_mul_hi_u32 s59, s52, s57
	s_mul_i32 s58, s52, s57
	s_mul_hi_u32 s26, s52, s56
	s_mul_i32 s49, s53, s56
	s_wait_alu 0xfffe
	s_add_nc_u64 s[58:59], s[26:27], s[58:59]
	s_mul_hi_u32 s0, s53, s56
	s_mul_hi_u32 s60, s53, s57
	s_wait_alu 0xfffe
	s_add_co_u32 s26, s58, s49
	s_add_co_ci_u32 s26, s59, s0
	s_mul_i32 s56, s53, s57
	s_add_co_ci_u32 s57, s60, 0
	s_wait_alu 0xfffe
	s_add_nc_u64 s[56:57], s[26:27], s[56:57]
	s_wait_alu 0xfffe
	s_add_co_u32 s52, s52, s56
	s_cselect_b32 s0, -1, 0
	s_wait_alu 0xfffe
	s_cmp_lg_u32 s0, 0
	s_add_co_ci_u32 s53, s53, s57
	s_wait_alu 0xfffe
	s_mul_u64 s[54:55], s[54:55], s[52:53]
	s_wait_alu 0xfffe
	s_mul_hi_u32 s57, s52, s55
	s_mul_i32 s56, s52, s55
	s_mul_hi_u32 s26, s52, s54
	s_mul_i32 s49, s53, s54
	s_wait_alu 0xfffe
	s_add_nc_u64 s[56:57], s[26:27], s[56:57]
	s_mul_hi_u32 s0, s53, s54
	s_mul_hi_u32 s58, s53, s55
	s_wait_alu 0xfffe
	s_add_co_u32 s26, s56, s49
	s_add_co_ci_u32 s26, s57, s0
	s_mul_i32 s54, s53, s55
	s_add_co_ci_u32 s55, s58, 0
	s_wait_alu 0xfffe
	s_add_nc_u64 s[54:55], s[26:27], s[54:55]
	s_wait_alu 0xfffe
	s_add_co_u32 s0, s52, s54
	s_cselect_b32 s26, -1, 0
	s_wait_alu 0xfffe
	v_mul_hi_u32 v12, v10, s0
	s_cmp_lg_u32 s26, 0
	v_mad_co_u64_u32 v[5:6], null, v11, s0, 0
	s_add_co_ci_u32 s26, s53, s55
	s_wait_alu 0xfffe
	v_mad_co_u64_u32 v[3:4], null, v10, s26, 0
	v_mad_co_u64_u32 v[7:8], null, v11, s26, 0
	s_delay_alu instid0(VALU_DEP_2) | instskip(SKIP_1) | instid1(VALU_DEP_3)
	v_add_co_u32 v3, vcc_lo, v12, v3
	s_wait_alu 0xfffd
	v_add_co_ci_u32_e64 v4, null, 0, v4, vcc_lo
	s_delay_alu instid0(VALU_DEP_2) | instskip(SKIP_1) | instid1(VALU_DEP_2)
	v_add_co_u32 v3, vcc_lo, v3, v5
	s_wait_alu 0xfffd
	v_add_co_ci_u32_e32 v3, vcc_lo, v4, v6, vcc_lo
	s_wait_alu 0xfffd
	v_add_co_ci_u32_e32 v4, vcc_lo, 0, v8, vcc_lo
	s_delay_alu instid0(VALU_DEP_2) | instskip(SKIP_1) | instid1(VALU_DEP_2)
	v_add_co_u32 v5, vcc_lo, v3, v7
	s_wait_alu 0xfffd
	v_add_co_ci_u32_e64 v6, null, 0, v4, vcc_lo
	s_delay_alu instid0(VALU_DEP_2) | instskip(SKIP_1) | instid1(VALU_DEP_3)
	v_mul_lo_u32 v7, s51, v5
	v_mad_co_u64_u32 v[3:4], null, s50, v5, 0
	v_mul_lo_u32 v8, s50, v6
	s_delay_alu instid0(VALU_DEP_2) | instskip(NEXT) | instid1(VALU_DEP_2)
	v_sub_co_u32 v3, vcc_lo, v10, v3
	v_add3_u32 v4, v4, v8, v7
	v_add_co_u32 v8, s0, v5, 2
	s_wait_alu 0xf1ff
	v_add_co_ci_u32_e64 v10, null, 0, v6, s0
	s_delay_alu instid0(VALU_DEP_3) | instskip(SKIP_3) | instid1(VALU_DEP_3)
	v_sub_nc_u32_e32 v7, v11, v4
	v_sub_co_u32 v12, s0, v3, s50
	s_wait_alu 0xfffd
	v_sub_co_ci_u32_e64 v4, null, v11, v4, vcc_lo
	v_subrev_co_ci_u32_e64 v7, null, s51, v7, vcc_lo
	s_delay_alu instid0(VALU_DEP_3) | instskip(SKIP_1) | instid1(VALU_DEP_2)
	v_cmp_le_u32_e32 vcc_lo, s50, v12
	s_wait_alu 0xf1ff
	v_subrev_co_ci_u32_e64 v7, null, 0, v7, s0
	s_wait_alu 0xfffd
	v_cndmask_b32_e64 v11, 0, -1, vcc_lo
	s_delay_alu instid0(VALU_DEP_2)
	v_cmp_le_u32_e32 vcc_lo, s51, v7
	s_wait_alu 0xfffd
	v_cndmask_b32_e64 v12, 0, -1, vcc_lo
	v_cmp_le_u32_e32 vcc_lo, s50, v3
	s_wait_alu 0xfffd
	v_cndmask_b32_e64 v3, 0, -1, vcc_lo
	;; [unrolled: 3-line block ×3, first 2 shown]
	v_cmp_eq_u32_e32 vcc_lo, s51, v7
	s_wait_alu 0xfffd
	v_cndmask_b32_e32 v7, v12, v11, vcc_lo
	v_add_co_u32 v11, vcc_lo, v5, 1
	s_wait_alu 0xfffd
	v_add_co_ci_u32_e64 v12, null, 0, v6, vcc_lo
	v_cmp_eq_u32_e32 vcc_lo, s51, v4
	s_wait_alu 0xfffd
	v_cndmask_b32_e32 v3, v13, v3, vcc_lo
	v_cmp_ne_u32_e32 vcc_lo, 0, v7
	v_xor_b32_e32 v7, s48, v9
	s_wait_alu 0xfffd
	v_cndmask_b32_e32 v4, v12, v10, vcc_lo
	v_cmp_ne_u32_e64 s0, 0, v3
	v_cndmask_b32_e32 v3, v11, v8, vcc_lo
	s_wait_alu 0xf1ff
	s_delay_alu instid0(VALU_DEP_2) | instskip(NEXT) | instid1(VALU_DEP_2)
	v_cndmask_b32_e64 v4, v6, v4, s0
	v_cndmask_b32_e64 v3, v5, v3, s0
	s_delay_alu instid0(VALU_DEP_2) | instskip(NEXT) | instid1(VALU_DEP_2)
	v_xor_b32_e32 v4, v4, v7
	v_xor_b32_e32 v3, v3, v7
	s_delay_alu instid0(VALU_DEP_1) | instskip(SKIP_1) | instid1(VALU_DEP_3)
	v_sub_co_u32 v6, vcc_lo, v3, v7
	s_wait_alu 0xfffd
	v_sub_co_ci_u32_e64 v7, null, v4, v7, vcc_lo
.LBB95_5:                               ;   in Loop: Header=BB95_3 Depth=1
	s_wait_alu 0xfffe
	s_and_not1_saveexec_b32 s0, s1
	s_cbranch_execz .LBB95_7
; %bb.6:                                ;   in Loop: Header=BB95_3 Depth=1
	s_sub_co_i32 s1, 0, s2
	v_mov_b32_e32 v7, v2
	s_wait_alu 0xfffe
	v_mul_lo_u32 v3, s1, v16
	s_delay_alu instid0(VALU_DEP_1) | instskip(NEXT) | instid1(VALU_DEP_1)
	v_mul_hi_u32 v3, v16, v3
	v_add_nc_u32_e32 v3, v16, v3
	s_delay_alu instid0(VALU_DEP_1) | instskip(NEXT) | instid1(VALU_DEP_1)
	v_mul_hi_u32 v3, v0, v3
	v_mul_lo_u32 v4, v3, s2
	s_delay_alu instid0(VALU_DEP_1) | instskip(NEXT) | instid1(VALU_DEP_1)
	v_sub_nc_u32_e32 v4, v0, v4
	v_subrev_nc_u32_e32 v6, s2, v4
	v_cmp_le_u32_e32 vcc_lo, s2, v4
	s_wait_alu 0xfffd
	s_delay_alu instid0(VALU_DEP_2) | instskip(NEXT) | instid1(VALU_DEP_1)
	v_dual_cndmask_b32 v4, v4, v6 :: v_dual_add_nc_u32 v5, 1, v3
	v_cndmask_b32_e32 v3, v3, v5, vcc_lo
	s_delay_alu instid0(VALU_DEP_2) | instskip(NEXT) | instid1(VALU_DEP_2)
	v_cmp_le_u32_e32 vcc_lo, s2, v4
	v_add_nc_u32_e32 v5, 1, v3
	s_wait_alu 0xfffd
	s_delay_alu instid0(VALU_DEP_1)
	v_cndmask_b32_e32 v6, v3, v5, vcc_lo
.LBB95_7:                               ;   in Loop: Header=BB95_3 Depth=1
	s_wait_alu 0xfffe
	s_or_b32 exec_lo, exec_lo, s0
	v_or_b32_e32 v3, s9, v7
                                        ; implicit-def: $vgpr10_vgpr11
	s_mov_b32 s0, exec_lo
	s_delay_alu instid0(VALU_DEP_1)
	v_cmpx_ne_u64_e32 0, v[2:3]
	s_wait_alu 0xfffe
	s_xor_b32 s1, exec_lo, s0
	s_cbranch_execz .LBB95_9
; %bb.8:                                ;   in Loop: Header=BB95_3 Depth=1
	s_ashr_i32 s50, s9, 31
	v_ashrrev_i32_e32 v5, 31, v7
	s_wait_alu 0xfffe
	s_mov_b32 s51, s50
	s_wait_alu 0xfffe
	s_add_nc_u64 s[52:53], s[8:9], s[50:51]
	v_add_co_u32 v3, vcc_lo, v6, v5
	s_wait_alu 0xfffe
	s_xor_b64 s[52:53], s[52:53], s[50:51]
	s_wait_alu 0xfffd
	v_add_co_ci_u32_e64 v4, null, v7, v5, vcc_lo
	s_wait_alu 0xfffe
	s_cvt_f32_u32 s0, s52
	s_cvt_f32_u32 s26, s53
	s_sub_nc_u64 s[56:57], 0, s[52:53]
	v_xor_b32_e32 v12, v3, v5
	v_xor_b32_e32 v13, v4, v5
	s_wait_alu 0xfffe
	s_fmamk_f32 s0, s26, 0x4f800000, s0
	v_xor_b32_e32 v5, s50, v5
	s_wait_alu 0xfffe
	s_delay_alu instid0(SALU_CYCLE_1) | instskip(NEXT) | instid1(TRANS32_DEP_1)
	v_s_rcp_f32 s0, s0
	s_mul_f32 s0, s0, 0x5f7ffffc
	s_wait_alu 0xfffe
	s_delay_alu instid0(SALU_CYCLE_2) | instskip(SKIP_1) | instid1(SALU_CYCLE_2)
	s_mul_f32 s26, s0, 0x2f800000
	s_wait_alu 0xfffe
	s_trunc_f32 s26, s26
	s_wait_alu 0xfffe
	s_delay_alu instid0(SALU_CYCLE_2) | instskip(SKIP_2) | instid1(SALU_CYCLE_1)
	s_fmamk_f32 s0, s26, 0xcf800000, s0
	s_cvt_u32_f32 s55, s26
	s_wait_alu 0xfffe
	s_cvt_u32_f32 s54, s0
	s_wait_alu 0xfffe
	s_delay_alu instid0(SALU_CYCLE_2)
	s_mul_u64 s[58:59], s[56:57], s[54:55]
	s_wait_alu 0xfffe
	s_mul_hi_u32 s61, s54, s59
	s_mul_i32 s60, s54, s59
	s_mul_hi_u32 s26, s54, s58
	s_mul_i32 s49, s55, s58
	s_wait_alu 0xfffe
	s_add_nc_u64 s[60:61], s[26:27], s[60:61]
	s_mul_hi_u32 s0, s55, s58
	s_mul_hi_u32 s51, s55, s59
	s_wait_alu 0xfffe
	s_add_co_u32 s26, s60, s49
	s_add_co_ci_u32 s26, s61, s0
	s_mul_i32 s58, s55, s59
	s_add_co_ci_u32 s59, s51, 0
	s_wait_alu 0xfffe
	s_add_nc_u64 s[58:59], s[26:27], s[58:59]
	s_wait_alu 0xfffe
	s_add_co_u32 s54, s54, s58
	s_cselect_b32 s0, -1, 0
	s_wait_alu 0xfffe
	s_cmp_lg_u32 s0, 0
	s_add_co_ci_u32 s55, s55, s59
	s_wait_alu 0xfffe
	s_mul_u64 s[56:57], s[56:57], s[54:55]
	s_wait_alu 0xfffe
	s_mul_hi_u32 s59, s54, s57
	s_mul_i32 s58, s54, s57
	s_mul_hi_u32 s26, s54, s56
	s_mul_i32 s49, s55, s56
	s_wait_alu 0xfffe
	s_add_nc_u64 s[58:59], s[26:27], s[58:59]
	s_mul_hi_u32 s0, s55, s56
	s_mul_hi_u32 s51, s55, s57
	s_wait_alu 0xfffe
	s_add_co_u32 s26, s58, s49
	s_add_co_ci_u32 s26, s59, s0
	s_mul_i32 s56, s55, s57
	s_add_co_ci_u32 s57, s51, 0
	s_wait_alu 0xfffe
	s_add_nc_u64 s[56:57], s[26:27], s[56:57]
	s_wait_alu 0xfffe
	s_add_co_u32 s0, s54, s56
	s_cselect_b32 s26, -1, 0
	s_wait_alu 0xfffe
	v_mul_hi_u32 v14, v12, s0
	s_cmp_lg_u32 s26, 0
	v_mad_co_u64_u32 v[8:9], null, v13, s0, 0
	s_add_co_ci_u32 s26, s55, s57
	s_wait_alu 0xfffe
	v_mad_co_u64_u32 v[3:4], null, v12, s26, 0
	v_mad_co_u64_u32 v[10:11], null, v13, s26, 0
	s_delay_alu instid0(VALU_DEP_2) | instskip(SKIP_1) | instid1(VALU_DEP_3)
	v_add_co_u32 v3, vcc_lo, v14, v3
	s_wait_alu 0xfffd
	v_add_co_ci_u32_e64 v4, null, 0, v4, vcc_lo
	s_delay_alu instid0(VALU_DEP_2) | instskip(SKIP_1) | instid1(VALU_DEP_2)
	v_add_co_u32 v3, vcc_lo, v3, v8
	s_wait_alu 0xfffd
	v_add_co_ci_u32_e32 v3, vcc_lo, v4, v9, vcc_lo
	s_wait_alu 0xfffd
	v_add_co_ci_u32_e32 v4, vcc_lo, 0, v11, vcc_lo
	s_delay_alu instid0(VALU_DEP_2) | instskip(SKIP_1) | instid1(VALU_DEP_2)
	v_add_co_u32 v8, vcc_lo, v3, v10
	s_wait_alu 0xfffd
	v_add_co_ci_u32_e64 v9, null, 0, v4, vcc_lo
	s_delay_alu instid0(VALU_DEP_2) | instskip(SKIP_1) | instid1(VALU_DEP_3)
	v_mul_lo_u32 v10, s53, v8
	v_mad_co_u64_u32 v[3:4], null, s52, v8, 0
	v_mul_lo_u32 v11, s52, v9
	s_delay_alu instid0(VALU_DEP_2) | instskip(NEXT) | instid1(VALU_DEP_2)
	v_sub_co_u32 v3, vcc_lo, v12, v3
	v_add3_u32 v4, v4, v11, v10
	v_add_co_u32 v11, s0, v8, 2
	s_wait_alu 0xf1ff
	v_add_co_ci_u32_e64 v12, null, 0, v9, s0
	s_delay_alu instid0(VALU_DEP_3) | instskip(SKIP_3) | instid1(VALU_DEP_3)
	v_sub_nc_u32_e32 v10, v13, v4
	v_sub_co_u32 v14, s0, v3, s52
	s_wait_alu 0xfffd
	v_sub_co_ci_u32_e64 v4, null, v13, v4, vcc_lo
	v_subrev_co_ci_u32_e64 v10, null, s53, v10, vcc_lo
	s_delay_alu instid0(VALU_DEP_3) | instskip(SKIP_1) | instid1(VALU_DEP_2)
	v_cmp_le_u32_e32 vcc_lo, s52, v14
	s_wait_alu 0xf1ff
	v_subrev_co_ci_u32_e64 v10, null, 0, v10, s0
	s_wait_alu 0xfffd
	v_cndmask_b32_e64 v13, 0, -1, vcc_lo
	s_delay_alu instid0(VALU_DEP_2)
	v_cmp_le_u32_e32 vcc_lo, s53, v10
	s_wait_alu 0xfffd
	v_cndmask_b32_e64 v14, 0, -1, vcc_lo
	v_cmp_le_u32_e32 vcc_lo, s52, v3
	s_wait_alu 0xfffd
	v_cndmask_b32_e64 v3, 0, -1, vcc_lo
	v_cmp_le_u32_e32 vcc_lo, s53, v4
	s_wait_alu 0xfffd
	v_cndmask_b32_e64 v15, 0, -1, vcc_lo
	v_cmp_eq_u32_e32 vcc_lo, s53, v10
	s_wait_alu 0xfffd
	v_cndmask_b32_e32 v10, v14, v13, vcc_lo
	v_add_co_u32 v13, vcc_lo, v8, 1
	s_wait_alu 0xfffd
	v_add_co_ci_u32_e64 v14, null, 0, v9, vcc_lo
	v_cmp_eq_u32_e32 vcc_lo, s53, v4
	s_wait_alu 0xfffd
	v_cndmask_b32_e32 v3, v15, v3, vcc_lo
	v_cmp_ne_u32_e32 vcc_lo, 0, v10
	s_delay_alu instid0(VALU_DEP_2) | instskip(SKIP_3) | instid1(VALU_DEP_1)
	v_cmp_ne_u32_e64 s0, 0, v3
	s_wait_alu 0xfffd
	v_dual_cndmask_b32 v4, v14, v12 :: v_dual_cndmask_b32 v3, v13, v11
	s_wait_alu 0xf1ff
	v_cndmask_b32_e64 v4, v9, v4, s0
	s_delay_alu instid0(VALU_DEP_2) | instskip(NEXT) | instid1(VALU_DEP_2)
	v_cndmask_b32_e64 v3, v8, v3, s0
	v_xor_b32_e32 v4, v4, v5
	s_delay_alu instid0(VALU_DEP_2) | instskip(NEXT) | instid1(VALU_DEP_1)
	v_xor_b32_e32 v3, v3, v5
	v_sub_co_u32 v10, vcc_lo, v3, v5
	s_wait_alu 0xfffd
	s_delay_alu instid0(VALU_DEP_3)
	v_sub_co_ci_u32_e64 v11, null, v4, v5, vcc_lo
.LBB95_9:                               ;   in Loop: Header=BB95_3 Depth=1
	s_wait_alu 0xfffe
	s_and_not1_saveexec_b32 s0, s1
	s_cbranch_execz .LBB95_11
; %bb.10:                               ;   in Loop: Header=BB95_3 Depth=1
	s_sub_co_i32 s1, 0, s8
	v_mov_b32_e32 v11, v2
	s_wait_alu 0xfffe
	v_mul_lo_u32 v3, s1, v17
	s_delay_alu instid0(VALU_DEP_1) | instskip(NEXT) | instid1(VALU_DEP_1)
	v_mul_hi_u32 v3, v17, v3
	v_add_nc_u32_e32 v3, v17, v3
	s_delay_alu instid0(VALU_DEP_1) | instskip(NEXT) | instid1(VALU_DEP_1)
	v_mul_hi_u32 v3, v6, v3
	v_mul_lo_u32 v4, v3, s8
	v_add_nc_u32_e32 v5, 1, v3
	s_delay_alu instid0(VALU_DEP_2) | instskip(NEXT) | instid1(VALU_DEP_1)
	v_sub_nc_u32_e32 v4, v6, v4
	v_subrev_nc_u32_e32 v8, s8, v4
	v_cmp_le_u32_e32 vcc_lo, s8, v4
	s_wait_alu 0xfffd
	s_delay_alu instid0(VALU_DEP_2) | instskip(NEXT) | instid1(VALU_DEP_1)
	v_dual_cndmask_b32 v4, v4, v8 :: v_dual_cndmask_b32 v3, v3, v5
	v_cmp_le_u32_e32 vcc_lo, s8, v4
	s_delay_alu instid0(VALU_DEP_2) | instskip(SKIP_1) | instid1(VALU_DEP_1)
	v_add_nc_u32_e32 v5, 1, v3
	s_wait_alu 0xfffd
	v_cndmask_b32_e32 v10, v3, v5, vcc_lo
.LBB95_11:                              ;   in Loop: Header=BB95_3 Depth=1
	s_wait_alu 0xfffe
	s_or_b32 exec_lo, exec_lo, s0
	v_mul_lo_u32 v5, v7, s2
	v_mul_lo_u32 v12, v6, s3
	v_mad_co_u64_u32 v[3:4], null, v6, s2, 0
	v_mul_lo_u32 v13, v11, s8
	v_mul_lo_u32 v14, v10, s9
	v_mad_co_u64_u32 v[8:9], null, v10, s8, 0
	s_delay_alu instid0(VALU_DEP_4) | instskip(SKIP_1) | instid1(VALU_DEP_3)
	v_add3_u32 v5, v4, v12, v5
	v_sub_co_u32 v4, vcc_lo, v0, v3
	v_add3_u32 v3, v9, v14, v13
	s_wait_alu 0xfffd
	s_delay_alu instid0(VALU_DEP_3) | instskip(NEXT) | instid1(VALU_DEP_3)
	v_sub_co_ci_u32_e64 v5, null, v1, v5, vcc_lo
	v_mul_lo_u32 v9, s19, v4
	v_mad_co_u64_u32 v[12:13], null, s18, v4, 0
	v_mul_lo_u32 v20, s15, v4
	s_delay_alu instid0(VALU_DEP_4)
	v_mul_lo_u32 v21, s18, v5
	v_mul_lo_u32 v22, s14, v5
	v_mad_co_u64_u32 v[14:15], null, s14, v4, 0
	v_sub_co_u32 v18, vcc_lo, v6, v8
	s_wait_alu 0xfffd
	v_sub_co_ci_u32_e64 v19, null, v7, v3, vcc_lo
	v_add3_u32 v13, v13, v21, v9
	s_delay_alu instid0(VALU_DEP_3) | instskip(SKIP_1) | instid1(VALU_DEP_4)
	v_mul_lo_u32 v3, s17, v18
	v_add3_u32 v15, v15, v22, v20
	v_mul_lo_u32 v21, s16, v19
	s_and_not1_b32 vcc_lo, exec_lo, s70
	v_mad_co_u64_u32 v[8:9], null, s16, v18, v[12:13]
	v_mul_lo_u32 v12, s12, v19
	v_mul_lo_u32 v13, s13, v18
	v_mad_co_u64_u32 v[6:7], null, s12, v18, v[14:15]
	s_delay_alu instid0(VALU_DEP_4) | instskip(NEXT) | instid1(VALU_DEP_2)
	v_add3_u32 v9, v3, v9, v21
	v_add3_u32 v7, v13, v7, v12
	s_wait_alu 0xfffe
	s_cbranch_vccnz .LBB95_29
; %bb.12:                               ;   in Loop: Header=BB95_3 Depth=1
	s_and_not1_b32 vcc_lo, exec_lo, s68
	s_wait_alu 0xfffe
	s_cbranch_vccnz .LBB95_18
; %bb.13:                               ;   in Loop: Header=BB95_3 Depth=1
	s_load_b64 s[50:51], s[42:43], 0x8
                                        ; implicit-def: $vgpr12_vgpr13
	s_mov_b32 s0, exec_lo
	s_wait_kmcnt 0x0
	v_or_b32_e32 v3, s51, v11
	s_delay_alu instid0(VALU_DEP_1)
	v_cmpx_ne_u64_e32 0, v[2:3]
	s_wait_alu 0xfffe
	s_xor_b32 s1, exec_lo, s0
	s_cbranch_execz .LBB95_15
; %bb.14:                               ;   in Loop: Header=BB95_3 Depth=1
	s_ashr_i32 s52, s51, 31
	v_ashrrev_i32_e32 v3, 31, v11
	s_wait_alu 0xfffe
	s_mov_b32 s53, s52
	s_wait_alu 0xfffe
	s_add_nc_u64 s[54:55], s[50:51], s[52:53]
	v_add_co_u32 v12, vcc_lo, v10, v3
	s_wait_alu 0xfffe
	s_xor_b64 s[54:55], s[54:55], s[52:53]
	s_wait_alu 0xfffd
	v_add_co_ci_u32_e64 v13, null, v11, v3, vcc_lo
	s_wait_alu 0xfffe
	s_cvt_f32_u32 s0, s54
	s_cvt_f32_u32 s26, s55
	s_sub_nc_u64 s[58:59], 0, s[54:55]
	v_xor_b32_e32 v22, v12, v3
	v_xor_b32_e32 v23, v13, v3
	s_wait_alu 0xfffe
	s_fmamk_f32 s0, s26, 0x4f800000, s0
	v_xor_b32_e32 v3, s52, v3
	s_wait_alu 0xfffe
	s_delay_alu instid0(SALU_CYCLE_1) | instskip(NEXT) | instid1(TRANS32_DEP_1)
	v_s_rcp_f32 s0, s0
	s_mul_f32 s0, s0, 0x5f7ffffc
	s_wait_alu 0xfffe
	s_delay_alu instid0(SALU_CYCLE_2) | instskip(SKIP_1) | instid1(SALU_CYCLE_2)
	s_mul_f32 s26, s0, 0x2f800000
	s_wait_alu 0xfffe
	s_trunc_f32 s26, s26
	s_wait_alu 0xfffe
	s_delay_alu instid0(SALU_CYCLE_2) | instskip(SKIP_2) | instid1(SALU_CYCLE_1)
	s_fmamk_f32 s0, s26, 0xcf800000, s0
	s_cvt_u32_f32 s57, s26
	s_wait_alu 0xfffe
	s_cvt_u32_f32 s56, s0
	s_wait_alu 0xfffe
	s_delay_alu instid0(SALU_CYCLE_2)
	s_mul_u64 s[60:61], s[58:59], s[56:57]
	s_wait_alu 0xfffe
	s_mul_hi_u32 s63, s56, s61
	s_mul_i32 s62, s56, s61
	s_mul_hi_u32 s26, s56, s60
	s_mul_i32 s49, s57, s60
	s_wait_alu 0xfffe
	s_add_nc_u64 s[62:63], s[26:27], s[62:63]
	s_mul_hi_u32 s0, s57, s60
	s_mul_hi_u32 s53, s57, s61
	s_wait_alu 0xfffe
	s_add_co_u32 s26, s62, s49
	s_add_co_ci_u32 s26, s63, s0
	s_mul_i32 s60, s57, s61
	s_add_co_ci_u32 s61, s53, 0
	s_wait_alu 0xfffe
	s_add_nc_u64 s[60:61], s[26:27], s[60:61]
	s_wait_alu 0xfffe
	s_add_co_u32 s56, s56, s60
	s_cselect_b32 s0, -1, 0
	s_wait_alu 0xfffe
	s_cmp_lg_u32 s0, 0
	s_add_co_ci_u32 s57, s57, s61
	s_wait_alu 0xfffe
	s_mul_u64 s[58:59], s[58:59], s[56:57]
	s_wait_alu 0xfffe
	s_mul_hi_u32 s61, s56, s59
	s_mul_i32 s60, s56, s59
	s_mul_hi_u32 s26, s56, s58
	s_mul_i32 s49, s57, s58
	s_wait_alu 0xfffe
	s_add_nc_u64 s[60:61], s[26:27], s[60:61]
	s_mul_hi_u32 s0, s57, s58
	s_mul_hi_u32 s53, s57, s59
	s_wait_alu 0xfffe
	s_add_co_u32 s26, s60, s49
	s_add_co_ci_u32 s26, s61, s0
	s_mul_i32 s58, s57, s59
	s_add_co_ci_u32 s59, s53, 0
	s_wait_alu 0xfffe
	s_add_nc_u64 s[58:59], s[26:27], s[58:59]
	s_wait_alu 0xfffe
	s_add_co_u32 s0, s56, s58
	s_cselect_b32 s26, -1, 0
	s_wait_alu 0xfffe
	v_mul_hi_u32 v24, v22, s0
	s_cmp_lg_u32 s26, 0
	v_mad_co_u64_u32 v[14:15], null, v23, s0, 0
	s_add_co_ci_u32 s26, s57, s59
	s_wait_alu 0xfffe
	v_mad_co_u64_u32 v[12:13], null, v22, s26, 0
	v_mad_co_u64_u32 v[20:21], null, v23, s26, 0
	s_delay_alu instid0(VALU_DEP_2) | instskip(SKIP_1) | instid1(VALU_DEP_3)
	v_add_co_u32 v12, vcc_lo, v24, v12
	s_wait_alu 0xfffd
	v_add_co_ci_u32_e64 v13, null, 0, v13, vcc_lo
	s_delay_alu instid0(VALU_DEP_2) | instskip(SKIP_1) | instid1(VALU_DEP_2)
	v_add_co_u32 v12, vcc_lo, v12, v14
	s_wait_alu 0xfffd
	v_add_co_ci_u32_e32 v12, vcc_lo, v13, v15, vcc_lo
	s_wait_alu 0xfffd
	v_add_co_ci_u32_e32 v13, vcc_lo, 0, v21, vcc_lo
	s_delay_alu instid0(VALU_DEP_2) | instskip(SKIP_1) | instid1(VALU_DEP_2)
	v_add_co_u32 v14, vcc_lo, v12, v20
	s_wait_alu 0xfffd
	v_add_co_ci_u32_e64 v15, null, 0, v13, vcc_lo
	s_delay_alu instid0(VALU_DEP_2) | instskip(SKIP_1) | instid1(VALU_DEP_3)
	v_mul_lo_u32 v20, s55, v14
	v_mad_co_u64_u32 v[12:13], null, s54, v14, 0
	v_mul_lo_u32 v21, s54, v15
	s_delay_alu instid0(VALU_DEP_2) | instskip(NEXT) | instid1(VALU_DEP_2)
	v_sub_co_u32 v12, vcc_lo, v22, v12
	v_add3_u32 v13, v13, v21, v20
	v_add_co_u32 v21, s0, v14, 2
	s_wait_alu 0xf1ff
	v_add_co_ci_u32_e64 v22, null, 0, v15, s0
	s_delay_alu instid0(VALU_DEP_3) | instskip(SKIP_3) | instid1(VALU_DEP_3)
	v_sub_nc_u32_e32 v20, v23, v13
	v_sub_co_u32 v24, s0, v12, s54
	s_wait_alu 0xfffd
	v_sub_co_ci_u32_e64 v13, null, v23, v13, vcc_lo
	v_subrev_co_ci_u32_e64 v20, null, s55, v20, vcc_lo
	s_delay_alu instid0(VALU_DEP_3) | instskip(SKIP_1) | instid1(VALU_DEP_2)
	v_cmp_le_u32_e32 vcc_lo, s54, v24
	s_wait_alu 0xf1ff
	v_subrev_co_ci_u32_e64 v20, null, 0, v20, s0
	s_wait_alu 0xfffd
	v_cndmask_b32_e64 v23, 0, -1, vcc_lo
	s_delay_alu instid0(VALU_DEP_2)
	v_cmp_le_u32_e32 vcc_lo, s55, v20
	s_wait_alu 0xfffd
	v_cndmask_b32_e64 v24, 0, -1, vcc_lo
	v_cmp_le_u32_e32 vcc_lo, s54, v12
	s_wait_alu 0xfffd
	v_cndmask_b32_e64 v12, 0, -1, vcc_lo
	;; [unrolled: 3-line block ×3, first 2 shown]
	v_cmp_eq_u32_e32 vcc_lo, s55, v20
	s_wait_alu 0xfffd
	v_cndmask_b32_e32 v20, v24, v23, vcc_lo
	v_add_co_u32 v23, vcc_lo, v14, 1
	s_wait_alu 0xfffd
	v_add_co_ci_u32_e64 v24, null, 0, v15, vcc_lo
	v_cmp_eq_u32_e32 vcc_lo, s55, v13
	s_wait_alu 0xfffd
	v_cndmask_b32_e32 v12, v25, v12, vcc_lo
	v_cmp_ne_u32_e32 vcc_lo, 0, v20
	s_wait_alu 0xfffd
	v_cndmask_b32_e32 v13, v24, v22, vcc_lo
	s_delay_alu instid0(VALU_DEP_3) | instskip(SKIP_2) | instid1(VALU_DEP_2)
	v_cmp_ne_u32_e64 s0, 0, v12
	v_cndmask_b32_e32 v12, v23, v21, vcc_lo
	s_wait_alu 0xf1ff
	v_cndmask_b32_e64 v13, v15, v13, s0
	s_delay_alu instid0(VALU_DEP_2) | instskip(NEXT) | instid1(VALU_DEP_2)
	v_cndmask_b32_e64 v12, v14, v12, s0
	v_xor_b32_e32 v13, v13, v3
	s_delay_alu instid0(VALU_DEP_2) | instskip(NEXT) | instid1(VALU_DEP_1)
	v_xor_b32_e32 v12, v12, v3
	v_sub_co_u32 v12, vcc_lo, v12, v3
	s_wait_alu 0xfffd
	s_delay_alu instid0(VALU_DEP_3)
	v_sub_co_ci_u32_e64 v13, null, v13, v3, vcc_lo
.LBB95_15:                              ;   in Loop: Header=BB95_3 Depth=1
	s_wait_alu 0xfffe
	s_and_not1_saveexec_b32 s0, s1
	s_cbranch_execz .LBB95_17
; %bb.16:                               ;   in Loop: Header=BB95_3 Depth=1
	v_cvt_f32_u32_e32 v3, s50
	s_sub_co_i32 s1, 0, s50
	s_delay_alu instid0(VALU_DEP_1) | instskip(NEXT) | instid1(TRANS32_DEP_1)
	v_rcp_iflag_f32_e32 v3, v3
	v_mul_f32_e32 v3, 0x4f7ffffe, v3
	s_delay_alu instid0(VALU_DEP_1) | instskip(SKIP_1) | instid1(VALU_DEP_1)
	v_cvt_u32_f32_e32 v3, v3
	s_wait_alu 0xfffe
	v_mul_lo_u32 v12, s1, v3
	s_delay_alu instid0(VALU_DEP_1) | instskip(NEXT) | instid1(VALU_DEP_1)
	v_mul_hi_u32 v12, v3, v12
	v_add_nc_u32_e32 v3, v3, v12
	s_delay_alu instid0(VALU_DEP_1) | instskip(NEXT) | instid1(VALU_DEP_1)
	v_mul_hi_u32 v3, v10, v3
	v_mul_lo_u32 v12, v3, s50
	v_add_nc_u32_e32 v13, 1, v3
	s_delay_alu instid0(VALU_DEP_2) | instskip(NEXT) | instid1(VALU_DEP_1)
	v_sub_nc_u32_e32 v12, v10, v12
	v_subrev_nc_u32_e32 v14, s50, v12
	v_cmp_le_u32_e32 vcc_lo, s50, v12
	s_wait_alu 0xfffd
	s_delay_alu instid0(VALU_DEP_2) | instskip(NEXT) | instid1(VALU_DEP_1)
	v_dual_cndmask_b32 v12, v12, v14 :: v_dual_cndmask_b32 v3, v3, v13
	v_cmp_le_u32_e32 vcc_lo, s50, v12
	s_delay_alu instid0(VALU_DEP_2) | instskip(SKIP_1) | instid1(VALU_DEP_1)
	v_add_nc_u32_e32 v13, 1, v3
	s_wait_alu 0xfffd
	v_dual_cndmask_b32 v12, v3, v13 :: v_dual_mov_b32 v13, v2
.LBB95_17:                              ;   in Loop: Header=BB95_3 Depth=1
	s_wait_alu 0xfffe
	s_or_b32 exec_lo, exec_lo, s0
	s_delay_alu instid0(VALU_DEP_1) | instskip(NEXT) | instid1(VALU_DEP_2)
	v_mul_lo_u32 v3, v13, s50
	v_mul_lo_u32 v20, v12, s51
	s_load_b64 s[0:1], s[42:43], 0xd0
	v_mad_co_u64_u32 v[14:15], null, v12, s50, 0
	s_load_b64 s[50:51], s[44:45], 0xd0
	v_add3_u32 v3, v15, v20, v3
	v_sub_co_u32 v10, vcc_lo, v10, v14
	s_wait_alu 0xfffd
	s_delay_alu instid0(VALU_DEP_2) | instskip(SKIP_1) | instid1(VALU_DEP_1)
	v_sub_co_ci_u32_e64 v3, null, v11, v3, vcc_lo
	s_wait_kmcnt 0x0
	v_mul_lo_u32 v11, s0, v3
	v_mul_lo_u32 v14, s1, v10
	v_mad_co_u64_u32 v[8:9], null, s0, v10, v[8:9]
	v_mul_lo_u32 v3, s50, v3
	v_mul_lo_u32 v15, s51, v10
	v_mad_co_u64_u32 v[6:7], null, s50, v10, v[6:7]
	s_mov_b64 s[0:1], s[30:31]
	v_add3_u32 v9, v14, v9, v11
	v_dual_mov_b32 v10, v12 :: v_dual_mov_b32 v11, v13
	v_add3_u32 v7, v15, v7, v3
	s_and_not1_b32 vcc_lo, exec_lo, s69
	s_wait_alu 0xfffe
	s_cbranch_vccz .LBB95_19
	s_branch .LBB95_29
.LBB95_18:                              ;   in Loop: Header=BB95_3 Depth=1
	s_mov_b64 s[0:1], s[28:29]
	s_and_not1_b32 vcc_lo, exec_lo, s69
	s_wait_alu 0xfffe
	s_cbranch_vccnz .LBB95_29
.LBB95_19:                              ;   in Loop: Header=BB95_3 Depth=1
	s_lshl_b64 s[52:53], s[0:1], 3
	s_add_nc_u64 s[54:55], s[0:1], 1
	s_wait_alu 0xfffe
	s_add_nc_u64 s[50:51], s[46:47], s[52:53]
	s_add_nc_u64 s[52:53], s[22:23], s[52:53]
	s_branch .LBB95_21
.LBB95_20:                              ;   in Loop: Header=BB95_21 Depth=2
	s_wait_alu 0xfffe
	s_or_b32 exec_lo, exec_lo, s0
	v_mul_lo_u32 v3, v13, s56
	v_mul_lo_u32 v24, v12, s57
	v_mad_co_u64_u32 v[20:21], null, v12, s56, 0
	s_load_b64 s[0:1], s[52:53], 0xc8
	s_load_b64 s[56:57], s[50:51], 0x0
	v_mul_lo_u32 v25, v15, s62
	v_mul_lo_u32 v26, v14, s63
	v_mad_co_u64_u32 v[22:23], null, v14, s62, 0
	v_add3_u32 v3, v21, v24, v3
	v_sub_co_u32 v10, vcc_lo, v10, v20
	s_add_nc_u64 s[54:55], s[54:55], -2
	s_add_nc_u64 s[50:51], s[50:51], -16
	s_wait_alu 0xfffd
	v_sub_co_ci_u32_e64 v3, null, v11, v3, vcc_lo
	v_mul_lo_u32 v11, s61, v10
	v_mad_co_u64_u32 v[8:9], null, s60, v10, v[8:9]
	s_delay_alu instid0(VALU_DEP_3)
	v_mul_lo_u32 v20, s60, v3
	v_mul_lo_u32 v21, s59, v10
	v_mad_co_u64_u32 v[6:7], null, s58, v10, v[6:7]
	v_mul_lo_u32 v3, s58, v3
	v_add3_u32 v10, v23, v26, v25
	s_wait_alu 0xfffe
	s_cmp_eq_u64 s[54:55], 0
	s_add_nc_u64 s[52:53], s[52:53], -16
	v_add3_u32 v9, v11, v9, v20
	v_sub_co_u32 v11, vcc_lo, v12, v22
	s_wait_alu 0xfffd
	v_sub_co_ci_u32_e64 v10, null, v13, v10, vcc_lo
	v_add3_u32 v7, v21, v7, v3
	s_wait_kmcnt 0x0
	v_mad_co_u64_u32 v[8:9], null, s0, v11, v[8:9]
	s_delay_alu instid0(VALU_DEP_3) | instskip(SKIP_4) | instid1(VALU_DEP_4)
	v_mul_lo_u32 v3, s0, v10
	v_mul_lo_u32 v12, s1, v11
	v_mul_lo_u32 v10, s56, v10
	v_mul_lo_u32 v13, s57, v11
	v_mad_co_u64_u32 v[6:7], null, s56, v11, v[6:7]
	v_add3_u32 v9, v12, v9, v3
	s_delay_alu instid0(VALU_DEP_2)
	v_add3_u32 v7, v13, v7, v10
	v_dual_mov_b32 v10, v14 :: v_dual_mov_b32 v11, v15
	s_cbranch_scc1 .LBB95_29
.LBB95_21:                              ;   Parent Loop BB95_3 Depth=1
                                        ; =>  This Inner Loop Header: Depth=2
	s_load_b64 s[56:57], s[52:53], 0x8
                                        ; implicit-def: $vgpr12_vgpr13
	s_mov_b32 s0, exec_lo
	s_wait_kmcnt 0x0
	v_or_b32_e32 v3, s57, v11
	s_delay_alu instid0(VALU_DEP_1)
	v_cmpx_ne_u64_e32 0, v[2:3]
	s_wait_alu 0xfffe
	s_xor_b32 s1, exec_lo, s0
	s_cbranch_execz .LBB95_23
; %bb.22:                               ;   in Loop: Header=BB95_21 Depth=2
	s_ashr_i32 s58, s57, 31
	v_ashrrev_i32_e32 v3, 31, v11
	s_wait_alu 0xfffe
	s_mov_b32 s59, s58
	s_wait_alu 0xfffe
	s_add_nc_u64 s[60:61], s[56:57], s[58:59]
	v_add_co_u32 v12, vcc_lo, v10, v3
	s_wait_alu 0xfffe
	s_xor_b64 s[60:61], s[60:61], s[58:59]
	s_wait_alu 0xfffd
	v_add_co_ci_u32_e64 v13, null, v11, v3, vcc_lo
	s_wait_alu 0xfffe
	s_cvt_f32_u32 s0, s60
	s_cvt_f32_u32 s26, s61
	s_sub_nc_u64 s[64:65], 0, s[60:61]
	v_xor_b32_e32 v22, v12, v3
	v_xor_b32_e32 v23, v13, v3
	s_wait_alu 0xfffe
	s_fmamk_f32 s0, s26, 0x4f800000, s0
	v_xor_b32_e32 v3, s58, v3
	s_wait_alu 0xfffe
	s_delay_alu instid0(SALU_CYCLE_1) | instskip(NEXT) | instid1(TRANS32_DEP_1)
	v_s_rcp_f32 s0, s0
	s_mul_f32 s0, s0, 0x5f7ffffc
	s_wait_alu 0xfffe
	s_delay_alu instid0(SALU_CYCLE_2) | instskip(SKIP_1) | instid1(SALU_CYCLE_2)
	s_mul_f32 s26, s0, 0x2f800000
	s_wait_alu 0xfffe
	s_trunc_f32 s26, s26
	s_wait_alu 0xfffe
	s_delay_alu instid0(SALU_CYCLE_2) | instskip(SKIP_2) | instid1(SALU_CYCLE_1)
	s_fmamk_f32 s0, s26, 0xcf800000, s0
	s_cvt_u32_f32 s63, s26
	s_wait_alu 0xfffe
	s_cvt_u32_f32 s62, s0
	s_wait_alu 0xfffe
	s_delay_alu instid0(SALU_CYCLE_2)
	s_mul_u64 s[66:67], s[64:65], s[62:63]
	s_wait_alu 0xfffe
	s_mul_hi_u32 s73, s62, s67
	s_mul_i32 s72, s62, s67
	s_mul_hi_u32 s26, s62, s66
	s_mul_i32 s49, s63, s66
	s_wait_alu 0xfffe
	s_add_nc_u64 s[72:73], s[26:27], s[72:73]
	s_mul_hi_u32 s0, s63, s66
	s_mul_hi_u32 s59, s63, s67
	s_add_co_u32 s26, s72, s49
	s_wait_alu 0xfffe
	s_add_co_ci_u32 s26, s73, s0
	s_mul_i32 s66, s63, s67
	s_add_co_ci_u32 s67, s59, 0
	s_wait_alu 0xfffe
	s_add_nc_u64 s[66:67], s[26:27], s[66:67]
	s_wait_alu 0xfffe
	s_add_co_u32 s62, s62, s66
	s_cselect_b32 s0, -1, 0
	s_wait_alu 0xfffe
	s_cmp_lg_u32 s0, 0
	s_add_co_ci_u32 s63, s63, s67
	s_wait_alu 0xfffe
	s_mul_u64 s[64:65], s[64:65], s[62:63]
	s_wait_alu 0xfffe
	s_mul_hi_u32 s67, s62, s65
	s_mul_i32 s66, s62, s65
	s_mul_hi_u32 s26, s62, s64
	s_mul_i32 s49, s63, s64
	s_wait_alu 0xfffe
	s_add_nc_u64 s[66:67], s[26:27], s[66:67]
	s_mul_hi_u32 s0, s63, s64
	s_mul_hi_u32 s59, s63, s65
	s_wait_alu 0xfffe
	s_add_co_u32 s26, s66, s49
	s_add_co_ci_u32 s26, s67, s0
	s_mul_i32 s64, s63, s65
	s_add_co_ci_u32 s65, s59, 0
	s_wait_alu 0xfffe
	s_add_nc_u64 s[64:65], s[26:27], s[64:65]
	s_wait_alu 0xfffe
	s_add_co_u32 s0, s62, s64
	s_cselect_b32 s26, -1, 0
	s_wait_alu 0xfffe
	v_mul_hi_u32 v24, v22, s0
	s_cmp_lg_u32 s26, 0
	v_mad_co_u64_u32 v[14:15], null, v23, s0, 0
	s_add_co_ci_u32 s26, s63, s65
	s_wait_alu 0xfffe
	v_mad_co_u64_u32 v[12:13], null, v22, s26, 0
	v_mad_co_u64_u32 v[20:21], null, v23, s26, 0
	s_delay_alu instid0(VALU_DEP_2) | instskip(SKIP_1) | instid1(VALU_DEP_3)
	v_add_co_u32 v12, vcc_lo, v24, v12
	s_wait_alu 0xfffd
	v_add_co_ci_u32_e64 v13, null, 0, v13, vcc_lo
	s_delay_alu instid0(VALU_DEP_2) | instskip(SKIP_1) | instid1(VALU_DEP_2)
	v_add_co_u32 v12, vcc_lo, v12, v14
	s_wait_alu 0xfffd
	v_add_co_ci_u32_e32 v12, vcc_lo, v13, v15, vcc_lo
	s_wait_alu 0xfffd
	v_add_co_ci_u32_e32 v13, vcc_lo, 0, v21, vcc_lo
	s_delay_alu instid0(VALU_DEP_2) | instskip(SKIP_1) | instid1(VALU_DEP_2)
	v_add_co_u32 v14, vcc_lo, v12, v20
	s_wait_alu 0xfffd
	v_add_co_ci_u32_e64 v15, null, 0, v13, vcc_lo
	s_delay_alu instid0(VALU_DEP_2) | instskip(SKIP_1) | instid1(VALU_DEP_3)
	v_mul_lo_u32 v20, s61, v14
	v_mad_co_u64_u32 v[12:13], null, s60, v14, 0
	v_mul_lo_u32 v21, s60, v15
	s_delay_alu instid0(VALU_DEP_2) | instskip(NEXT) | instid1(VALU_DEP_2)
	v_sub_co_u32 v12, vcc_lo, v22, v12
	v_add3_u32 v13, v13, v21, v20
	v_add_co_u32 v21, s0, v14, 2
	s_wait_alu 0xf1ff
	v_add_co_ci_u32_e64 v22, null, 0, v15, s0
	s_delay_alu instid0(VALU_DEP_3) | instskip(SKIP_3) | instid1(VALU_DEP_3)
	v_sub_nc_u32_e32 v20, v23, v13
	v_sub_co_u32 v24, s0, v12, s60
	s_wait_alu 0xfffd
	v_sub_co_ci_u32_e64 v13, null, v23, v13, vcc_lo
	v_subrev_co_ci_u32_e64 v20, null, s61, v20, vcc_lo
	s_delay_alu instid0(VALU_DEP_3) | instskip(SKIP_1) | instid1(VALU_DEP_2)
	v_cmp_le_u32_e32 vcc_lo, s60, v24
	s_wait_alu 0xf1ff
	v_subrev_co_ci_u32_e64 v20, null, 0, v20, s0
	s_wait_alu 0xfffd
	v_cndmask_b32_e64 v23, 0, -1, vcc_lo
	s_delay_alu instid0(VALU_DEP_2)
	v_cmp_le_u32_e32 vcc_lo, s61, v20
	s_wait_alu 0xfffd
	v_cndmask_b32_e64 v24, 0, -1, vcc_lo
	v_cmp_le_u32_e32 vcc_lo, s60, v12
	s_wait_alu 0xfffd
	v_cndmask_b32_e64 v12, 0, -1, vcc_lo
	;; [unrolled: 3-line block ×3, first 2 shown]
	v_cmp_eq_u32_e32 vcc_lo, s61, v20
	s_wait_alu 0xfffd
	v_cndmask_b32_e32 v20, v24, v23, vcc_lo
	v_add_co_u32 v23, vcc_lo, v14, 1
	s_wait_alu 0xfffd
	v_add_co_ci_u32_e64 v24, null, 0, v15, vcc_lo
	v_cmp_eq_u32_e32 vcc_lo, s61, v13
	s_wait_alu 0xfffd
	v_cndmask_b32_e32 v12, v25, v12, vcc_lo
	v_cmp_ne_u32_e32 vcc_lo, 0, v20
	s_wait_alu 0xfffd
	v_cndmask_b32_e32 v13, v24, v22, vcc_lo
	s_delay_alu instid0(VALU_DEP_3) | instskip(SKIP_2) | instid1(VALU_DEP_2)
	v_cmp_ne_u32_e64 s0, 0, v12
	v_cndmask_b32_e32 v12, v23, v21, vcc_lo
	s_wait_alu 0xf1ff
	v_cndmask_b32_e64 v13, v15, v13, s0
	s_delay_alu instid0(VALU_DEP_2) | instskip(NEXT) | instid1(VALU_DEP_2)
	v_cndmask_b32_e64 v12, v14, v12, s0
	v_xor_b32_e32 v13, v13, v3
	s_delay_alu instid0(VALU_DEP_2) | instskip(NEXT) | instid1(VALU_DEP_1)
	v_xor_b32_e32 v12, v12, v3
	v_sub_co_u32 v12, vcc_lo, v12, v3
	s_wait_alu 0xfffd
	s_delay_alu instid0(VALU_DEP_3)
	v_sub_co_ci_u32_e64 v13, null, v13, v3, vcc_lo
.LBB95_23:                              ;   in Loop: Header=BB95_21 Depth=2
	s_wait_alu 0xfffe
	s_and_not1_saveexec_b32 s0, s1
	s_cbranch_execz .LBB95_25
; %bb.24:                               ;   in Loop: Header=BB95_21 Depth=2
	v_cvt_f32_u32_e32 v3, s56
	s_sub_co_i32 s1, 0, s56
	s_delay_alu instid0(VALU_DEP_1) | instskip(NEXT) | instid1(TRANS32_DEP_1)
	v_rcp_iflag_f32_e32 v3, v3
	v_mul_f32_e32 v3, 0x4f7ffffe, v3
	s_delay_alu instid0(VALU_DEP_1) | instskip(SKIP_1) | instid1(VALU_DEP_1)
	v_cvt_u32_f32_e32 v3, v3
	s_wait_alu 0xfffe
	v_mul_lo_u32 v12, s1, v3
	s_delay_alu instid0(VALU_DEP_1) | instskip(NEXT) | instid1(VALU_DEP_1)
	v_mul_hi_u32 v12, v3, v12
	v_add_nc_u32_e32 v3, v3, v12
	s_delay_alu instid0(VALU_DEP_1) | instskip(NEXT) | instid1(VALU_DEP_1)
	v_mul_hi_u32 v3, v10, v3
	v_mul_lo_u32 v12, v3, s56
	v_add_nc_u32_e32 v13, 1, v3
	s_delay_alu instid0(VALU_DEP_2) | instskip(NEXT) | instid1(VALU_DEP_1)
	v_sub_nc_u32_e32 v12, v10, v12
	v_subrev_nc_u32_e32 v14, s56, v12
	v_cmp_le_u32_e32 vcc_lo, s56, v12
	s_wait_alu 0xfffd
	s_delay_alu instid0(VALU_DEP_2) | instskip(NEXT) | instid1(VALU_DEP_1)
	v_dual_cndmask_b32 v12, v12, v14 :: v_dual_cndmask_b32 v3, v3, v13
	v_cmp_le_u32_e32 vcc_lo, s56, v12
	s_delay_alu instid0(VALU_DEP_2) | instskip(SKIP_1) | instid1(VALU_DEP_1)
	v_add_nc_u32_e32 v13, 1, v3
	s_wait_alu 0xfffd
	v_dual_cndmask_b32 v12, v3, v13 :: v_dual_mov_b32 v13, v2
.LBB95_25:                              ;   in Loop: Header=BB95_21 Depth=2
	s_wait_alu 0xfffe
	s_or_b32 exec_lo, exec_lo, s0
	s_clause 0x1
	s_load_b64 s[62:63], s[52:53], 0x0
	s_load_b64 s[60:61], s[52:53], 0xd0
	;; [unrolled: 1-line block ×3, first 2 shown]
                                        ; implicit-def: $vgpr14_vgpr15
	s_mov_b32 s0, exec_lo
	s_wait_kmcnt 0x0
	v_or_b32_e32 v3, s63, v13
	s_delay_alu instid0(VALU_DEP_1)
	v_cmpx_ne_u64_e32 0, v[2:3]
	s_wait_alu 0xfffe
	s_xor_b32 s1, exec_lo, s0
	s_cbranch_execz .LBB95_27
; %bb.26:                               ;   in Loop: Header=BB95_21 Depth=2
	s_ashr_i32 s64, s63, 31
	v_ashrrev_i32_e32 v3, 31, v13
	s_wait_alu 0xfffe
	s_mov_b32 s65, s64
	s_wait_alu 0xfffe
	s_add_nc_u64 s[66:67], s[62:63], s[64:65]
	v_add_co_u32 v14, vcc_lo, v12, v3
	s_wait_alu 0xfffe
	s_xor_b64 s[66:67], s[66:67], s[64:65]
	s_wait_alu 0xfffd
	v_add_co_ci_u32_e64 v15, null, v13, v3, vcc_lo
	s_wait_alu 0xfffe
	s_cvt_f32_u32 s0, s66
	s_cvt_f32_u32 s26, s67
	s_sub_nc_u64 s[74:75], 0, s[66:67]
	v_xor_b32_e32 v24, v14, v3
	v_xor_b32_e32 v25, v15, v3
	s_wait_alu 0xfffe
	s_fmamk_f32 s0, s26, 0x4f800000, s0
	v_xor_b32_e32 v3, s64, v3
	s_wait_alu 0xfffe
	s_delay_alu instid0(SALU_CYCLE_1) | instskip(NEXT) | instid1(TRANS32_DEP_1)
	v_s_rcp_f32 s0, s0
	s_mul_f32 s0, s0, 0x5f7ffffc
	s_wait_alu 0xfffe
	s_delay_alu instid0(SALU_CYCLE_2) | instskip(SKIP_1) | instid1(SALU_CYCLE_2)
	s_mul_f32 s26, s0, 0x2f800000
	s_wait_alu 0xfffe
	s_trunc_f32 s26, s26
	s_wait_alu 0xfffe
	s_delay_alu instid0(SALU_CYCLE_2) | instskip(SKIP_2) | instid1(SALU_CYCLE_1)
	s_fmamk_f32 s0, s26, 0xcf800000, s0
	s_cvt_u32_f32 s73, s26
	s_wait_alu 0xfffe
	s_cvt_u32_f32 s72, s0
	s_delay_alu instid0(SALU_CYCLE_3) | instskip(NEXT) | instid1(SALU_CYCLE_1)
	s_mul_u64 s[76:77], s[74:75], s[72:73]
	s_mul_hi_u32 s79, s72, s77
	s_mul_i32 s78, s72, s77
	s_mul_hi_u32 s26, s72, s76
	s_mul_i32 s49, s73, s76
	s_wait_alu 0xfffe
	s_add_nc_u64 s[78:79], s[26:27], s[78:79]
	s_mul_hi_u32 s0, s73, s76
	s_mul_hi_u32 s65, s73, s77
	s_add_co_u32 s26, s78, s49
	s_wait_alu 0xfffe
	s_add_co_ci_u32 s26, s79, s0
	s_mul_i32 s76, s73, s77
	s_add_co_ci_u32 s77, s65, 0
	s_wait_alu 0xfffe
	s_add_nc_u64 s[76:77], s[26:27], s[76:77]
	s_delay_alu instid0(SALU_CYCLE_1) | instskip(SKIP_4) | instid1(SALU_CYCLE_1)
	s_add_co_u32 s72, s72, s76
	s_cselect_b32 s0, -1, 0
	s_wait_alu 0xfffe
	s_cmp_lg_u32 s0, 0
	s_add_co_ci_u32 s73, s73, s77
	s_mul_u64 s[74:75], s[74:75], s[72:73]
	s_delay_alu instid0(SALU_CYCLE_1)
	s_mul_hi_u32 s77, s72, s75
	s_mul_i32 s76, s72, s75
	s_mul_hi_u32 s26, s72, s74
	s_mul_i32 s49, s73, s74
	s_wait_alu 0xfffe
	s_add_nc_u64 s[76:77], s[26:27], s[76:77]
	s_mul_hi_u32 s0, s73, s74
	s_mul_hi_u32 s65, s73, s75
	s_add_co_u32 s26, s76, s49
	s_wait_alu 0xfffe
	s_add_co_ci_u32 s26, s77, s0
	s_mul_i32 s74, s73, s75
	s_add_co_ci_u32 s75, s65, 0
	s_wait_alu 0xfffe
	s_add_nc_u64 s[74:75], s[26:27], s[74:75]
	s_delay_alu instid0(SALU_CYCLE_1)
	s_add_co_u32 s0, s72, s74
	s_cselect_b32 s26, -1, 0
	s_wait_alu 0xfffe
	v_mul_hi_u32 v26, v24, s0
	s_cmp_lg_u32 s26, 0
	v_mad_co_u64_u32 v[20:21], null, v25, s0, 0
	s_add_co_ci_u32 s26, s73, s75
	s_wait_alu 0xfffe
	v_mad_co_u64_u32 v[14:15], null, v24, s26, 0
	v_mad_co_u64_u32 v[22:23], null, v25, s26, 0
	s_delay_alu instid0(VALU_DEP_2) | instskip(SKIP_1) | instid1(VALU_DEP_3)
	v_add_co_u32 v14, vcc_lo, v26, v14
	s_wait_alu 0xfffd
	v_add_co_ci_u32_e64 v15, null, 0, v15, vcc_lo
	s_delay_alu instid0(VALU_DEP_2) | instskip(SKIP_1) | instid1(VALU_DEP_2)
	v_add_co_u32 v14, vcc_lo, v14, v20
	s_wait_alu 0xfffd
	v_add_co_ci_u32_e32 v14, vcc_lo, v15, v21, vcc_lo
	s_wait_alu 0xfffd
	v_add_co_ci_u32_e32 v15, vcc_lo, 0, v23, vcc_lo
	s_delay_alu instid0(VALU_DEP_2) | instskip(SKIP_1) | instid1(VALU_DEP_2)
	v_add_co_u32 v20, vcc_lo, v14, v22
	s_wait_alu 0xfffd
	v_add_co_ci_u32_e64 v21, null, 0, v15, vcc_lo
	s_delay_alu instid0(VALU_DEP_2) | instskip(SKIP_1) | instid1(VALU_DEP_3)
	v_mul_lo_u32 v22, s67, v20
	v_mad_co_u64_u32 v[14:15], null, s66, v20, 0
	v_mul_lo_u32 v23, s66, v21
	s_delay_alu instid0(VALU_DEP_2) | instskip(NEXT) | instid1(VALU_DEP_2)
	v_sub_co_u32 v14, vcc_lo, v24, v14
	v_add3_u32 v15, v15, v23, v22
	v_add_co_u32 v23, s0, v20, 2
	s_wait_alu 0xf1ff
	v_add_co_ci_u32_e64 v24, null, 0, v21, s0
	s_delay_alu instid0(VALU_DEP_3) | instskip(SKIP_3) | instid1(VALU_DEP_3)
	v_sub_nc_u32_e32 v22, v25, v15
	v_sub_co_u32 v26, s0, v14, s66
	s_wait_alu 0xfffd
	v_sub_co_ci_u32_e64 v15, null, v25, v15, vcc_lo
	v_subrev_co_ci_u32_e64 v22, null, s67, v22, vcc_lo
	s_delay_alu instid0(VALU_DEP_3) | instskip(SKIP_1) | instid1(VALU_DEP_2)
	v_cmp_le_u32_e32 vcc_lo, s66, v26
	s_wait_alu 0xf1ff
	v_subrev_co_ci_u32_e64 v22, null, 0, v22, s0
	s_wait_alu 0xfffd
	v_cndmask_b32_e64 v25, 0, -1, vcc_lo
	s_delay_alu instid0(VALU_DEP_2)
	v_cmp_le_u32_e32 vcc_lo, s67, v22
	s_wait_alu 0xfffd
	v_cndmask_b32_e64 v26, 0, -1, vcc_lo
	v_cmp_le_u32_e32 vcc_lo, s66, v14
	s_wait_alu 0xfffd
	v_cndmask_b32_e64 v14, 0, -1, vcc_lo
	;; [unrolled: 3-line block ×3, first 2 shown]
	v_cmp_eq_u32_e32 vcc_lo, s67, v22
	s_wait_alu 0xfffd
	v_cndmask_b32_e32 v22, v26, v25, vcc_lo
	v_add_co_u32 v25, vcc_lo, v20, 1
	s_wait_alu 0xfffd
	v_add_co_ci_u32_e64 v26, null, 0, v21, vcc_lo
	v_cmp_eq_u32_e32 vcc_lo, s67, v15
	s_wait_alu 0xfffd
	v_cndmask_b32_e32 v14, v27, v14, vcc_lo
	v_cmp_ne_u32_e32 vcc_lo, 0, v22
	s_wait_alu 0xfffd
	v_cndmask_b32_e32 v15, v26, v24, vcc_lo
	s_delay_alu instid0(VALU_DEP_3) | instskip(SKIP_2) | instid1(VALU_DEP_2)
	v_cmp_ne_u32_e64 s0, 0, v14
	v_cndmask_b32_e32 v14, v25, v23, vcc_lo
	s_wait_alu 0xf1ff
	v_cndmask_b32_e64 v15, v21, v15, s0
	s_delay_alu instid0(VALU_DEP_2) | instskip(NEXT) | instid1(VALU_DEP_2)
	v_cndmask_b32_e64 v14, v20, v14, s0
	v_xor_b32_e32 v15, v15, v3
	s_delay_alu instid0(VALU_DEP_2) | instskip(NEXT) | instid1(VALU_DEP_1)
	v_xor_b32_e32 v14, v14, v3
	v_sub_co_u32 v14, vcc_lo, v14, v3
	s_wait_alu 0xfffd
	s_delay_alu instid0(VALU_DEP_3)
	v_sub_co_ci_u32_e64 v15, null, v15, v3, vcc_lo
.LBB95_27:                              ;   in Loop: Header=BB95_21 Depth=2
	s_wait_alu 0xfffe
	s_and_not1_saveexec_b32 s0, s1
	s_cbranch_execz .LBB95_20
; %bb.28:                               ;   in Loop: Header=BB95_21 Depth=2
	v_cvt_f32_u32_e32 v3, s62
	s_sub_co_i32 s1, 0, s62
	s_delay_alu instid0(VALU_DEP_1) | instskip(NEXT) | instid1(TRANS32_DEP_1)
	v_rcp_iflag_f32_e32 v3, v3
	v_mul_f32_e32 v3, 0x4f7ffffe, v3
	s_delay_alu instid0(VALU_DEP_1) | instskip(SKIP_1) | instid1(VALU_DEP_1)
	v_cvt_u32_f32_e32 v3, v3
	s_wait_alu 0xfffe
	v_mul_lo_u32 v14, s1, v3
	s_delay_alu instid0(VALU_DEP_1) | instskip(NEXT) | instid1(VALU_DEP_1)
	v_mul_hi_u32 v14, v3, v14
	v_add_nc_u32_e32 v3, v3, v14
	s_delay_alu instid0(VALU_DEP_1) | instskip(NEXT) | instid1(VALU_DEP_1)
	v_mul_hi_u32 v3, v12, v3
	v_mul_lo_u32 v14, v3, s62
	v_add_nc_u32_e32 v15, 1, v3
	s_delay_alu instid0(VALU_DEP_2) | instskip(NEXT) | instid1(VALU_DEP_1)
	v_sub_nc_u32_e32 v14, v12, v14
	v_subrev_nc_u32_e32 v20, s62, v14
	v_cmp_le_u32_e32 vcc_lo, s62, v14
	s_wait_alu 0xfffd
	s_delay_alu instid0(VALU_DEP_2) | instskip(NEXT) | instid1(VALU_DEP_1)
	v_dual_cndmask_b32 v14, v14, v20 :: v_dual_cndmask_b32 v3, v3, v15
	v_cmp_le_u32_e32 vcc_lo, s62, v14
	s_delay_alu instid0(VALU_DEP_2) | instskip(SKIP_1) | instid1(VALU_DEP_1)
	v_add_nc_u32_e32 v15, 1, v3
	s_wait_alu 0xfffd
	v_dual_cndmask_b32 v14, v3, v15 :: v_dual_mov_b32 v15, v2
	s_branch .LBB95_20
.LBB95_29:                              ;   in Loop: Header=BB95_3 Depth=1
	v_sub_co_u32 v10, vcc_lo, v4, v18
	s_wait_alu 0xfffd
	v_sub_co_ci_u32_e64 v11, null, v5, v19, vcc_lo
	v_dual_mov_b32 v18, 0 :: v_dual_mov_b32 v15, 0
	s_delay_alu instid0(VALU_DEP_3) | instskip(SKIP_1) | instid1(VALU_DEP_3)
	v_add_co_u32 v12, vcc_lo, v10, 4
	s_wait_alu 0xfffd
	v_add_co_ci_u32_e64 v13, null, 0, v11, vcc_lo
	v_mov_b32_e32 v3, 0
	s_delay_alu instid0(VALU_DEP_2)
	v_cmp_le_i64_e32 vcc_lo, s[4:5], v[12:13]
	v_mov_b32_e32 v12, 0
	s_and_saveexec_b32 s0, vcc_lo
	s_cbranch_execz .LBB95_39
; %bb.30:                               ;   in Loop: Header=BB95_3 Depth=1
	v_dual_mov_b32 v14, 0 :: v_dual_mov_b32 v13, 0
	v_dual_mov_b32 v3, 0 :: v_dual_mov_b32 v12, 0
	s_mov_b32 s1, exec_lo
	v_cmpx_gt_i64_e64 s[10:11], v[4:5]
	s_cbranch_execz .LBB95_38
; %bb.31:                               ;   in Loop: Header=BB95_3 Depth=1
	v_lshlrev_b64_e32 v[8:9], 1, v[8:9]
	v_mov_b32_e32 v3, 0
	s_delay_alu instid0(VALU_DEP_2) | instskip(SKIP_1) | instid1(VALU_DEP_3)
	v_add_co_u32 v8, vcc_lo, s20, v8
	s_wait_alu 0xfffd
	v_add_co_ci_u32_e64 v9, null, s21, v9, vcc_lo
	v_add_co_u32 v13, vcc_lo, v4, 1
	s_wait_alu 0xfffd
	v_add_co_ci_u32_e64 v14, null, 0, v5, vcc_lo
	global_load_u16 v12, v[8:9], off
	v_cmp_gt_i64_e32 vcc_lo, s[10:11], v[13:14]
	v_dual_mov_b32 v13, 0 :: v_dual_mov_b32 v14, 0
	s_and_saveexec_b32 s26, vcc_lo
	s_wait_alu 0xfffe
	s_xor_b32 s26, exec_lo, s26
	s_cbranch_execz .LBB95_37
; %bb.32:                               ;   in Loop: Header=BB95_3 Depth=1
	s_lshl_b64 s[50:51], s[18:19], 1
	s_wait_alu 0xfffe
	v_add_co_u32 v13, vcc_lo, v8, s50
	s_wait_alu 0xfffd
	v_add_co_ci_u32_e64 v14, null, s51, v9, vcc_lo
	global_load_u16 v3, v[13:14], off
	v_add_co_u32 v13, vcc_lo, v4, 2
	s_wait_alu 0xfffd
	v_add_co_ci_u32_e64 v14, null, 0, v5, vcc_lo
	s_delay_alu instid0(VALU_DEP_1)
	v_cmp_gt_i64_e32 vcc_lo, s[10:11], v[13:14]
	v_dual_mov_b32 v13, 0 :: v_dual_mov_b32 v14, 0
	s_and_saveexec_b32 s49, vcc_lo
	s_wait_alu 0xfffe
	s_xor_b32 s49, exec_lo, s49
	s_cbranch_execz .LBB95_36
; %bb.33:                               ;   in Loop: Header=BB95_3 Depth=1
	v_add_co_u32 v13, vcc_lo, v8, s38
	s_wait_alu 0xfffd
	v_add_co_ci_u32_e64 v14, null, s39, v9, vcc_lo
	global_load_u16 v13, v[13:14], off
	v_add_co_u32 v14, vcc_lo, v4, 3
	s_wait_alu 0xfffd
	v_add_co_ci_u32_e64 v15, null, 0, v5, vcc_lo
	s_delay_alu instid0(VALU_DEP_1)
	v_cmp_gt_i64_e32 vcc_lo, s[10:11], v[14:15]
	v_mov_b32_e32 v14, 0
	s_and_saveexec_b32 s50, vcc_lo
	s_wait_alu 0xfffe
	s_xor_b32 s50, exec_lo, s50
	s_cbranch_execz .LBB95_35
; %bb.34:                               ;   in Loop: Header=BB95_3 Depth=1
	v_add_co_u32 v8, vcc_lo, v8, s40
	s_wait_alu 0xfffd
	v_add_co_ci_u32_e64 v9, null, s41, v9, vcc_lo
	global_load_u16 v14, v[8:9], off
.LBB95_35:                              ;   in Loop: Header=BB95_3 Depth=1
	s_wait_alu 0xfffe
	s_or_b32 exec_lo, exec_lo, s50
.LBB95_36:                              ;   in Loop: Header=BB95_3 Depth=1
	s_wait_alu 0xfffe
	s_or_b32 exec_lo, exec_lo, s49
.LBB95_37:                              ;   in Loop: Header=BB95_3 Depth=1
	s_wait_alu 0xfffe
	s_or_b32 exec_lo, exec_lo, s26
.LBB95_38:                              ;   in Loop: Header=BB95_3 Depth=1
	s_wait_alu 0xfffe
	s_or_b32 exec_lo, exec_lo, s1
	v_cmp_le_i64_e32 vcc_lo, s[4:5], v[10:11]
	s_wait_loadcnt 0x0
	s_wait_alu 0xfffd
	v_cndmask_b32_e32 v18, 0, v12, vcc_lo
	v_add_co_u32 v8, vcc_lo, v10, 1
	s_wait_alu 0xfffd
	v_add_co_ci_u32_e64 v9, null, 0, v11, vcc_lo
	v_add_co_u32 v19, vcc_lo, v10, 2
	s_wait_alu 0xfffd
	v_add_co_ci_u32_e64 v20, null, 0, v11, vcc_lo
	;; [unrolled: 3-line block ×3, first 2 shown]
	v_cmp_le_i64_e32 vcc_lo, s[4:5], v[8:9]
	s_wait_alu 0xfffd
	v_cndmask_b32_e32 v15, 0, v3, vcc_lo
	v_cmp_le_i64_e32 vcc_lo, s[4:5], v[19:20]
	s_wait_alu 0xfffd
	v_cndmask_b32_e32 v12, 0, v13, vcc_lo
	;; [unrolled: 3-line block ×3, first 2 shown]
.LBB95_39:                              ;   in Loop: Header=BB95_3 Depth=1
	s_wait_alu 0xfffe
	s_or_b32 exec_lo, exec_lo, s0
	s_delay_alu instid0(SALU_CYCLE_1)
	s_mov_b32 s0, exec_lo
	v_cmpx_gt_i64_e64 s[10:11], v[4:5]
	s_cbranch_execz .LBB95_2
; %bb.40:                               ;   in Loop: Header=BB95_3 Depth=1
	v_lshlrev_b64_e32 v[6:7], 1, v[6:7]
	v_add_co_u32 v8, vcc_lo, v4, 1
	s_wait_alu 0xfffd
	v_add_co_ci_u32_e64 v9, null, 0, v5, vcc_lo
	s_mov_b32 s1, exec_lo
	v_add_co_u32 v6, vcc_lo, s24, v6
	s_wait_alu 0xfffd
	v_add_co_ci_u32_e64 v7, null, s25, v7, vcc_lo
	global_store_b16 v[6:7], v18, off
	v_cmpx_gt_i64_e64 s[10:11], v[8:9]
	s_wait_alu 0xfffe
	s_xor_b32 s1, exec_lo, s1
	s_cbranch_execz .LBB95_2
; %bb.41:                               ;   in Loop: Header=BB95_3 Depth=1
	s_lshl_b64 s[50:51], s[14:15], 1
	v_add_co_u32 v8, vcc_lo, v4, 2
	s_wait_alu 0xfffd
	v_add_co_ci_u32_e64 v9, null, 0, v5, vcc_lo
	s_wait_alu 0xfffe
	v_add_co_u32 v10, vcc_lo, v6, s50
	s_wait_alu 0xfffd
	v_add_co_ci_u32_e64 v11, null, s51, v7, vcc_lo
	s_mov_b32 s1, exec_lo
	global_store_b16 v[10:11], v15, off
	v_cmpx_gt_i64_e64 s[10:11], v[8:9]
	s_wait_alu 0xfffe
	s_xor_b32 s1, exec_lo, s1
	s_cbranch_execz .LBB95_2
; %bb.42:                               ;   in Loop: Header=BB95_3 Depth=1
	v_add_co_u32 v4, vcc_lo, v4, 3
	s_wait_alu 0xfffd
	v_add_co_ci_u32_e64 v5, null, 0, v5, vcc_lo
	v_add_co_u32 v8, vcc_lo, v6, s34
	s_wait_alu 0xfffd
	v_add_co_ci_u32_e64 v9, null, s35, v7, vcc_lo
	s_mov_b32 s1, exec_lo
	global_store_b16 v[8:9], v12, off
	v_cmpx_gt_i64_e64 s[10:11], v[4:5]
	s_wait_alu 0xfffe
	s_xor_b32 s1, exec_lo, s1
	s_cbranch_execz .LBB95_2
; %bb.43:                               ;   in Loop: Header=BB95_3 Depth=1
	v_add_co_u32 v4, vcc_lo, v6, s36
	s_wait_alu 0xfffd
	v_add_co_ci_u32_e64 v5, null, s37, v7, vcc_lo
	global_store_b16 v[4:5], v3, off
	s_branch .LBB95_2
.LBB95_44:
	s_endpgm
	.section	.rodata,"a",@progbits
	.p2align	6, 0x0
	.amdhsa_kernel _ZN2at6native16triu_tril_kernelIN3c104HalfElLb1ELi4ELb0EEEvNS_4cuda6detail10TensorInfoIT_T0_EENS6_IKS7_S8_EEllS8_
		.amdhsa_group_segment_fixed_size 0
		.amdhsa_private_segment_fixed_size 0
		.amdhsa_kernarg_size 1112
		.amdhsa_user_sgpr_count 2
		.amdhsa_user_sgpr_dispatch_ptr 0
		.amdhsa_user_sgpr_queue_ptr 0
		.amdhsa_user_sgpr_kernarg_segment_ptr 1
		.amdhsa_user_sgpr_dispatch_id 0
		.amdhsa_user_sgpr_private_segment_size 0
		.amdhsa_wavefront_size32 1
		.amdhsa_uses_dynamic_stack 0
		.amdhsa_enable_private_segment 0
		.amdhsa_system_sgpr_workgroup_id_x 1
		.amdhsa_system_sgpr_workgroup_id_y 0
		.amdhsa_system_sgpr_workgroup_id_z 0
		.amdhsa_system_sgpr_workgroup_info 0
		.amdhsa_system_vgpr_workitem_id 0
		.amdhsa_next_free_vgpr 28
		.amdhsa_next_free_sgpr 80
		.amdhsa_reserve_vcc 1
		.amdhsa_float_round_mode_32 0
		.amdhsa_float_round_mode_16_64 0
		.amdhsa_float_denorm_mode_32 3
		.amdhsa_float_denorm_mode_16_64 3
		.amdhsa_fp16_overflow 0
		.amdhsa_workgroup_processor_mode 1
		.amdhsa_memory_ordered 1
		.amdhsa_forward_progress 1
		.amdhsa_inst_pref_size 55
		.amdhsa_round_robin_scheduling 0
		.amdhsa_exception_fp_ieee_invalid_op 0
		.amdhsa_exception_fp_denorm_src 0
		.amdhsa_exception_fp_ieee_div_zero 0
		.amdhsa_exception_fp_ieee_overflow 0
		.amdhsa_exception_fp_ieee_underflow 0
		.amdhsa_exception_fp_ieee_inexact 0
		.amdhsa_exception_int_div_zero 0
	.end_amdhsa_kernel
	.section	.text._ZN2at6native16triu_tril_kernelIN3c104HalfElLb1ELi4ELb0EEEvNS_4cuda6detail10TensorInfoIT_T0_EENS6_IKS7_S8_EEllS8_,"axG",@progbits,_ZN2at6native16triu_tril_kernelIN3c104HalfElLb1ELi4ELb0EEEvNS_4cuda6detail10TensorInfoIT_T0_EENS6_IKS7_S8_EEllS8_,comdat
.Lfunc_end95:
	.size	_ZN2at6native16triu_tril_kernelIN3c104HalfElLb1ELi4ELb0EEEvNS_4cuda6detail10TensorInfoIT_T0_EENS6_IKS7_S8_EEllS8_, .Lfunc_end95-_ZN2at6native16triu_tril_kernelIN3c104HalfElLb1ELi4ELb0EEEvNS_4cuda6detail10TensorInfoIT_T0_EENS6_IKS7_S8_EEllS8_
                                        ; -- End function
	.set _ZN2at6native16triu_tril_kernelIN3c104HalfElLb1ELi4ELb0EEEvNS_4cuda6detail10TensorInfoIT_T0_EENS6_IKS7_S8_EEllS8_.num_vgpr, 28
	.set _ZN2at6native16triu_tril_kernelIN3c104HalfElLb1ELi4ELb0EEEvNS_4cuda6detail10TensorInfoIT_T0_EENS6_IKS7_S8_EEllS8_.num_agpr, 0
	.set _ZN2at6native16triu_tril_kernelIN3c104HalfElLb1ELi4ELb0EEEvNS_4cuda6detail10TensorInfoIT_T0_EENS6_IKS7_S8_EEllS8_.numbered_sgpr, 80
	.set _ZN2at6native16triu_tril_kernelIN3c104HalfElLb1ELi4ELb0EEEvNS_4cuda6detail10TensorInfoIT_T0_EENS6_IKS7_S8_EEllS8_.num_named_barrier, 0
	.set _ZN2at6native16triu_tril_kernelIN3c104HalfElLb1ELi4ELb0EEEvNS_4cuda6detail10TensorInfoIT_T0_EENS6_IKS7_S8_EEllS8_.private_seg_size, 0
	.set _ZN2at6native16triu_tril_kernelIN3c104HalfElLb1ELi4ELb0EEEvNS_4cuda6detail10TensorInfoIT_T0_EENS6_IKS7_S8_EEllS8_.uses_vcc, 1
	.set _ZN2at6native16triu_tril_kernelIN3c104HalfElLb1ELi4ELb0EEEvNS_4cuda6detail10TensorInfoIT_T0_EENS6_IKS7_S8_EEllS8_.uses_flat_scratch, 0
	.set _ZN2at6native16triu_tril_kernelIN3c104HalfElLb1ELi4ELb0EEEvNS_4cuda6detail10TensorInfoIT_T0_EENS6_IKS7_S8_EEllS8_.has_dyn_sized_stack, 0
	.set _ZN2at6native16triu_tril_kernelIN3c104HalfElLb1ELi4ELb0EEEvNS_4cuda6detail10TensorInfoIT_T0_EENS6_IKS7_S8_EEllS8_.has_recursion, 0
	.set _ZN2at6native16triu_tril_kernelIN3c104HalfElLb1ELi4ELb0EEEvNS_4cuda6detail10TensorInfoIT_T0_EENS6_IKS7_S8_EEllS8_.has_indirect_call, 0
	.section	.AMDGPU.csdata,"",@progbits
; Kernel info:
; codeLenInByte = 6932
; TotalNumSgprs: 82
; NumVgprs: 28
; ScratchSize: 0
; MemoryBound: 0
; FloatMode: 240
; IeeeMode: 1
; LDSByteSize: 0 bytes/workgroup (compile time only)
; SGPRBlocks: 0
; VGPRBlocks: 3
; NumSGPRsForWavesPerEU: 82
; NumVGPRsForWavesPerEU: 28
; Occupancy: 16
; WaveLimiterHint : 0
; COMPUTE_PGM_RSRC2:SCRATCH_EN: 0
; COMPUTE_PGM_RSRC2:USER_SGPR: 2
; COMPUTE_PGM_RSRC2:TRAP_HANDLER: 0
; COMPUTE_PGM_RSRC2:TGID_X_EN: 1
; COMPUTE_PGM_RSRC2:TGID_Y_EN: 0
; COMPUTE_PGM_RSRC2:TGID_Z_EN: 0
; COMPUTE_PGM_RSRC2:TIDIG_COMP_CNT: 0
	.section	.text._ZN2at6native16triu_tril_kernelIN3c108BFloat16EiLb1ELi4ELb1EEEvNS_4cuda6detail10TensorInfoIT_T0_EENS6_IKS7_S8_EEllS8_,"axG",@progbits,_ZN2at6native16triu_tril_kernelIN3c108BFloat16EiLb1ELi4ELb1EEEvNS_4cuda6detail10TensorInfoIT_T0_EENS6_IKS7_S8_EEllS8_,comdat
	.protected	_ZN2at6native16triu_tril_kernelIN3c108BFloat16EiLb1ELi4ELb1EEEvNS_4cuda6detail10TensorInfoIT_T0_EENS6_IKS7_S8_EEllS8_ ; -- Begin function _ZN2at6native16triu_tril_kernelIN3c108BFloat16EiLb1ELi4ELb1EEEvNS_4cuda6detail10TensorInfoIT_T0_EENS6_IKS7_S8_EEllS8_
	.globl	_ZN2at6native16triu_tril_kernelIN3c108BFloat16EiLb1ELi4ELb1EEEvNS_4cuda6detail10TensorInfoIT_T0_EENS6_IKS7_S8_EEllS8_
	.p2align	8
	.type	_ZN2at6native16triu_tril_kernelIN3c108BFloat16EiLb1ELi4ELb1EEEvNS_4cuda6detail10TensorInfoIT_T0_EENS6_IKS7_S8_EEllS8_,@function
_ZN2at6native16triu_tril_kernelIN3c108BFloat16EiLb1ELi4ELb1EEEvNS_4cuda6detail10TensorInfoIT_T0_EENS6_IKS7_S8_EEllS8_: ; @_ZN2at6native16triu_tril_kernelIN3c108BFloat16EiLb1ELi4ELb1EEEvNS_4cuda6detail10TensorInfoIT_T0_EENS6_IKS7_S8_EEllS8_
; %bb.0:
	s_clause 0x1
	s_load_b32 s2, s[0:1], 0x1d4
	s_load_b128 s[4:7], s[0:1], 0x1b0
	v_mov_b32_e32 v2, 0
	s_mov_b32 s3, exec_lo
	s_delay_alu instid0(VALU_DEP_1)
	v_mov_b32_e32 v1, v2
	s_wait_kmcnt 0x0
	s_and_b32 s2, s2, 0xffff
	s_delay_alu instid0(VALU_DEP_1) | instid1(SALU_CYCLE_1)
	v_mad_co_u64_u32 v[0:1], null, s2, ttmp9, v[0:1]
	s_delay_alu instid0(VALU_DEP_1) | instskip(NEXT) | instid1(VALU_DEP_1)
	v_lshlrev_b64_e32 v[0:1], 2, v[0:1]
	v_cmpx_gt_i64_e64 s[6:7], v[0:1]
	s_cbranch_execz .LBB96_66
; %bb.1:
	s_clause 0x1
	s_load_b32 s20, s[0:1], 0x1a8
	s_load_b32 s8, s[0:1], 0x1c0
	s_add_nc_u64 s[12:13], s[0:1], 0x1c8
	s_add_nc_u64 s[10:11], s[0:1], 0xd8
	s_load_b32 s3, s[12:13], 0x0
	s_mov_b32 s19, 0
	s_mov_b32 s57, 0
	s_wait_kmcnt 0x0
	s_ashr_i32 s21, s20, 31
	v_cvt_f32_u32_e32 v3, s8
	s_lshl_b64 s[22:23], s[20:21], 2
	s_add_co_i32 s9, s20, 6
	s_add_nc_u64 s[12:13], s[10:11], s[22:23]
	s_mul_i32 s3, s3, s2
	s_clause 0x1
	s_load_b32 s14, s[12:13], 0x0
	s_load_b64 s[16:17], s[0:1], 0x0
	v_rcp_iflag_f32_e32 v3, v3
	s_and_b32 s18, s20, 7
	s_add_co_i32 s33, s20, -3
	s_and_b32 s52, s9, 7
	s_lshl_b32 s53, s3, 2
	s_ashr_i32 s9, s8, 31
	v_cmp_gt_i64_e64 s56, s[20:21], 2
	s_add_nc_u64 s[20:21], s[0:1], s[22:23]
	s_wait_kmcnt 0x0
	v_cvt_f32_u32_e32 v4, s14
	s_ashr_i32 s15, s14, 31
	s_cmp_lg_u32 s18, 2
	s_cselect_b32 s54, -1, 0
	s_delay_alu instid0(VALU_DEP_1)
	v_rcp_iflag_f32_e32 v4, v4
	v_mul_f32_e32 v3, 0x4f7ffffe, v3
	s_cmp_gt_u32 s33, 6
	s_cselect_b32 s55, -1, 0
	s_sub_co_i32 s2, 0, s8
	s_wait_alu 0xfffe
	s_ashr_i32 s22, s9, 31
	s_ashr_i32 s24, s15, 31
	s_delay_alu instid0(TRANS32_DEP_1) | instskip(SKIP_1) | instid1(VALU_DEP_2)
	v_mul_f32_e32 v4, 0x4f7ffffe, v4
	v_cvt_u32_f32_e32 v3, v3
	v_cvt_u32_f32_e32 v24, v4
	s_delay_alu instid0(VALU_DEP_2) | instskip(NEXT) | instid1(VALU_DEP_1)
	v_mul_lo_u32 v5, s2, v3
	v_mul_hi_u32 v5, v3, v5
	s_delay_alu instid0(VALU_DEP_1)
	v_add_nc_u32_e32 v25, v3, v5
	s_branch .LBB96_3
.LBB96_2:                               ;   in Loop: Header=BB96_3 Depth=1
	s_wait_alu 0xfffe
	s_or_b32 exec_lo, exec_lo, s23
	v_add_co_u32 v0, vcc_lo, v0, s53
	s_wait_alu 0xfffd
	v_add_co_ci_u32_e64 v1, null, 0, v1, vcc_lo
	s_delay_alu instid0(VALU_DEP_1) | instskip(SKIP_1) | instid1(SALU_CYCLE_1)
	v_cmp_le_i64_e32 vcc_lo, s[6:7], v[0:1]
	s_or_b32 s57, vcc_lo, s57
	s_and_not1_b32 exec_lo, exec_lo, s57
	s_cbranch_execz .LBB96_66
.LBB96_3:                               ; =>This Loop Header: Depth=1
                                        ;     Child Loop BB96_16 Depth 2
                                        ;     Child Loop BB96_22 Depth 2
	v_or_b32_e32 v3, s9, v1
                                        ; implicit-def: $vgpr4_vgpr5
	s_mov_b32 s2, exec_lo
	s_delay_alu instid0(VALU_DEP_1)
	v_cmpx_ne_u64_e32 0, v[2:3]
	s_wait_alu 0xfffe
	s_xor_b32 s3, exec_lo, s2
	s_cbranch_execz .LBB96_5
; %bb.4:                                ;   in Loop: Header=BB96_3 Depth=1
	s_mov_b32 s23, s22
	v_ashrrev_i32_e32 v9, 31, v1
	s_wait_alu 0xfffe
	s_add_nc_u64 s[26:27], s[8:9], s[22:23]
	s_wait_alu 0xfffe
	s_xor_b64 s[26:27], s[26:27], s[22:23]
	v_add_co_u32 v3, vcc_lo, v0, v9
	s_wait_alu 0xfffe
	s_cvt_f32_u32 s2, s26
	s_cvt_f32_u32 s18, s27
	s_sub_nc_u64 s[30:31], 0, s[26:27]
	s_wait_alu 0xfffd
	v_add_co_ci_u32_e64 v4, null, v1, v9, vcc_lo
	s_wait_alu 0xfffe
	s_fmamk_f32 s2, s18, 0x4f800000, s2
	v_xor_b32_e32 v10, v3, v9
	s_delay_alu instid0(VALU_DEP_2) | instskip(SKIP_2) | instid1(TRANS32_DEP_1)
	v_xor_b32_e32 v11, v4, v9
	s_wait_alu 0xfffe
	v_s_rcp_f32 s2, s2
	s_mul_f32 s2, s2, 0x5f7ffffc
	s_wait_alu 0xfffe
	s_delay_alu instid0(SALU_CYCLE_2) | instskip(SKIP_1) | instid1(SALU_CYCLE_2)
	s_mul_f32 s18, s2, 0x2f800000
	s_wait_alu 0xfffe
	s_trunc_f32 s18, s18
	s_wait_alu 0xfffe
	s_delay_alu instid0(SALU_CYCLE_2) | instskip(SKIP_2) | instid1(SALU_CYCLE_1)
	s_fmamk_f32 s2, s18, 0xcf800000, s2
	s_cvt_u32_f32 s29, s18
	s_wait_alu 0xfffe
	s_cvt_u32_f32 s28, s2
	s_wait_alu 0xfffe
	s_delay_alu instid0(SALU_CYCLE_2)
	s_mul_u64 s[34:35], s[30:31], s[28:29]
	s_wait_alu 0xfffe
	s_mul_hi_u32 s37, s28, s35
	s_mul_i32 s36, s28, s35
	s_mul_hi_u32 s18, s28, s34
	s_mul_i32 s23, s29, s34
	s_wait_alu 0xfffe
	s_add_nc_u64 s[36:37], s[18:19], s[36:37]
	s_mul_hi_u32 s2, s29, s34
	s_mul_hi_u32 s25, s29, s35
	s_wait_alu 0xfffe
	s_add_co_u32 s18, s36, s23
	s_add_co_ci_u32 s18, s37, s2
	s_mul_i32 s34, s29, s35
	s_add_co_ci_u32 s35, s25, 0
	s_wait_alu 0xfffe
	s_add_nc_u64 s[34:35], s[18:19], s[34:35]
	s_wait_alu 0xfffe
	s_add_co_u32 s28, s28, s34
	s_cselect_b32 s2, -1, 0
	s_wait_alu 0xfffe
	s_cmp_lg_u32 s2, 0
	s_add_co_ci_u32 s29, s29, s35
	s_wait_alu 0xfffe
	s_mul_u64 s[30:31], s[30:31], s[28:29]
	s_wait_alu 0xfffe
	s_mul_hi_u32 s35, s28, s31
	s_mul_i32 s34, s28, s31
	s_mul_hi_u32 s18, s28, s30
	s_mul_i32 s23, s29, s30
	s_wait_alu 0xfffe
	s_add_nc_u64 s[34:35], s[18:19], s[34:35]
	s_mul_hi_u32 s2, s29, s30
	s_mul_hi_u32 s25, s29, s31
	s_wait_alu 0xfffe
	s_add_co_u32 s18, s34, s23
	s_add_co_ci_u32 s18, s35, s2
	s_mul_i32 s30, s29, s31
	s_add_co_ci_u32 s31, s25, 0
	s_wait_alu 0xfffe
	s_add_nc_u64 s[30:31], s[18:19], s[30:31]
	s_wait_alu 0xfffe
	s_add_co_u32 s2, s28, s30
	s_cselect_b32 s18, -1, 0
	s_wait_alu 0xfffe
	v_mul_hi_u32 v12, v10, s2
	s_cmp_lg_u32 s18, 0
	v_mad_co_u64_u32 v[5:6], null, v11, s2, 0
	s_add_co_ci_u32 s18, s29, s31
	s_wait_alu 0xfffe
	v_mad_co_u64_u32 v[3:4], null, v10, s18, 0
	v_mad_co_u64_u32 v[7:8], null, v11, s18, 0
	s_delay_alu instid0(VALU_DEP_2) | instskip(SKIP_1) | instid1(VALU_DEP_3)
	v_add_co_u32 v3, vcc_lo, v12, v3
	s_wait_alu 0xfffd
	v_add_co_ci_u32_e64 v4, null, 0, v4, vcc_lo
	s_delay_alu instid0(VALU_DEP_2) | instskip(SKIP_1) | instid1(VALU_DEP_2)
	v_add_co_u32 v3, vcc_lo, v3, v5
	s_wait_alu 0xfffd
	v_add_co_ci_u32_e32 v3, vcc_lo, v4, v6, vcc_lo
	s_wait_alu 0xfffd
	v_add_co_ci_u32_e32 v4, vcc_lo, 0, v8, vcc_lo
	s_delay_alu instid0(VALU_DEP_2) | instskip(SKIP_1) | instid1(VALU_DEP_2)
	v_add_co_u32 v5, vcc_lo, v3, v7
	s_wait_alu 0xfffd
	v_add_co_ci_u32_e64 v6, null, 0, v4, vcc_lo
	s_delay_alu instid0(VALU_DEP_2) | instskip(SKIP_1) | instid1(VALU_DEP_3)
	v_mul_lo_u32 v7, s27, v5
	v_mad_co_u64_u32 v[3:4], null, s26, v5, 0
	v_mul_lo_u32 v8, s26, v6
	s_delay_alu instid0(VALU_DEP_2) | instskip(NEXT) | instid1(VALU_DEP_2)
	v_sub_co_u32 v3, vcc_lo, v10, v3
	v_add3_u32 v4, v4, v8, v7
	v_add_co_u32 v8, s2, v5, 2
	s_wait_alu 0xf1ff
	v_add_co_ci_u32_e64 v10, null, 0, v6, s2
	s_delay_alu instid0(VALU_DEP_3) | instskip(SKIP_3) | instid1(VALU_DEP_3)
	v_sub_nc_u32_e32 v7, v11, v4
	v_sub_co_u32 v12, s2, v3, s26
	s_wait_alu 0xfffd
	v_sub_co_ci_u32_e64 v4, null, v11, v4, vcc_lo
	v_subrev_co_ci_u32_e64 v7, null, s27, v7, vcc_lo
	s_delay_alu instid0(VALU_DEP_3) | instskip(SKIP_1) | instid1(VALU_DEP_2)
	v_cmp_le_u32_e32 vcc_lo, s26, v12
	s_wait_alu 0xf1ff
	v_subrev_co_ci_u32_e64 v7, null, 0, v7, s2
	s_wait_alu 0xfffd
	v_cndmask_b32_e64 v11, 0, -1, vcc_lo
	s_delay_alu instid0(VALU_DEP_2)
	v_cmp_le_u32_e32 vcc_lo, s27, v7
	s_wait_alu 0xfffd
	v_cndmask_b32_e64 v12, 0, -1, vcc_lo
	v_cmp_le_u32_e32 vcc_lo, s26, v3
	s_wait_alu 0xfffd
	v_cndmask_b32_e64 v3, 0, -1, vcc_lo
	;; [unrolled: 3-line block ×3, first 2 shown]
	v_cmp_eq_u32_e32 vcc_lo, s27, v7
	s_wait_alu 0xfffd
	v_cndmask_b32_e32 v7, v12, v11, vcc_lo
	v_add_co_u32 v11, vcc_lo, v5, 1
	s_wait_alu 0xfffd
	v_add_co_ci_u32_e64 v12, null, 0, v6, vcc_lo
	v_cmp_eq_u32_e32 vcc_lo, s27, v4
	s_wait_alu 0xfffd
	v_cndmask_b32_e32 v3, v13, v3, vcc_lo
	v_cmp_ne_u32_e32 vcc_lo, 0, v7
	v_xor_b32_e32 v7, s22, v9
	s_wait_alu 0xfffd
	v_cndmask_b32_e32 v4, v12, v10, vcc_lo
	v_cmp_ne_u32_e64 s2, 0, v3
	v_cndmask_b32_e32 v3, v11, v8, vcc_lo
	s_wait_alu 0xf1ff
	s_delay_alu instid0(VALU_DEP_2) | instskip(NEXT) | instid1(VALU_DEP_2)
	v_cndmask_b32_e64 v4, v6, v4, s2
	v_cndmask_b32_e64 v3, v5, v3, s2
	s_delay_alu instid0(VALU_DEP_2) | instskip(NEXT) | instid1(VALU_DEP_2)
	v_xor_b32_e32 v5, v4, v7
	v_xor_b32_e32 v3, v3, v7
	s_delay_alu instid0(VALU_DEP_1) | instskip(SKIP_1) | instid1(VALU_DEP_3)
	v_sub_co_u32 v4, vcc_lo, v3, v7
	s_wait_alu 0xfffd
	v_sub_co_ci_u32_e64 v5, null, v5, v7, vcc_lo
.LBB96_5:                               ;   in Loop: Header=BB96_3 Depth=1
	s_wait_alu 0xfffe
	s_and_not1_saveexec_b32 s2, s3
	s_cbranch_execz .LBB96_7
; %bb.6:                                ;   in Loop: Header=BB96_3 Depth=1
	v_mul_hi_u32 v3, v0, v25
	s_delay_alu instid0(VALU_DEP_1) | instskip(NEXT) | instid1(VALU_DEP_1)
	v_mul_lo_u32 v4, v3, s8
	v_sub_nc_u32_e32 v4, v0, v4
	s_delay_alu instid0(VALU_DEP_1) | instskip(SKIP_2) | instid1(VALU_DEP_2)
	v_subrev_nc_u32_e32 v6, s8, v4
	v_cmp_le_u32_e32 vcc_lo, s8, v4
	s_wait_alu 0xfffd
	v_dual_cndmask_b32 v4, v4, v6 :: v_dual_add_nc_u32 v5, 1, v3
	s_delay_alu instid0(VALU_DEP_1) | instskip(NEXT) | instid1(VALU_DEP_2)
	v_cndmask_b32_e32 v3, v3, v5, vcc_lo
	v_cmp_le_u32_e32 vcc_lo, s8, v4
	s_delay_alu instid0(VALU_DEP_2) | instskip(SKIP_1) | instid1(VALU_DEP_1)
	v_add_nc_u32_e32 v5, 1, v3
	s_wait_alu 0xfffd
	v_dual_cndmask_b32 v4, v3, v5 :: v_dual_mov_b32 v5, v2
.LBB96_7:                               ;   in Loop: Header=BB96_3 Depth=1
	s_wait_alu 0xfffe
	s_or_b32 exec_lo, exec_lo, s2
	s_delay_alu instid0(VALU_DEP_1) | instskip(SKIP_1) | instid1(VALU_DEP_1)
	v_or_b32_e32 v3, s15, v5
                                        ; implicit-def: $vgpr6_vgpr7
	s_mov_b32 s2, exec_lo
	v_cmpx_ne_u64_e32 0, v[2:3]
	s_wait_alu 0xfffe
	s_xor_b32 s3, exec_lo, s2
	s_cbranch_execz .LBB96_9
; %bb.8:                                ;   in Loop: Header=BB96_3 Depth=1
	s_mov_b32 s25, s24
	v_ashrrev_i32_e32 v3, 31, v5
	s_wait_alu 0xfffe
	s_add_nc_u64 s[26:27], s[14:15], s[24:25]
	s_wait_alu 0xfffe
	s_xor_b64 s[26:27], s[26:27], s[24:25]
	v_add_co_u32 v6, vcc_lo, v4, v3
	s_wait_alu 0xfffe
	s_cvt_f32_u32 s2, s26
	s_cvt_f32_u32 s18, s27
	s_sub_nc_u64 s[30:31], 0, s[26:27]
	s_wait_alu 0xfffd
	v_add_co_ci_u32_e64 v5, null, v5, v3, vcc_lo
	s_wait_alu 0xfffe
	s_fmamk_f32 s2, s18, 0x4f800000, s2
	v_xor_b32_e32 v11, v6, v3
	s_delay_alu instid0(VALU_DEP_2) | instskip(SKIP_3) | instid1(TRANS32_DEP_1)
	v_xor_b32_e32 v12, v5, v3
	s_wait_alu 0xfffe
	v_s_rcp_f32 s2, s2
	v_xor_b32_e32 v3, s24, v3
	s_mul_f32 s2, s2, 0x5f7ffffc
	s_wait_alu 0xfffe
	s_delay_alu instid0(SALU_CYCLE_2) | instskip(SKIP_1) | instid1(SALU_CYCLE_2)
	s_mul_f32 s18, s2, 0x2f800000
	s_wait_alu 0xfffe
	s_trunc_f32 s18, s18
	s_wait_alu 0xfffe
	s_delay_alu instid0(SALU_CYCLE_2) | instskip(SKIP_2) | instid1(SALU_CYCLE_1)
	s_fmamk_f32 s2, s18, 0xcf800000, s2
	s_cvt_u32_f32 s29, s18
	s_wait_alu 0xfffe
	s_cvt_u32_f32 s28, s2
	s_wait_alu 0xfffe
	s_delay_alu instid0(SALU_CYCLE_2)
	s_mul_u64 s[34:35], s[30:31], s[28:29]
	s_wait_alu 0xfffe
	s_mul_hi_u32 s37, s28, s35
	s_mul_i32 s36, s28, s35
	s_mul_hi_u32 s18, s28, s34
	s_mul_i32 s23, s29, s34
	s_wait_alu 0xfffe
	s_add_nc_u64 s[36:37], s[18:19], s[36:37]
	s_mul_hi_u32 s2, s29, s34
	s_mul_hi_u32 s25, s29, s35
	s_wait_alu 0xfffe
	s_add_co_u32 s18, s36, s23
	s_add_co_ci_u32 s18, s37, s2
	s_mul_i32 s34, s29, s35
	s_add_co_ci_u32 s35, s25, 0
	s_wait_alu 0xfffe
	s_add_nc_u64 s[34:35], s[18:19], s[34:35]
	s_wait_alu 0xfffe
	s_add_co_u32 s28, s28, s34
	s_cselect_b32 s2, -1, 0
	s_wait_alu 0xfffe
	s_cmp_lg_u32 s2, 0
	s_add_co_ci_u32 s29, s29, s35
	s_wait_alu 0xfffe
	s_mul_u64 s[30:31], s[30:31], s[28:29]
	s_wait_alu 0xfffe
	s_mul_hi_u32 s35, s28, s31
	s_mul_i32 s34, s28, s31
	s_mul_hi_u32 s18, s28, s30
	s_mul_i32 s23, s29, s30
	s_wait_alu 0xfffe
	s_add_nc_u64 s[34:35], s[18:19], s[34:35]
	s_mul_hi_u32 s2, s29, s30
	s_mul_hi_u32 s25, s29, s31
	s_wait_alu 0xfffe
	s_add_co_u32 s18, s34, s23
	s_add_co_ci_u32 s18, s35, s2
	s_mul_i32 s30, s29, s31
	s_add_co_ci_u32 s31, s25, 0
	s_wait_alu 0xfffe
	s_add_nc_u64 s[30:31], s[18:19], s[30:31]
	s_wait_alu 0xfffe
	s_add_co_u32 s2, s28, s30
	s_cselect_b32 s18, -1, 0
	s_wait_alu 0xfffe
	v_mul_hi_u32 v13, v11, s2
	s_cmp_lg_u32 s18, 0
	v_mad_co_u64_u32 v[7:8], null, v12, s2, 0
	s_add_co_ci_u32 s18, s29, s31
	s_wait_alu 0xfffe
	v_mad_co_u64_u32 v[5:6], null, v11, s18, 0
	v_mad_co_u64_u32 v[9:10], null, v12, s18, 0
	s_delay_alu instid0(VALU_DEP_2) | instskip(SKIP_1) | instid1(VALU_DEP_3)
	v_add_co_u32 v5, vcc_lo, v13, v5
	s_wait_alu 0xfffd
	v_add_co_ci_u32_e64 v6, null, 0, v6, vcc_lo
	s_delay_alu instid0(VALU_DEP_2) | instskip(SKIP_1) | instid1(VALU_DEP_2)
	v_add_co_u32 v5, vcc_lo, v5, v7
	s_wait_alu 0xfffd
	v_add_co_ci_u32_e32 v5, vcc_lo, v6, v8, vcc_lo
	s_wait_alu 0xfffd
	v_add_co_ci_u32_e32 v6, vcc_lo, 0, v10, vcc_lo
	s_delay_alu instid0(VALU_DEP_2) | instskip(SKIP_1) | instid1(VALU_DEP_2)
	v_add_co_u32 v7, vcc_lo, v5, v9
	s_wait_alu 0xfffd
	v_add_co_ci_u32_e64 v8, null, 0, v6, vcc_lo
	s_delay_alu instid0(VALU_DEP_2) | instskip(SKIP_1) | instid1(VALU_DEP_3)
	v_mul_lo_u32 v9, s27, v7
	v_mad_co_u64_u32 v[5:6], null, s26, v7, 0
	v_mul_lo_u32 v10, s26, v8
	s_delay_alu instid0(VALU_DEP_2) | instskip(NEXT) | instid1(VALU_DEP_2)
	v_sub_co_u32 v5, vcc_lo, v11, v5
	v_add3_u32 v6, v6, v10, v9
	v_add_co_u32 v10, s2, v7, 2
	s_wait_alu 0xf1ff
	v_add_co_ci_u32_e64 v11, null, 0, v8, s2
	s_delay_alu instid0(VALU_DEP_3) | instskip(SKIP_3) | instid1(VALU_DEP_3)
	v_sub_nc_u32_e32 v9, v12, v6
	v_sub_co_u32 v13, s2, v5, s26
	s_wait_alu 0xfffd
	v_sub_co_ci_u32_e64 v6, null, v12, v6, vcc_lo
	v_subrev_co_ci_u32_e64 v9, null, s27, v9, vcc_lo
	s_delay_alu instid0(VALU_DEP_3) | instskip(SKIP_1) | instid1(VALU_DEP_2)
	v_cmp_le_u32_e32 vcc_lo, s26, v13
	s_wait_alu 0xf1ff
	v_subrev_co_ci_u32_e64 v9, null, 0, v9, s2
	s_wait_alu 0xfffd
	v_cndmask_b32_e64 v12, 0, -1, vcc_lo
	s_delay_alu instid0(VALU_DEP_2)
	v_cmp_le_u32_e32 vcc_lo, s27, v9
	s_wait_alu 0xfffd
	v_cndmask_b32_e64 v13, 0, -1, vcc_lo
	v_cmp_le_u32_e32 vcc_lo, s26, v5
	s_wait_alu 0xfffd
	v_cndmask_b32_e64 v5, 0, -1, vcc_lo
	;; [unrolled: 3-line block ×3, first 2 shown]
	v_cmp_eq_u32_e32 vcc_lo, s27, v9
	s_wait_alu 0xfffd
	v_cndmask_b32_e32 v9, v13, v12, vcc_lo
	v_add_co_u32 v12, vcc_lo, v7, 1
	s_wait_alu 0xfffd
	v_add_co_ci_u32_e64 v13, null, 0, v8, vcc_lo
	v_cmp_eq_u32_e32 vcc_lo, s27, v6
	s_wait_alu 0xfffd
	v_cndmask_b32_e32 v5, v14, v5, vcc_lo
	v_cmp_ne_u32_e32 vcc_lo, 0, v9
	s_wait_alu 0xfffd
	v_cndmask_b32_e32 v6, v13, v11, vcc_lo
	s_delay_alu instid0(VALU_DEP_3) | instskip(SKIP_2) | instid1(VALU_DEP_2)
	v_cmp_ne_u32_e64 s2, 0, v5
	v_cndmask_b32_e32 v5, v12, v10, vcc_lo
	s_wait_alu 0xf1ff
	v_cndmask_b32_e64 v6, v8, v6, s2
	s_delay_alu instid0(VALU_DEP_2) | instskip(NEXT) | instid1(VALU_DEP_2)
	v_cndmask_b32_e64 v5, v7, v5, s2
	v_xor_b32_e32 v7, v6, v3
	s_delay_alu instid0(VALU_DEP_2) | instskip(NEXT) | instid1(VALU_DEP_1)
	v_xor_b32_e32 v5, v5, v3
	v_sub_co_u32 v6, vcc_lo, v5, v3
	s_wait_alu 0xfffd
	s_delay_alu instid0(VALU_DEP_3)
	v_sub_co_ci_u32_e64 v7, null, v7, v3, vcc_lo
.LBB96_9:                               ;   in Loop: Header=BB96_3 Depth=1
	s_wait_alu 0xfffe
	s_and_not1_saveexec_b32 s2, s3
	s_cbranch_execz .LBB96_11
; %bb.10:                               ;   in Loop: Header=BB96_3 Depth=1
	s_sub_co_i32 s3, 0, s14
	s_wait_alu 0xfffe
	v_mul_lo_u32 v3, s3, v24
	s_delay_alu instid0(VALU_DEP_1) | instskip(NEXT) | instid1(VALU_DEP_1)
	v_mul_hi_u32 v3, v24, v3
	v_add_nc_u32_e32 v3, v24, v3
	s_delay_alu instid0(VALU_DEP_1) | instskip(NEXT) | instid1(VALU_DEP_1)
	v_mul_hi_u32 v3, v4, v3
	v_mul_lo_u32 v5, v3, s14
	v_add_nc_u32_e32 v6, 1, v3
	s_delay_alu instid0(VALU_DEP_2) | instskip(NEXT) | instid1(VALU_DEP_1)
	v_sub_nc_u32_e32 v5, v4, v5
	v_subrev_nc_u32_e32 v7, s14, v5
	v_cmp_le_u32_e32 vcc_lo, s14, v5
	s_wait_alu 0xfffd
	s_delay_alu instid0(VALU_DEP_2) | instskip(SKIP_2) | instid1(VALU_DEP_3)
	v_cndmask_b32_e32 v5, v5, v7, vcc_lo
	v_mov_b32_e32 v7, v2
	v_cndmask_b32_e32 v3, v3, v6, vcc_lo
	v_cmp_le_u32_e32 vcc_lo, s14, v5
	s_delay_alu instid0(VALU_DEP_2) | instskip(SKIP_1) | instid1(VALU_DEP_1)
	v_add_nc_u32_e32 v6, 1, v3
	s_wait_alu 0xfffd
	v_cndmask_b32_e32 v6, v3, v6, vcc_lo
.LBB96_11:                              ;   in Loop: Header=BB96_3 Depth=1
	s_wait_alu 0xfffe
	s_or_b32 exec_lo, exec_lo, s2
	v_mad_co_u64_u32 v[8:9], null, v4, s8, 0
	s_delay_alu instid0(VALU_DEP_2) | instskip(SKIP_3) | instid1(VALU_DEP_1)
	v_mad_co_u64_u32 v[9:10], null, v6, s14, 0
	s_mov_b32 s23, exec_lo
	v_sub_co_u32 v27, null, v0, v8
	v_sub_co_u32 v26, null, v4, v9
	v_sub_nc_u32_e32 v3, v27, v26
	s_delay_alu instid0(VALU_DEP_1) | instskip(NEXT) | instid1(VALU_DEP_1)
	v_ashrrev_i32_e32 v4, 31, v3
	v_cmpx_gt_i64_e64 s[4:5], v[3:4]
	s_cbranch_execz .LBB96_2
; %bb.12:                               ;   in Loop: Header=BB96_3 Depth=1
	s_load_b64 s[2:3], s[20:21], 0x64
	s_and_not1_b32 vcc_lo, exec_lo, s56
	s_wait_kmcnt 0x0
	v_mul_lo_u32 v3, s3, v27
	s_delay_alu instid0(VALU_DEP_1)
	v_mad_co_u64_u32 v[4:5], null, s2, v26, v[3:4]
	s_wait_alu 0xfffe
	s_cbranch_vccnz .LBB96_56
; %bb.13:                               ;   in Loop: Header=BB96_3 Depth=1
	s_mov_b32 s25, s52
	s_and_not1_b32 vcc_lo, exec_lo, s54
	s_mov_b32 s18, s33
	s_mov_b32 s2, s33
	s_wait_alu 0xfffe
	s_cbranch_vccz .LBB96_16
; %bb.14:                               ;   in Loop: Header=BB96_3 Depth=1
	s_and_not1_b32 vcc_lo, exec_lo, s55
	s_wait_alu 0xfffe
	s_cbranch_vccz .LBB96_21
	s_branch .LBB96_56
.LBB96_15:                              ;   in Loop: Header=BB96_16 Depth=2
	s_wait_alu 0xfffe
	s_or_b32 exec_lo, exec_lo, s2
	s_add_nc_u64 s[26:27], s[0:1], s[26:27]
	v_mul_lo_u32 v3, v8, s28
	s_load_b32 s2, s[26:27], 0x6c
	s_add_co_i32 s25, s25, -1
	s_add_co_i32 s18, s18, -1
	s_wait_alu 0xfffe
	s_cmp_lg_u32 s25, 0
	s_delay_alu instid0(VALU_DEP_1) | instskip(SKIP_2) | instid1(VALU_DEP_2)
	v_sub_nc_u32_e32 v3, v6, v3
	v_dual_mov_b32 v6, v8 :: v_dual_mov_b32 v7, v9
	s_wait_kmcnt 0x0
	v_mad_co_u64_u32 v[4:5], null, s2, v3, v[4:5]
	s_cbranch_scc0 .LBB96_20
.LBB96_16:                              ;   Parent Loop BB96_3 Depth=1
                                        ; =>  This Inner Loop Header: Depth=2
	s_lshl_b64 s[26:27], s[18:19], 2
                                        ; implicit-def: $vgpr8_vgpr9
	s_mov_b32 s2, exec_lo
	s_wait_alu 0xfffe
	s_add_nc_u64 s[28:29], s[10:11], s[26:27]
	s_load_b32 s28, s[28:29], 0x8
	s_wait_kmcnt 0x0
	s_ashr_i32 s29, s28, 31
	s_wait_alu 0xfffe
	v_or_b32_e32 v3, s29, v7
	s_delay_alu instid0(VALU_DEP_1)
	v_cmpx_ne_u64_e32 0, v[2:3]
	s_xor_b32 s36, exec_lo, s2
	s_cbranch_execz .LBB96_18
; %bb.17:                               ;   in Loop: Header=BB96_16 Depth=2
	s_ashr_i32 s30, s29, 31
	s_mov_b32 s43, s19
	s_wait_alu 0xfffe
	s_mov_b32 s31, s30
	s_mov_b32 s47, s19
	s_wait_alu 0xfffe
	s_add_nc_u64 s[34:35], s[28:29], s[30:31]
	v_ashrrev_i32_e32 v3, 31, v7
	s_wait_alu 0xfffe
	s_xor_b64 s[34:35], s[34:35], s[30:31]
	s_wait_alu 0xfffe
	s_cvt_f32_u32 s2, s34
	s_cvt_f32_u32 s29, s35
	s_sub_nc_u64 s[40:41], 0, s[34:35]
	v_add_co_u32 v5, vcc_lo, v6, v3
	s_wait_alu 0xfffe
	s_fmamk_f32 s2, s29, 0x4f800000, s2
	s_wait_alu 0xfffd
	v_add_co_ci_u32_e64 v7, null, v7, v3, vcc_lo
	v_xor_b32_e32 v5, v5, v3
	s_wait_alu 0xfffe
	v_s_rcp_f32 s2, s2
	s_delay_alu instid0(VALU_DEP_2) | instskip(SKIP_1) | instid1(TRANS32_DEP_1)
	v_xor_b32_e32 v13, v7, v3
	v_xor_b32_e32 v3, s30, v3
	s_mul_f32 s2, s2, 0x5f7ffffc
	s_wait_alu 0xfffe
	s_delay_alu instid0(SALU_CYCLE_2) | instskip(SKIP_1) | instid1(SALU_CYCLE_2)
	s_mul_f32 s29, s2, 0x2f800000
	s_wait_alu 0xfffe
	s_trunc_f32 s29, s29
	s_wait_alu 0xfffe
	s_delay_alu instid0(SALU_CYCLE_2) | instskip(SKIP_2) | instid1(SALU_CYCLE_1)
	s_fmamk_f32 s2, s29, 0xcf800000, s2
	s_cvt_u32_f32 s39, s29
	s_wait_alu 0xfffe
	s_cvt_u32_f32 s38, s2
	s_wait_alu 0xfffe
	s_delay_alu instid0(SALU_CYCLE_2)
	s_mul_u64 s[44:45], s[40:41], s[38:39]
	s_wait_alu 0xfffe
	s_mul_hi_u32 s49, s38, s45
	s_mul_i32 s48, s38, s45
	s_mul_hi_u32 s42, s38, s44
	s_mul_i32 s29, s39, s44
	s_wait_alu 0xfffe
	s_add_nc_u64 s[42:43], s[42:43], s[48:49]
	s_mul_hi_u32 s2, s39, s44
	s_mul_hi_u32 s31, s39, s45
	s_wait_alu 0xfffe
	s_add_co_u32 s29, s42, s29
	s_add_co_ci_u32 s46, s43, s2
	s_mul_i32 s44, s39, s45
	s_add_co_ci_u32 s45, s31, 0
	s_wait_alu 0xfffe
	s_add_nc_u64 s[42:43], s[46:47], s[44:45]
	s_mov_b32 s45, s19
	s_wait_alu 0xfffe
	s_add_co_u32 s38, s38, s42
	s_cselect_b32 s2, -1, 0
	s_wait_alu 0xfffe
	s_cmp_lg_u32 s2, 0
	s_add_co_ci_u32 s39, s39, s43
	s_mov_b32 s43, s19
	s_wait_alu 0xfffe
	s_mul_u64 s[40:41], s[40:41], s[38:39]
	s_wait_alu 0xfffe
	s_mul_hi_u32 s47, s38, s41
	s_mul_i32 s46, s38, s41
	s_mul_hi_u32 s44, s38, s40
	s_mul_i32 s29, s39, s40
	s_wait_alu 0xfffe
	s_add_nc_u64 s[44:45], s[44:45], s[46:47]
	s_mul_hi_u32 s2, s39, s40
	s_mul_hi_u32 s31, s39, s41
	s_wait_alu 0xfffe
	s_add_co_u32 s29, s44, s29
	s_add_co_ci_u32 s42, s45, s2
	s_mul_i32 s40, s39, s41
	s_add_co_ci_u32 s41, s31, 0
	s_wait_alu 0xfffe
	s_add_nc_u64 s[40:41], s[42:43], s[40:41]
	s_wait_alu 0xfffe
	s_add_co_u32 s2, s38, s40
	s_cselect_b32 s29, -1, 0
	s_wait_alu 0xfffe
	v_mul_hi_u32 v14, v5, s2
	s_cmp_lg_u32 s29, 0
	v_mad_co_u64_u32 v[9:10], null, v13, s2, 0
	s_add_co_ci_u32 s29, s39, s41
	s_wait_alu 0xfffe
	v_mad_co_u64_u32 v[7:8], null, v5, s29, 0
	v_mad_co_u64_u32 v[11:12], null, v13, s29, 0
	s_delay_alu instid0(VALU_DEP_2) | instskip(SKIP_1) | instid1(VALU_DEP_3)
	v_add_co_u32 v7, vcc_lo, v14, v7
	s_wait_alu 0xfffd
	v_add_co_ci_u32_e64 v8, null, 0, v8, vcc_lo
	s_delay_alu instid0(VALU_DEP_2) | instskip(SKIP_1) | instid1(VALU_DEP_2)
	v_add_co_u32 v7, vcc_lo, v7, v9
	s_wait_alu 0xfffd
	v_add_co_ci_u32_e32 v7, vcc_lo, v8, v10, vcc_lo
	s_wait_alu 0xfffd
	v_add_co_ci_u32_e32 v8, vcc_lo, 0, v12, vcc_lo
	s_delay_alu instid0(VALU_DEP_2) | instskip(SKIP_1) | instid1(VALU_DEP_2)
	v_add_co_u32 v9, vcc_lo, v7, v11
	s_wait_alu 0xfffd
	v_add_co_ci_u32_e64 v10, null, 0, v8, vcc_lo
	s_delay_alu instid0(VALU_DEP_2) | instskip(SKIP_1) | instid1(VALU_DEP_3)
	v_mul_lo_u32 v11, s35, v9
	v_mad_co_u64_u32 v[7:8], null, s34, v9, 0
	v_mul_lo_u32 v12, s34, v10
	s_delay_alu instid0(VALU_DEP_2) | instskip(NEXT) | instid1(VALU_DEP_2)
	v_sub_co_u32 v5, vcc_lo, v5, v7
	v_add3_u32 v8, v8, v12, v11
	s_delay_alu instid0(VALU_DEP_1) | instskip(SKIP_2) | instid1(VALU_DEP_2)
	v_sub_nc_u32_e32 v11, v13, v8
	s_wait_alu 0xfffd
	v_sub_co_ci_u32_e64 v8, null, v13, v8, vcc_lo
	v_subrev_co_ci_u32_e64 v7, null, s35, v11, vcc_lo
	v_add_co_u32 v11, s2, v9, 2
	s_wait_alu 0xf1ff
	v_add_co_ci_u32_e64 v12, null, 0, v10, s2
	v_sub_co_u32 v14, s2, v5, s34
	s_wait_alu 0xf1ff
	v_subrev_co_ci_u32_e64 v7, null, 0, v7, s2
	s_delay_alu instid0(VALU_DEP_2) | instskip(SKIP_2) | instid1(VALU_DEP_3)
	v_cmp_le_u32_e32 vcc_lo, s34, v14
	s_wait_alu 0xfffd
	v_cndmask_b32_e64 v13, 0, -1, vcc_lo
	v_cmp_le_u32_e32 vcc_lo, s35, v7
	s_wait_alu 0xfffd
	v_cndmask_b32_e64 v14, 0, -1, vcc_lo
	;; [unrolled: 3-line block ×4, first 2 shown]
	v_cmp_eq_u32_e32 vcc_lo, s35, v7
	s_wait_alu 0xfffd
	v_cndmask_b32_e32 v7, v14, v13, vcc_lo
	v_add_co_u32 v13, vcc_lo, v9, 1
	s_wait_alu 0xfffd
	v_add_co_ci_u32_e64 v14, null, 0, v10, vcc_lo
	v_cmp_eq_u32_e32 vcc_lo, s35, v8
	s_wait_alu 0xfffd
	v_cndmask_b32_e32 v5, v15, v5, vcc_lo
	v_cmp_ne_u32_e32 vcc_lo, 0, v7
	s_delay_alu instid0(VALU_DEP_2) | instskip(SKIP_4) | instid1(VALU_DEP_2)
	v_cmp_ne_u32_e64 s2, 0, v5
	s_wait_alu 0xfffd
	v_cndmask_b32_e32 v5, v13, v11, vcc_lo
	v_cndmask_b32_e32 v7, v14, v12, vcc_lo
	s_wait_alu 0xf1ff
	v_cndmask_b32_e64 v5, v9, v5, s2
	s_delay_alu instid0(VALU_DEP_2) | instskip(NEXT) | instid1(VALU_DEP_2)
	v_cndmask_b32_e64 v7, v10, v7, s2
	v_xor_b32_e32 v5, v5, v3
	s_delay_alu instid0(VALU_DEP_2) | instskip(NEXT) | instid1(VALU_DEP_2)
	v_xor_b32_e32 v7, v7, v3
	v_sub_co_u32 v8, vcc_lo, v5, v3
	s_wait_alu 0xfffd
	s_delay_alu instid0(VALU_DEP_2)
	v_sub_co_ci_u32_e64 v9, null, v7, v3, vcc_lo
.LBB96_18:                              ;   in Loop: Header=BB96_16 Depth=2
	s_wait_alu 0xfffe
	s_and_not1_saveexec_b32 s2, s36
	s_cbranch_execz .LBB96_15
; %bb.19:                               ;   in Loop: Header=BB96_16 Depth=2
	v_cvt_f32_u32_e32 v3, s28
	s_sub_co_i32 s29, 0, s28
	v_mov_b32_e32 v9, v2
	s_delay_alu instid0(VALU_DEP_2) | instskip(NEXT) | instid1(TRANS32_DEP_1)
	v_rcp_iflag_f32_e32 v3, v3
	v_mul_f32_e32 v3, 0x4f7ffffe, v3
	s_delay_alu instid0(VALU_DEP_1) | instskip(SKIP_1) | instid1(VALU_DEP_1)
	v_cvt_u32_f32_e32 v3, v3
	s_wait_alu 0xfffe
	v_mul_lo_u32 v5, s29, v3
	s_delay_alu instid0(VALU_DEP_1) | instskip(NEXT) | instid1(VALU_DEP_1)
	v_mul_hi_u32 v5, v3, v5
	v_add_nc_u32_e32 v3, v3, v5
	s_delay_alu instid0(VALU_DEP_1) | instskip(NEXT) | instid1(VALU_DEP_1)
	v_mul_hi_u32 v3, v6, v3
	v_mul_lo_u32 v5, v3, s28
	v_add_nc_u32_e32 v7, 1, v3
	s_delay_alu instid0(VALU_DEP_2) | instskip(NEXT) | instid1(VALU_DEP_1)
	v_sub_nc_u32_e32 v5, v6, v5
	v_cmp_le_u32_e32 vcc_lo, s28, v5
	v_subrev_nc_u32_e32 v8, s28, v5
	s_wait_alu 0xfffd
	v_cndmask_b32_e32 v3, v3, v7, vcc_lo
	s_delay_alu instid0(VALU_DEP_1) | instskip(NEXT) | instid1(VALU_DEP_3)
	v_add_nc_u32_e32 v7, 1, v3
	v_cndmask_b32_e32 v5, v5, v8, vcc_lo
	s_delay_alu instid0(VALU_DEP_1) | instskip(SKIP_1) | instid1(VALU_DEP_3)
	v_cmp_le_u32_e32 vcc_lo, s28, v5
	s_wait_alu 0xfffd
	v_cndmask_b32_e32 v8, v3, v7, vcc_lo
	s_branch .LBB96_15
.LBB96_20:                              ;   in Loop: Header=BB96_3 Depth=1
	s_mov_b32 s2, s18
	s_and_not1_b32 vcc_lo, exec_lo, s55
	s_wait_alu 0xfffe
	s_cbranch_vccnz .LBB96_56
.LBB96_21:                              ;   in Loop: Header=BB96_3 Depth=1
	s_add_co_i32 s26, s2, -7
.LBB96_22:                              ;   Parent Loop BB96_3 Depth=1
                                        ; =>  This Inner Loop Header: Depth=2
	s_wait_alu 0xfffe
	s_add_co_i32 s18, s26, 7
                                        ; implicit-def: $vgpr8_vgpr9
	s_mov_b32 s2, exec_lo
	s_wait_alu 0xfffe
	s_lshl_b64 s[34:35], s[18:19], 2
	s_wait_alu 0xfffe
	s_add_nc_u64 s[28:29], s[10:11], s[34:35]
	s_load_b32 s28, s[28:29], 0x8
	s_wait_kmcnt 0x0
	s_ashr_i32 s29, s28, 31
	s_wait_alu 0xfffe
	v_or_b32_e32 v3, s29, v7
	s_delay_alu instid0(VALU_DEP_1)
	v_cmpx_ne_u64_e32 0, v[2:3]
	s_xor_b32 s25, exec_lo, s2
	s_cbranch_execz .LBB96_24
; %bb.23:                               ;   in Loop: Header=BB96_22 Depth=2
	s_ashr_i32 s30, s29, 31
	v_ashrrev_i32_e32 v3, 31, v7
	s_wait_alu 0xfffe
	s_mov_b32 s31, s30
	s_wait_alu 0xfffe
	s_add_nc_u64 s[36:37], s[28:29], s[30:31]
	v_add_co_u32 v5, vcc_lo, v6, v3
	s_wait_alu 0xfffe
	s_xor_b64 s[36:37], s[36:37], s[30:31]
	s_wait_alu 0xfffd
	v_add_co_ci_u32_e64 v7, null, v7, v3, vcc_lo
	s_wait_alu 0xfffe
	s_cvt_f32_u32 s2, s36
	s_cvt_f32_u32 s18, s37
	s_sub_nc_u64 s[40:41], 0, s[36:37]
	v_xor_b32_e32 v5, v5, v3
	v_xor_b32_e32 v13, v7, v3
	s_wait_alu 0xfffe
	s_fmamk_f32 s2, s18, 0x4f800000, s2
	v_xor_b32_e32 v3, s30, v3
	s_wait_alu 0xfffe
	s_delay_alu instid0(SALU_CYCLE_1) | instskip(NEXT) | instid1(TRANS32_DEP_1)
	v_s_rcp_f32 s2, s2
	s_mul_f32 s2, s2, 0x5f7ffffc
	s_wait_alu 0xfffe
	s_delay_alu instid0(SALU_CYCLE_2) | instskip(SKIP_1) | instid1(SALU_CYCLE_2)
	s_mul_f32 s18, s2, 0x2f800000
	s_wait_alu 0xfffe
	s_trunc_f32 s18, s18
	s_wait_alu 0xfffe
	s_delay_alu instid0(SALU_CYCLE_2) | instskip(SKIP_2) | instid1(SALU_CYCLE_1)
	s_fmamk_f32 s2, s18, 0xcf800000, s2
	s_cvt_u32_f32 s39, s18
	s_wait_alu 0xfffe
	s_cvt_u32_f32 s38, s2
	s_wait_alu 0xfffe
	s_delay_alu instid0(SALU_CYCLE_2)
	s_mul_u64 s[42:43], s[40:41], s[38:39]
	s_wait_alu 0xfffe
	s_mul_hi_u32 s45, s38, s43
	s_mul_i32 s44, s38, s43
	s_mul_hi_u32 s18, s38, s42
	s_mul_i32 s27, s39, s42
	s_wait_alu 0xfffe
	s_add_nc_u64 s[44:45], s[18:19], s[44:45]
	s_mul_hi_u32 s2, s39, s42
	s_mul_hi_u32 s29, s39, s43
	s_wait_alu 0xfffe
	s_add_co_u32 s18, s44, s27
	s_add_co_ci_u32 s18, s45, s2
	s_mul_i32 s42, s39, s43
	s_add_co_ci_u32 s43, s29, 0
	s_wait_alu 0xfffe
	s_add_nc_u64 s[42:43], s[18:19], s[42:43]
	s_wait_alu 0xfffe
	s_add_co_u32 s38, s38, s42
	s_cselect_b32 s2, -1, 0
	s_wait_alu 0xfffe
	s_cmp_lg_u32 s2, 0
	s_add_co_ci_u32 s39, s39, s43
	s_wait_alu 0xfffe
	s_mul_u64 s[40:41], s[40:41], s[38:39]
	s_wait_alu 0xfffe
	s_mul_hi_u32 s43, s38, s41
	s_mul_i32 s42, s38, s41
	s_mul_hi_u32 s18, s38, s40
	s_mul_i32 s27, s39, s40
	s_wait_alu 0xfffe
	s_add_nc_u64 s[42:43], s[18:19], s[42:43]
	s_mul_hi_u32 s2, s39, s40
	s_mul_hi_u32 s29, s39, s41
	s_wait_alu 0xfffe
	s_add_co_u32 s18, s42, s27
	s_add_co_ci_u32 s18, s43, s2
	s_mul_i32 s40, s39, s41
	s_add_co_ci_u32 s41, s29, 0
	s_wait_alu 0xfffe
	s_add_nc_u64 s[40:41], s[18:19], s[40:41]
	s_wait_alu 0xfffe
	s_add_co_u32 s2, s38, s40
	s_cselect_b32 s18, -1, 0
	s_wait_alu 0xfffe
	v_mul_hi_u32 v14, v5, s2
	s_cmp_lg_u32 s18, 0
	v_mad_co_u64_u32 v[9:10], null, v13, s2, 0
	s_add_co_ci_u32 s18, s39, s41
	s_wait_alu 0xfffe
	v_mad_co_u64_u32 v[7:8], null, v5, s18, 0
	v_mad_co_u64_u32 v[11:12], null, v13, s18, 0
	s_delay_alu instid0(VALU_DEP_2) | instskip(SKIP_1) | instid1(VALU_DEP_3)
	v_add_co_u32 v7, vcc_lo, v14, v7
	s_wait_alu 0xfffd
	v_add_co_ci_u32_e64 v8, null, 0, v8, vcc_lo
	s_delay_alu instid0(VALU_DEP_2) | instskip(SKIP_1) | instid1(VALU_DEP_2)
	v_add_co_u32 v7, vcc_lo, v7, v9
	s_wait_alu 0xfffd
	v_add_co_ci_u32_e32 v7, vcc_lo, v8, v10, vcc_lo
	s_wait_alu 0xfffd
	v_add_co_ci_u32_e32 v8, vcc_lo, 0, v12, vcc_lo
	s_delay_alu instid0(VALU_DEP_2) | instskip(SKIP_1) | instid1(VALU_DEP_2)
	v_add_co_u32 v9, vcc_lo, v7, v11
	s_wait_alu 0xfffd
	v_add_co_ci_u32_e64 v10, null, 0, v8, vcc_lo
	s_delay_alu instid0(VALU_DEP_2) | instskip(SKIP_1) | instid1(VALU_DEP_3)
	v_mul_lo_u32 v11, s37, v9
	v_mad_co_u64_u32 v[7:8], null, s36, v9, 0
	v_mul_lo_u32 v12, s36, v10
	s_delay_alu instid0(VALU_DEP_2) | instskip(NEXT) | instid1(VALU_DEP_2)
	v_sub_co_u32 v5, vcc_lo, v5, v7
	v_add3_u32 v8, v8, v12, v11
	s_delay_alu instid0(VALU_DEP_1) | instskip(SKIP_2) | instid1(VALU_DEP_2)
	v_sub_nc_u32_e32 v11, v13, v8
	s_wait_alu 0xfffd
	v_sub_co_ci_u32_e64 v8, null, v13, v8, vcc_lo
	v_subrev_co_ci_u32_e64 v7, null, s37, v11, vcc_lo
	v_add_co_u32 v11, s2, v9, 2
	s_wait_alu 0xf1ff
	v_add_co_ci_u32_e64 v12, null, 0, v10, s2
	v_sub_co_u32 v14, s2, v5, s36
	s_wait_alu 0xf1ff
	v_subrev_co_ci_u32_e64 v7, null, 0, v7, s2
	s_delay_alu instid0(VALU_DEP_2) | instskip(SKIP_2) | instid1(VALU_DEP_3)
	v_cmp_le_u32_e32 vcc_lo, s36, v14
	s_wait_alu 0xfffd
	v_cndmask_b32_e64 v13, 0, -1, vcc_lo
	v_cmp_le_u32_e32 vcc_lo, s37, v7
	s_wait_alu 0xfffd
	v_cndmask_b32_e64 v14, 0, -1, vcc_lo
	;; [unrolled: 3-line block ×4, first 2 shown]
	v_cmp_eq_u32_e32 vcc_lo, s37, v7
	s_wait_alu 0xfffd
	v_cndmask_b32_e32 v7, v14, v13, vcc_lo
	v_add_co_u32 v13, vcc_lo, v9, 1
	s_wait_alu 0xfffd
	v_add_co_ci_u32_e64 v14, null, 0, v10, vcc_lo
	v_cmp_eq_u32_e32 vcc_lo, s37, v8
	s_wait_alu 0xfffd
	v_cndmask_b32_e32 v5, v15, v5, vcc_lo
	v_cmp_ne_u32_e32 vcc_lo, 0, v7
	s_delay_alu instid0(VALU_DEP_2) | instskip(SKIP_4) | instid1(VALU_DEP_2)
	v_cmp_ne_u32_e64 s2, 0, v5
	s_wait_alu 0xfffd
	v_cndmask_b32_e32 v5, v13, v11, vcc_lo
	v_cndmask_b32_e32 v7, v14, v12, vcc_lo
	s_wait_alu 0xf1ff
	v_cndmask_b32_e64 v5, v9, v5, s2
	s_delay_alu instid0(VALU_DEP_2) | instskip(NEXT) | instid1(VALU_DEP_2)
	v_cndmask_b32_e64 v7, v10, v7, s2
	v_xor_b32_e32 v5, v5, v3
	s_delay_alu instid0(VALU_DEP_2) | instskip(NEXT) | instid1(VALU_DEP_2)
	v_xor_b32_e32 v7, v7, v3
	v_sub_co_u32 v8, vcc_lo, v5, v3
	s_wait_alu 0xfffd
	s_delay_alu instid0(VALU_DEP_2)
	v_sub_co_ci_u32_e64 v9, null, v7, v3, vcc_lo
.LBB96_24:                              ;   in Loop: Header=BB96_22 Depth=2
	s_wait_alu 0xfffe
	s_and_not1_saveexec_b32 s2, s25
	s_cbranch_execz .LBB96_26
; %bb.25:                               ;   in Loop: Header=BB96_22 Depth=2
	v_cvt_f32_u32_e32 v3, s28
	s_sub_co_i32 s18, 0, s28
	v_mov_b32_e32 v9, v2
	s_delay_alu instid0(VALU_DEP_2) | instskip(NEXT) | instid1(TRANS32_DEP_1)
	v_rcp_iflag_f32_e32 v3, v3
	v_mul_f32_e32 v3, 0x4f7ffffe, v3
	s_delay_alu instid0(VALU_DEP_1) | instskip(SKIP_1) | instid1(VALU_DEP_1)
	v_cvt_u32_f32_e32 v3, v3
	s_wait_alu 0xfffe
	v_mul_lo_u32 v5, s18, v3
	s_delay_alu instid0(VALU_DEP_1) | instskip(NEXT) | instid1(VALU_DEP_1)
	v_mul_hi_u32 v5, v3, v5
	v_add_nc_u32_e32 v3, v3, v5
	s_delay_alu instid0(VALU_DEP_1) | instskip(NEXT) | instid1(VALU_DEP_1)
	v_mul_hi_u32 v3, v6, v3
	v_mul_lo_u32 v5, v3, s28
	v_add_nc_u32_e32 v7, 1, v3
	s_delay_alu instid0(VALU_DEP_2) | instskip(NEXT) | instid1(VALU_DEP_1)
	v_sub_nc_u32_e32 v5, v6, v5
	v_cmp_le_u32_e32 vcc_lo, s28, v5
	v_subrev_nc_u32_e32 v8, s28, v5
	s_wait_alu 0xfffd
	v_cndmask_b32_e32 v3, v3, v7, vcc_lo
	s_delay_alu instid0(VALU_DEP_1) | instskip(NEXT) | instid1(VALU_DEP_3)
	v_add_nc_u32_e32 v7, 1, v3
	v_cndmask_b32_e32 v5, v5, v8, vcc_lo
	s_delay_alu instid0(VALU_DEP_1) | instskip(SKIP_1) | instid1(VALU_DEP_3)
	v_cmp_le_u32_e32 vcc_lo, s28, v5
	s_wait_alu 0xfffd
	v_cndmask_b32_e32 v8, v3, v7, vcc_lo
.LBB96_26:                              ;   in Loop: Header=BB96_22 Depth=2
	s_wait_alu 0xfffe
	s_or_b32 exec_lo, exec_lo, s2
	s_add_co_i32 s18, s26, 6
	s_add_nc_u64 s[34:35], s[0:1], s[34:35]
	s_wait_alu 0xfffe
	s_lshl_b64 s[36:37], s[18:19], 2
                                        ; implicit-def: $vgpr10_vgpr11
	s_mov_b32 s2, exec_lo
	s_wait_alu 0xfffe
	s_add_nc_u64 s[30:31], s[10:11], s[36:37]
	s_clause 0x1
	s_load_b32 s25, s[34:35], 0x6c
	s_load_b32 s30, s[30:31], 0x8
	s_wait_kmcnt 0x0
	s_ashr_i32 s31, s30, 31
	s_wait_alu 0xfffe
	v_or_b32_e32 v3, s31, v9
	s_delay_alu instid0(VALU_DEP_1)
	v_cmpx_ne_u64_e32 0, v[2:3]
	s_xor_b32 s27, exec_lo, s2
	s_cbranch_execz .LBB96_28
; %bb.27:                               ;   in Loop: Header=BB96_22 Depth=2
	s_ashr_i32 s34, s31, 31
	v_ashrrev_i32_e32 v3, 31, v9
	s_wait_alu 0xfffe
	s_mov_b32 s35, s34
	s_wait_alu 0xfffe
	s_add_nc_u64 s[38:39], s[30:31], s[34:35]
	v_add_co_u32 v5, vcc_lo, v8, v3
	s_wait_alu 0xfffe
	s_xor_b64 s[38:39], s[38:39], s[34:35]
	s_wait_alu 0xfffd
	v_add_co_ci_u32_e64 v7, null, v9, v3, vcc_lo
	s_wait_alu 0xfffe
	s_cvt_f32_u32 s2, s38
	s_cvt_f32_u32 s18, s39
	s_sub_nc_u64 s[42:43], 0, s[38:39]
	v_xor_b32_e32 v5, v5, v3
	v_xor_b32_e32 v7, v7, v3
	s_wait_alu 0xfffe
	s_fmamk_f32 s2, s18, 0x4f800000, s2
	v_xor_b32_e32 v3, s34, v3
	s_wait_alu 0xfffe
	s_delay_alu instid0(SALU_CYCLE_1) | instskip(NEXT) | instid1(TRANS32_DEP_1)
	v_s_rcp_f32 s2, s2
	s_mul_f32 s2, s2, 0x5f7ffffc
	s_wait_alu 0xfffe
	s_delay_alu instid0(SALU_CYCLE_2) | instskip(SKIP_1) | instid1(SALU_CYCLE_2)
	s_mul_f32 s18, s2, 0x2f800000
	s_wait_alu 0xfffe
	s_trunc_f32 s18, s18
	s_wait_alu 0xfffe
	s_delay_alu instid0(SALU_CYCLE_2) | instskip(SKIP_2) | instid1(SALU_CYCLE_1)
	s_fmamk_f32 s2, s18, 0xcf800000, s2
	s_cvt_u32_f32 s41, s18
	s_wait_alu 0xfffe
	s_cvt_u32_f32 s40, s2
	s_wait_alu 0xfffe
	s_delay_alu instid0(SALU_CYCLE_2)
	s_mul_u64 s[44:45], s[42:43], s[40:41]
	s_wait_alu 0xfffe
	s_mul_hi_u32 s47, s40, s45
	s_mul_i32 s46, s40, s45
	s_mul_hi_u32 s18, s40, s44
	s_mul_i32 s29, s41, s44
	s_wait_alu 0xfffe
	s_add_nc_u64 s[46:47], s[18:19], s[46:47]
	s_mul_hi_u32 s2, s41, s44
	s_mul_hi_u32 s31, s41, s45
	s_wait_alu 0xfffe
	s_add_co_u32 s18, s46, s29
	s_add_co_ci_u32 s18, s47, s2
	s_mul_i32 s44, s41, s45
	s_add_co_ci_u32 s45, s31, 0
	s_wait_alu 0xfffe
	s_add_nc_u64 s[44:45], s[18:19], s[44:45]
	s_wait_alu 0xfffe
	s_add_co_u32 s40, s40, s44
	s_cselect_b32 s2, -1, 0
	s_wait_alu 0xfffe
	s_cmp_lg_u32 s2, 0
	s_add_co_ci_u32 s41, s41, s45
	s_wait_alu 0xfffe
	s_mul_u64 s[42:43], s[42:43], s[40:41]
	s_wait_alu 0xfffe
	s_mul_hi_u32 s45, s40, s43
	s_mul_i32 s44, s40, s43
	s_mul_hi_u32 s18, s40, s42
	s_mul_i32 s29, s41, s42
	s_wait_alu 0xfffe
	s_add_nc_u64 s[44:45], s[18:19], s[44:45]
	s_mul_hi_u32 s2, s41, s42
	s_mul_hi_u32 s31, s41, s43
	s_wait_alu 0xfffe
	s_add_co_u32 s18, s44, s29
	s_add_co_ci_u32 s18, s45, s2
	s_mul_i32 s42, s41, s43
	s_add_co_ci_u32 s43, s31, 0
	s_wait_alu 0xfffe
	s_add_nc_u64 s[42:43], s[18:19], s[42:43]
	s_wait_alu 0xfffe
	s_add_co_u32 s2, s40, s42
	s_cselect_b32 s18, -1, 0
	s_wait_alu 0xfffe
	v_mul_hi_u32 v15, v5, s2
	s_cmp_lg_u32 s18, 0
	v_mad_co_u64_u32 v[11:12], null, v7, s2, 0
	s_add_co_ci_u32 s18, s41, s43
	s_wait_alu 0xfffe
	v_mad_co_u64_u32 v[9:10], null, v5, s18, 0
	v_mad_co_u64_u32 v[13:14], null, v7, s18, 0
	s_delay_alu instid0(VALU_DEP_2) | instskip(SKIP_1) | instid1(VALU_DEP_3)
	v_add_co_u32 v9, vcc_lo, v15, v9
	s_wait_alu 0xfffd
	v_add_co_ci_u32_e64 v10, null, 0, v10, vcc_lo
	s_delay_alu instid0(VALU_DEP_2) | instskip(SKIP_1) | instid1(VALU_DEP_2)
	v_add_co_u32 v9, vcc_lo, v9, v11
	s_wait_alu 0xfffd
	v_add_co_ci_u32_e32 v9, vcc_lo, v10, v12, vcc_lo
	s_wait_alu 0xfffd
	v_add_co_ci_u32_e32 v10, vcc_lo, 0, v14, vcc_lo
	s_delay_alu instid0(VALU_DEP_2) | instskip(SKIP_1) | instid1(VALU_DEP_2)
	v_add_co_u32 v11, vcc_lo, v9, v13
	s_wait_alu 0xfffd
	v_add_co_ci_u32_e64 v12, null, 0, v10, vcc_lo
	s_delay_alu instid0(VALU_DEP_2) | instskip(SKIP_1) | instid1(VALU_DEP_3)
	v_mul_lo_u32 v13, s39, v11
	v_mad_co_u64_u32 v[9:10], null, s38, v11, 0
	v_mul_lo_u32 v14, s38, v12
	s_delay_alu instid0(VALU_DEP_2) | instskip(NEXT) | instid1(VALU_DEP_2)
	v_sub_co_u32 v5, vcc_lo, v5, v9
	v_add3_u32 v10, v10, v14, v13
	s_delay_alu instid0(VALU_DEP_1) | instskip(SKIP_2) | instid1(VALU_DEP_2)
	v_sub_nc_u32_e32 v13, v7, v10
	s_wait_alu 0xfffd
	v_sub_co_ci_u32_e64 v7, null, v7, v10, vcc_lo
	v_subrev_co_ci_u32_e64 v9, null, s39, v13, vcc_lo
	v_add_co_u32 v13, s2, v11, 2
	s_wait_alu 0xf1ff
	v_add_co_ci_u32_e64 v14, null, 0, v12, s2
	v_sub_co_u32 v15, s2, v5, s38
	s_wait_alu 0xf1ff
	v_subrev_co_ci_u32_e64 v9, null, 0, v9, s2
	s_delay_alu instid0(VALU_DEP_2) | instskip(SKIP_2) | instid1(VALU_DEP_3)
	v_cmp_le_u32_e32 vcc_lo, s38, v15
	s_wait_alu 0xfffd
	v_cndmask_b32_e64 v10, 0, -1, vcc_lo
	v_cmp_le_u32_e32 vcc_lo, s39, v9
	s_wait_alu 0xfffd
	v_cndmask_b32_e64 v15, 0, -1, vcc_lo
	;; [unrolled: 3-line block ×4, first 2 shown]
	v_cmp_eq_u32_e32 vcc_lo, s39, v9
	s_wait_alu 0xfffd
	v_cndmask_b32_e32 v9, v15, v10, vcc_lo
	v_add_co_u32 v10, vcc_lo, v11, 1
	s_wait_alu 0xfffd
	v_add_co_ci_u32_e64 v15, null, 0, v12, vcc_lo
	v_cmp_eq_u32_e32 vcc_lo, s39, v7
	s_wait_alu 0xfffd
	v_cndmask_b32_e32 v5, v16, v5, vcc_lo
	v_cmp_ne_u32_e32 vcc_lo, 0, v9
	s_delay_alu instid0(VALU_DEP_2) | instskip(SKIP_4) | instid1(VALU_DEP_2)
	v_cmp_ne_u32_e64 s2, 0, v5
	s_wait_alu 0xfffd
	v_cndmask_b32_e32 v5, v10, v13, vcc_lo
	v_cndmask_b32_e32 v7, v15, v14, vcc_lo
	s_wait_alu 0xf1ff
	v_cndmask_b32_e64 v5, v11, v5, s2
	s_delay_alu instid0(VALU_DEP_2) | instskip(NEXT) | instid1(VALU_DEP_2)
	v_cndmask_b32_e64 v7, v12, v7, s2
	v_xor_b32_e32 v5, v5, v3
	s_delay_alu instid0(VALU_DEP_2) | instskip(NEXT) | instid1(VALU_DEP_2)
	v_xor_b32_e32 v7, v7, v3
	v_sub_co_u32 v10, vcc_lo, v5, v3
	s_wait_alu 0xfffd
	s_delay_alu instid0(VALU_DEP_2)
	v_sub_co_ci_u32_e64 v11, null, v7, v3, vcc_lo
.LBB96_28:                              ;   in Loop: Header=BB96_22 Depth=2
	s_wait_alu 0xfffe
	s_and_not1_saveexec_b32 s2, s27
	s_cbranch_execz .LBB96_30
; %bb.29:                               ;   in Loop: Header=BB96_22 Depth=2
	v_cvt_f32_u32_e32 v3, s30
	s_sub_co_i32 s18, 0, s30
	v_mov_b32_e32 v11, v2
	s_delay_alu instid0(VALU_DEP_2) | instskip(NEXT) | instid1(TRANS32_DEP_1)
	v_rcp_iflag_f32_e32 v3, v3
	v_mul_f32_e32 v3, 0x4f7ffffe, v3
	s_delay_alu instid0(VALU_DEP_1) | instskip(SKIP_1) | instid1(VALU_DEP_1)
	v_cvt_u32_f32_e32 v3, v3
	s_wait_alu 0xfffe
	v_mul_lo_u32 v5, s18, v3
	s_delay_alu instid0(VALU_DEP_1) | instskip(NEXT) | instid1(VALU_DEP_1)
	v_mul_hi_u32 v5, v3, v5
	v_add_nc_u32_e32 v3, v3, v5
	s_delay_alu instid0(VALU_DEP_1) | instskip(NEXT) | instid1(VALU_DEP_1)
	v_mul_hi_u32 v3, v8, v3
	v_mul_lo_u32 v5, v3, s30
	v_add_nc_u32_e32 v7, 1, v3
	s_delay_alu instid0(VALU_DEP_2) | instskip(NEXT) | instid1(VALU_DEP_1)
	v_sub_nc_u32_e32 v5, v8, v5
	v_cmp_le_u32_e32 vcc_lo, s30, v5
	v_subrev_nc_u32_e32 v9, s30, v5
	s_wait_alu 0xfffd
	v_cndmask_b32_e32 v3, v3, v7, vcc_lo
	s_delay_alu instid0(VALU_DEP_1) | instskip(NEXT) | instid1(VALU_DEP_3)
	v_add_nc_u32_e32 v7, 1, v3
	v_cndmask_b32_e32 v5, v5, v9, vcc_lo
	s_delay_alu instid0(VALU_DEP_1) | instskip(SKIP_1) | instid1(VALU_DEP_3)
	v_cmp_le_u32_e32 vcc_lo, s30, v5
	s_wait_alu 0xfffd
	v_cndmask_b32_e32 v10, v3, v7, vcc_lo
.LBB96_30:                              ;   in Loop: Header=BB96_22 Depth=2
	s_wait_alu 0xfffe
	s_or_b32 exec_lo, exec_lo, s2
	s_add_co_i32 s18, s26, 5
	s_add_nc_u64 s[36:37], s[0:1], s[36:37]
	s_wait_alu 0xfffe
	s_lshl_b64 s[38:39], s[18:19], 2
                                        ; implicit-def: $vgpr12_vgpr13
	s_mov_b32 s2, exec_lo
	s_wait_alu 0xfffe
	s_add_nc_u64 s[34:35], s[10:11], s[38:39]
	s_clause 0x1
	s_load_b32 s29, s[36:37], 0x6c
	s_load_b32 s34, s[34:35], 0x8
	s_wait_kmcnt 0x0
	s_ashr_i32 s35, s34, 31
	s_wait_alu 0xfffe
	v_or_b32_e32 v3, s35, v11
	s_delay_alu instid0(VALU_DEP_1)
	v_cmpx_ne_u64_e32 0, v[2:3]
	s_xor_b32 s27, exec_lo, s2
	s_cbranch_execz .LBB96_32
; %bb.31:                               ;   in Loop: Header=BB96_22 Depth=2
	s_ashr_i32 s36, s35, 31
	v_ashrrev_i32_e32 v3, 31, v11
	s_wait_alu 0xfffe
	s_mov_b32 s37, s36
	s_wait_alu 0xfffe
	s_add_nc_u64 s[40:41], s[34:35], s[36:37]
	v_add_co_u32 v5, vcc_lo, v10, v3
	s_wait_alu 0xfffe
	s_xor_b64 s[40:41], s[40:41], s[36:37]
	s_wait_alu 0xfffd
	v_add_co_ci_u32_e64 v7, null, v11, v3, vcc_lo
	s_wait_alu 0xfffe
	s_cvt_f32_u32 s2, s40
	s_cvt_f32_u32 s18, s41
	s_sub_nc_u64 s[44:45], 0, s[40:41]
	v_xor_b32_e32 v5, v5, v3
	v_xor_b32_e32 v7, v7, v3
	s_wait_alu 0xfffe
	s_fmamk_f32 s2, s18, 0x4f800000, s2
	v_xor_b32_e32 v3, s36, v3
	s_wait_alu 0xfffe
	s_delay_alu instid0(SALU_CYCLE_1) | instskip(NEXT) | instid1(TRANS32_DEP_1)
	v_s_rcp_f32 s2, s2
	s_mul_f32 s2, s2, 0x5f7ffffc
	s_wait_alu 0xfffe
	s_delay_alu instid0(SALU_CYCLE_2) | instskip(SKIP_1) | instid1(SALU_CYCLE_2)
	s_mul_f32 s18, s2, 0x2f800000
	s_wait_alu 0xfffe
	s_trunc_f32 s18, s18
	s_wait_alu 0xfffe
	s_delay_alu instid0(SALU_CYCLE_2) | instskip(SKIP_2) | instid1(SALU_CYCLE_1)
	s_fmamk_f32 s2, s18, 0xcf800000, s2
	s_cvt_u32_f32 s43, s18
	s_wait_alu 0xfffe
	s_cvt_u32_f32 s42, s2
	s_wait_alu 0xfffe
	s_delay_alu instid0(SALU_CYCLE_2)
	s_mul_u64 s[46:47], s[44:45], s[42:43]
	s_wait_alu 0xfffe
	s_mul_hi_u32 s49, s42, s47
	s_mul_i32 s48, s42, s47
	s_mul_hi_u32 s18, s42, s46
	s_mul_i32 s31, s43, s46
	s_wait_alu 0xfffe
	s_add_nc_u64 s[48:49], s[18:19], s[48:49]
	s_mul_hi_u32 s2, s43, s46
	s_mul_hi_u32 s35, s43, s47
	s_wait_alu 0xfffe
	s_add_co_u32 s18, s48, s31
	s_add_co_ci_u32 s18, s49, s2
	s_mul_i32 s46, s43, s47
	s_add_co_ci_u32 s47, s35, 0
	s_wait_alu 0xfffe
	s_add_nc_u64 s[46:47], s[18:19], s[46:47]
	s_wait_alu 0xfffe
	s_add_co_u32 s42, s42, s46
	s_cselect_b32 s2, -1, 0
	s_wait_alu 0xfffe
	s_cmp_lg_u32 s2, 0
	s_add_co_ci_u32 s43, s43, s47
	s_wait_alu 0xfffe
	s_mul_u64 s[44:45], s[44:45], s[42:43]
	s_wait_alu 0xfffe
	s_mul_hi_u32 s47, s42, s45
	s_mul_i32 s46, s42, s45
	s_mul_hi_u32 s18, s42, s44
	s_mul_i32 s31, s43, s44
	s_wait_alu 0xfffe
	s_add_nc_u64 s[46:47], s[18:19], s[46:47]
	s_mul_hi_u32 s2, s43, s44
	s_mul_hi_u32 s35, s43, s45
	s_wait_alu 0xfffe
	s_add_co_u32 s18, s46, s31
	s_add_co_ci_u32 s18, s47, s2
	s_mul_i32 s44, s43, s45
	s_add_co_ci_u32 s45, s35, 0
	s_wait_alu 0xfffe
	s_add_nc_u64 s[44:45], s[18:19], s[44:45]
	s_wait_alu 0xfffe
	s_add_co_u32 s2, s42, s44
	s_cselect_b32 s18, -1, 0
	s_wait_alu 0xfffe
	v_mul_hi_u32 v9, v5, s2
	s_cmp_lg_u32 s18, 0
	v_mad_co_u64_u32 v[13:14], null, v7, s2, 0
	s_add_co_ci_u32 s18, s43, s45
	s_wait_alu 0xfffe
	v_mad_co_u64_u32 v[11:12], null, v5, s18, 0
	v_mad_co_u64_u32 v[15:16], null, v7, s18, 0
	s_delay_alu instid0(VALU_DEP_2) | instskip(SKIP_1) | instid1(VALU_DEP_3)
	v_add_co_u32 v9, vcc_lo, v9, v11
	s_wait_alu 0xfffd
	v_add_co_ci_u32_e64 v11, null, 0, v12, vcc_lo
	s_delay_alu instid0(VALU_DEP_2) | instskip(SKIP_1) | instid1(VALU_DEP_2)
	v_add_co_u32 v9, vcc_lo, v9, v13
	s_wait_alu 0xfffd
	v_add_co_ci_u32_e32 v9, vcc_lo, v11, v14, vcc_lo
	s_wait_alu 0xfffd
	v_add_co_ci_u32_e32 v11, vcc_lo, 0, v16, vcc_lo
	s_delay_alu instid0(VALU_DEP_2) | instskip(SKIP_1) | instid1(VALU_DEP_2)
	v_add_co_u32 v9, vcc_lo, v9, v15
	s_wait_alu 0xfffd
	v_add_co_ci_u32_e64 v13, null, 0, v11, vcc_lo
	s_delay_alu instid0(VALU_DEP_2) | instskip(SKIP_1) | instid1(VALU_DEP_3)
	v_mul_lo_u32 v14, s41, v9
	v_mad_co_u64_u32 v[11:12], null, s40, v9, 0
	v_mul_lo_u32 v15, s40, v13
	s_delay_alu instid0(VALU_DEP_2) | instskip(NEXT) | instid1(VALU_DEP_2)
	v_sub_co_u32 v5, vcc_lo, v5, v11
	v_add3_u32 v12, v12, v15, v14
	s_delay_alu instid0(VALU_DEP_1) | instskip(SKIP_2) | instid1(VALU_DEP_2)
	v_sub_nc_u32_e32 v14, v7, v12
	s_wait_alu 0xfffd
	v_sub_co_ci_u32_e64 v7, null, v7, v12, vcc_lo
	v_subrev_co_ci_u32_e64 v11, null, s41, v14, vcc_lo
	v_add_co_u32 v14, s2, v9, 2
	s_wait_alu 0xf1ff
	v_add_co_ci_u32_e64 v15, null, 0, v13, s2
	v_sub_co_u32 v16, s2, v5, s40
	s_wait_alu 0xf1ff
	v_subrev_co_ci_u32_e64 v11, null, 0, v11, s2
	s_delay_alu instid0(VALU_DEP_2) | instskip(SKIP_2) | instid1(VALU_DEP_3)
	v_cmp_le_u32_e32 vcc_lo, s40, v16
	s_wait_alu 0xfffd
	v_cndmask_b32_e64 v12, 0, -1, vcc_lo
	v_cmp_le_u32_e32 vcc_lo, s41, v11
	s_wait_alu 0xfffd
	v_cndmask_b32_e64 v16, 0, -1, vcc_lo
	v_cmp_le_u32_e32 vcc_lo, s40, v5
	s_wait_alu 0xfffd
	v_cndmask_b32_e64 v5, 0, -1, vcc_lo
	v_cmp_le_u32_e32 vcc_lo, s41, v7
	s_wait_alu 0xfffd
	v_cndmask_b32_e64 v17, 0, -1, vcc_lo
	v_cmp_eq_u32_e32 vcc_lo, s41, v11
	s_wait_alu 0xfffd
	v_cndmask_b32_e32 v11, v16, v12, vcc_lo
	v_add_co_u32 v12, vcc_lo, v9, 1
	s_wait_alu 0xfffd
	v_add_co_ci_u32_e64 v16, null, 0, v13, vcc_lo
	v_cmp_eq_u32_e32 vcc_lo, s41, v7
	s_wait_alu 0xfffd
	v_cndmask_b32_e32 v5, v17, v5, vcc_lo
	v_cmp_ne_u32_e32 vcc_lo, 0, v11
	s_delay_alu instid0(VALU_DEP_2) | instskip(SKIP_4) | instid1(VALU_DEP_2)
	v_cmp_ne_u32_e64 s2, 0, v5
	s_wait_alu 0xfffd
	v_cndmask_b32_e32 v5, v12, v14, vcc_lo
	v_cndmask_b32_e32 v7, v16, v15, vcc_lo
	s_wait_alu 0xf1ff
	v_cndmask_b32_e64 v5, v9, v5, s2
	s_delay_alu instid0(VALU_DEP_2) | instskip(NEXT) | instid1(VALU_DEP_2)
	v_cndmask_b32_e64 v7, v13, v7, s2
	v_xor_b32_e32 v5, v5, v3
	s_delay_alu instid0(VALU_DEP_2) | instskip(NEXT) | instid1(VALU_DEP_2)
	v_xor_b32_e32 v7, v7, v3
	v_sub_co_u32 v12, vcc_lo, v5, v3
	s_wait_alu 0xfffd
	s_delay_alu instid0(VALU_DEP_2)
	v_sub_co_ci_u32_e64 v13, null, v7, v3, vcc_lo
.LBB96_32:                              ;   in Loop: Header=BB96_22 Depth=2
	s_wait_alu 0xfffe
	s_and_not1_saveexec_b32 s2, s27
	s_cbranch_execz .LBB96_34
; %bb.33:                               ;   in Loop: Header=BB96_22 Depth=2
	v_cvt_f32_u32_e32 v3, s34
	s_sub_co_i32 s18, 0, s34
	v_mov_b32_e32 v13, v2
	s_delay_alu instid0(VALU_DEP_2) | instskip(NEXT) | instid1(TRANS32_DEP_1)
	v_rcp_iflag_f32_e32 v3, v3
	v_mul_f32_e32 v3, 0x4f7ffffe, v3
	s_delay_alu instid0(VALU_DEP_1) | instskip(SKIP_1) | instid1(VALU_DEP_1)
	v_cvt_u32_f32_e32 v3, v3
	s_wait_alu 0xfffe
	v_mul_lo_u32 v5, s18, v3
	s_delay_alu instid0(VALU_DEP_1) | instskip(NEXT) | instid1(VALU_DEP_1)
	v_mul_hi_u32 v5, v3, v5
	v_add_nc_u32_e32 v3, v3, v5
	s_delay_alu instid0(VALU_DEP_1) | instskip(NEXT) | instid1(VALU_DEP_1)
	v_mul_hi_u32 v3, v10, v3
	v_mul_lo_u32 v5, v3, s34
	v_add_nc_u32_e32 v7, 1, v3
	s_delay_alu instid0(VALU_DEP_2) | instskip(NEXT) | instid1(VALU_DEP_1)
	v_sub_nc_u32_e32 v5, v10, v5
	v_cmp_le_u32_e32 vcc_lo, s34, v5
	v_subrev_nc_u32_e32 v9, s34, v5
	s_wait_alu 0xfffd
	v_cndmask_b32_e32 v3, v3, v7, vcc_lo
	s_delay_alu instid0(VALU_DEP_1) | instskip(NEXT) | instid1(VALU_DEP_3)
	v_add_nc_u32_e32 v7, 1, v3
	v_cndmask_b32_e32 v5, v5, v9, vcc_lo
	s_delay_alu instid0(VALU_DEP_1) | instskip(SKIP_1) | instid1(VALU_DEP_3)
	v_cmp_le_u32_e32 vcc_lo, s34, v5
	s_wait_alu 0xfffd
	v_cndmask_b32_e32 v12, v3, v7, vcc_lo
.LBB96_34:                              ;   in Loop: Header=BB96_22 Depth=2
	s_wait_alu 0xfffe
	s_or_b32 exec_lo, exec_lo, s2
	s_add_co_i32 s18, s26, 4
	s_add_nc_u64 s[38:39], s[0:1], s[38:39]
	s_wait_alu 0xfffe
	s_lshl_b64 s[40:41], s[18:19], 2
                                        ; implicit-def: $vgpr14_vgpr15
	s_mov_b32 s2, exec_lo
	s_wait_alu 0xfffe
	s_add_nc_u64 s[36:37], s[10:11], s[40:41]
	s_clause 0x1
	s_load_b32 s31, s[38:39], 0x6c
	s_load_b32 s36, s[36:37], 0x8
	s_wait_kmcnt 0x0
	s_ashr_i32 s37, s36, 31
	s_wait_alu 0xfffe
	v_or_b32_e32 v3, s37, v13
	s_delay_alu instid0(VALU_DEP_1)
	v_cmpx_ne_u64_e32 0, v[2:3]
	s_xor_b32 s27, exec_lo, s2
	s_cbranch_execz .LBB96_36
; %bb.35:                               ;   in Loop: Header=BB96_22 Depth=2
	s_ashr_i32 s38, s37, 31
	v_ashrrev_i32_e32 v3, 31, v13
	s_wait_alu 0xfffe
	s_mov_b32 s39, s38
	s_wait_alu 0xfffe
	s_add_nc_u64 s[42:43], s[36:37], s[38:39]
	v_add_co_u32 v5, vcc_lo, v12, v3
	s_wait_alu 0xfffe
	s_xor_b64 s[42:43], s[42:43], s[38:39]
	s_wait_alu 0xfffd
	v_add_co_ci_u32_e64 v7, null, v13, v3, vcc_lo
	s_wait_alu 0xfffe
	s_cvt_f32_u32 s2, s42
	s_cvt_f32_u32 s18, s43
	s_sub_nc_u64 s[46:47], 0, s[42:43]
	v_xor_b32_e32 v5, v5, v3
	v_xor_b32_e32 v7, v7, v3
	s_wait_alu 0xfffe
	s_fmamk_f32 s2, s18, 0x4f800000, s2
	v_xor_b32_e32 v3, s38, v3
	s_wait_alu 0xfffe
	s_delay_alu instid0(SALU_CYCLE_1) | instskip(NEXT) | instid1(TRANS32_DEP_1)
	v_s_rcp_f32 s2, s2
	s_mul_f32 s2, s2, 0x5f7ffffc
	s_wait_alu 0xfffe
	s_delay_alu instid0(SALU_CYCLE_2) | instskip(SKIP_1) | instid1(SALU_CYCLE_2)
	s_mul_f32 s18, s2, 0x2f800000
	s_wait_alu 0xfffe
	s_trunc_f32 s18, s18
	s_wait_alu 0xfffe
	s_delay_alu instid0(SALU_CYCLE_2) | instskip(SKIP_2) | instid1(SALU_CYCLE_1)
	s_fmamk_f32 s2, s18, 0xcf800000, s2
	s_cvt_u32_f32 s45, s18
	s_wait_alu 0xfffe
	s_cvt_u32_f32 s44, s2
	s_wait_alu 0xfffe
	s_delay_alu instid0(SALU_CYCLE_2)
	s_mul_u64 s[48:49], s[46:47], s[44:45]
	s_wait_alu 0xfffe
	s_mul_hi_u32 s51, s44, s49
	s_mul_i32 s50, s44, s49
	s_mul_hi_u32 s18, s44, s48
	s_mul_i32 s35, s45, s48
	s_wait_alu 0xfffe
	s_add_nc_u64 s[50:51], s[18:19], s[50:51]
	s_mul_hi_u32 s2, s45, s48
	s_mul_hi_u32 s37, s45, s49
	s_wait_alu 0xfffe
	s_add_co_u32 s18, s50, s35
	s_add_co_ci_u32 s18, s51, s2
	s_mul_i32 s48, s45, s49
	s_add_co_ci_u32 s49, s37, 0
	s_wait_alu 0xfffe
	s_add_nc_u64 s[48:49], s[18:19], s[48:49]
	s_wait_alu 0xfffe
	s_add_co_u32 s44, s44, s48
	s_cselect_b32 s2, -1, 0
	s_wait_alu 0xfffe
	s_cmp_lg_u32 s2, 0
	s_add_co_ci_u32 s45, s45, s49
	s_wait_alu 0xfffe
	s_mul_u64 s[46:47], s[46:47], s[44:45]
	s_wait_alu 0xfffe
	s_mul_hi_u32 s49, s44, s47
	s_mul_i32 s48, s44, s47
	s_mul_hi_u32 s18, s44, s46
	s_mul_i32 s35, s45, s46
	s_wait_alu 0xfffe
	s_add_nc_u64 s[48:49], s[18:19], s[48:49]
	s_mul_hi_u32 s2, s45, s46
	s_mul_hi_u32 s37, s45, s47
	s_wait_alu 0xfffe
	s_add_co_u32 s18, s48, s35
	s_add_co_ci_u32 s18, s49, s2
	s_mul_i32 s46, s45, s47
	s_add_co_ci_u32 s47, s37, 0
	s_wait_alu 0xfffe
	s_add_nc_u64 s[46:47], s[18:19], s[46:47]
	s_wait_alu 0xfffe
	s_add_co_u32 s2, s44, s46
	s_cselect_b32 s18, -1, 0
	s_wait_alu 0xfffe
	v_mul_hi_u32 v9, v5, s2
	s_cmp_lg_u32 s18, 0
	v_mad_co_u64_u32 v[15:16], null, v7, s2, 0
	s_add_co_ci_u32 s18, s45, s47
	s_wait_alu 0xfffe
	v_mad_co_u64_u32 v[13:14], null, v5, s18, 0
	v_mad_co_u64_u32 v[17:18], null, v7, s18, 0
	s_delay_alu instid0(VALU_DEP_2) | instskip(SKIP_1) | instid1(VALU_DEP_3)
	v_add_co_u32 v9, vcc_lo, v9, v13
	s_wait_alu 0xfffd
	v_add_co_ci_u32_e64 v11, null, 0, v14, vcc_lo
	s_delay_alu instid0(VALU_DEP_2) | instskip(SKIP_1) | instid1(VALU_DEP_2)
	v_add_co_u32 v9, vcc_lo, v9, v15
	s_wait_alu 0xfffd
	v_add_co_ci_u32_e32 v9, vcc_lo, v11, v16, vcc_lo
	s_wait_alu 0xfffd
	v_add_co_ci_u32_e32 v11, vcc_lo, 0, v18, vcc_lo
	s_delay_alu instid0(VALU_DEP_2) | instskip(SKIP_1) | instid1(VALU_DEP_2)
	v_add_co_u32 v9, vcc_lo, v9, v17
	s_wait_alu 0xfffd
	v_add_co_ci_u32_e64 v11, null, 0, v11, vcc_lo
	s_delay_alu instid0(VALU_DEP_2) | instskip(SKIP_1) | instid1(VALU_DEP_3)
	v_mul_lo_u32 v15, s43, v9
	v_mad_co_u64_u32 v[13:14], null, s42, v9, 0
	v_mul_lo_u32 v16, s42, v11
	s_delay_alu instid0(VALU_DEP_2) | instskip(NEXT) | instid1(VALU_DEP_2)
	v_sub_co_u32 v5, vcc_lo, v5, v13
	v_add3_u32 v14, v14, v16, v15
	s_delay_alu instid0(VALU_DEP_1) | instskip(SKIP_2) | instid1(VALU_DEP_2)
	v_sub_nc_u32_e32 v15, v7, v14
	s_wait_alu 0xfffd
	v_sub_co_ci_u32_e64 v7, null, v7, v14, vcc_lo
	v_subrev_co_ci_u32_e64 v13, null, s43, v15, vcc_lo
	v_add_co_u32 v15, s2, v9, 2
	s_wait_alu 0xf1ff
	v_add_co_ci_u32_e64 v16, null, 0, v11, s2
	v_sub_co_u32 v17, s2, v5, s42
	s_wait_alu 0xf1ff
	v_subrev_co_ci_u32_e64 v13, null, 0, v13, s2
	s_delay_alu instid0(VALU_DEP_2) | instskip(SKIP_2) | instid1(VALU_DEP_3)
	v_cmp_le_u32_e32 vcc_lo, s42, v17
	s_wait_alu 0xfffd
	v_cndmask_b32_e64 v14, 0, -1, vcc_lo
	v_cmp_le_u32_e32 vcc_lo, s43, v13
	s_wait_alu 0xfffd
	v_cndmask_b32_e64 v17, 0, -1, vcc_lo
	;; [unrolled: 3-line block ×4, first 2 shown]
	v_cmp_eq_u32_e32 vcc_lo, s43, v13
	s_wait_alu 0xfffd
	v_cndmask_b32_e32 v13, v17, v14, vcc_lo
	v_add_co_u32 v14, vcc_lo, v9, 1
	s_wait_alu 0xfffd
	v_add_co_ci_u32_e64 v17, null, 0, v11, vcc_lo
	v_cmp_eq_u32_e32 vcc_lo, s43, v7
	s_wait_alu 0xfffd
	v_cndmask_b32_e32 v5, v18, v5, vcc_lo
	v_cmp_ne_u32_e32 vcc_lo, 0, v13
	s_delay_alu instid0(VALU_DEP_2) | instskip(SKIP_4) | instid1(VALU_DEP_2)
	v_cmp_ne_u32_e64 s2, 0, v5
	s_wait_alu 0xfffd
	v_cndmask_b32_e32 v5, v14, v15, vcc_lo
	v_cndmask_b32_e32 v7, v17, v16, vcc_lo
	s_wait_alu 0xf1ff
	v_cndmask_b32_e64 v5, v9, v5, s2
	s_delay_alu instid0(VALU_DEP_2) | instskip(NEXT) | instid1(VALU_DEP_2)
	v_cndmask_b32_e64 v7, v11, v7, s2
	v_xor_b32_e32 v5, v5, v3
	s_delay_alu instid0(VALU_DEP_2) | instskip(NEXT) | instid1(VALU_DEP_2)
	v_xor_b32_e32 v7, v7, v3
	v_sub_co_u32 v14, vcc_lo, v5, v3
	s_wait_alu 0xfffd
	s_delay_alu instid0(VALU_DEP_2)
	v_sub_co_ci_u32_e64 v15, null, v7, v3, vcc_lo
.LBB96_36:                              ;   in Loop: Header=BB96_22 Depth=2
	s_wait_alu 0xfffe
	s_and_not1_saveexec_b32 s2, s27
	s_cbranch_execz .LBB96_38
; %bb.37:                               ;   in Loop: Header=BB96_22 Depth=2
	v_cvt_f32_u32_e32 v3, s36
	s_sub_co_i32 s18, 0, s36
	v_mov_b32_e32 v15, v2
	s_delay_alu instid0(VALU_DEP_2) | instskip(NEXT) | instid1(TRANS32_DEP_1)
	v_rcp_iflag_f32_e32 v3, v3
	v_mul_f32_e32 v3, 0x4f7ffffe, v3
	s_delay_alu instid0(VALU_DEP_1) | instskip(SKIP_1) | instid1(VALU_DEP_1)
	v_cvt_u32_f32_e32 v3, v3
	s_wait_alu 0xfffe
	v_mul_lo_u32 v5, s18, v3
	s_delay_alu instid0(VALU_DEP_1) | instskip(NEXT) | instid1(VALU_DEP_1)
	v_mul_hi_u32 v5, v3, v5
	v_add_nc_u32_e32 v3, v3, v5
	s_delay_alu instid0(VALU_DEP_1) | instskip(NEXT) | instid1(VALU_DEP_1)
	v_mul_hi_u32 v3, v12, v3
	v_mul_lo_u32 v5, v3, s36
	v_add_nc_u32_e32 v7, 1, v3
	s_delay_alu instid0(VALU_DEP_2) | instskip(NEXT) | instid1(VALU_DEP_1)
	v_sub_nc_u32_e32 v5, v12, v5
	v_cmp_le_u32_e32 vcc_lo, s36, v5
	v_subrev_nc_u32_e32 v9, s36, v5
	s_wait_alu 0xfffd
	v_cndmask_b32_e32 v3, v3, v7, vcc_lo
	s_delay_alu instid0(VALU_DEP_1) | instskip(NEXT) | instid1(VALU_DEP_3)
	v_add_nc_u32_e32 v7, 1, v3
	v_cndmask_b32_e32 v5, v5, v9, vcc_lo
	s_delay_alu instid0(VALU_DEP_1) | instskip(SKIP_1) | instid1(VALU_DEP_3)
	v_cmp_le_u32_e32 vcc_lo, s36, v5
	s_wait_alu 0xfffd
	v_cndmask_b32_e32 v14, v3, v7, vcc_lo
.LBB96_38:                              ;   in Loop: Header=BB96_22 Depth=2
	s_wait_alu 0xfffe
	s_or_b32 exec_lo, exec_lo, s2
	s_add_co_i32 s18, s26, 3
	s_add_nc_u64 s[40:41], s[0:1], s[40:41]
	s_wait_alu 0xfffe
	s_lshl_b64 s[42:43], s[18:19], 2
                                        ; implicit-def: $vgpr16_vgpr17
	s_mov_b32 s2, exec_lo
	s_wait_alu 0xfffe
	s_add_nc_u64 s[38:39], s[10:11], s[42:43]
	s_clause 0x1
	s_load_b32 s35, s[40:41], 0x6c
	s_load_b32 s38, s[38:39], 0x8
	s_wait_kmcnt 0x0
	s_ashr_i32 s39, s38, 31
	s_wait_alu 0xfffe
	v_or_b32_e32 v3, s39, v15
	s_delay_alu instid0(VALU_DEP_1)
	v_cmpx_ne_u64_e32 0, v[2:3]
	s_xor_b32 s27, exec_lo, s2
	s_cbranch_execz .LBB96_40
; %bb.39:                               ;   in Loop: Header=BB96_22 Depth=2
	s_ashr_i32 s40, s39, 31
	v_ashrrev_i32_e32 v3, 31, v15
	s_wait_alu 0xfffe
	s_mov_b32 s41, s40
	s_wait_alu 0xfffe
	s_add_nc_u64 s[44:45], s[38:39], s[40:41]
	v_add_co_u32 v5, vcc_lo, v14, v3
	s_wait_alu 0xfffe
	s_xor_b64 s[44:45], s[44:45], s[40:41]
	s_wait_alu 0xfffd
	v_add_co_ci_u32_e64 v7, null, v15, v3, vcc_lo
	s_wait_alu 0xfffe
	s_cvt_f32_u32 s2, s44
	s_cvt_f32_u32 s18, s45
	s_sub_nc_u64 s[48:49], 0, s[44:45]
	v_xor_b32_e32 v5, v5, v3
	v_xor_b32_e32 v7, v7, v3
	s_wait_alu 0xfffe
	s_fmamk_f32 s2, s18, 0x4f800000, s2
	v_xor_b32_e32 v3, s40, v3
	s_wait_alu 0xfffe
	s_delay_alu instid0(SALU_CYCLE_1) | instskip(NEXT) | instid1(TRANS32_DEP_1)
	v_s_rcp_f32 s2, s2
	s_mul_f32 s2, s2, 0x5f7ffffc
	s_wait_alu 0xfffe
	s_delay_alu instid0(SALU_CYCLE_2) | instskip(SKIP_1) | instid1(SALU_CYCLE_2)
	s_mul_f32 s18, s2, 0x2f800000
	s_wait_alu 0xfffe
	s_trunc_f32 s18, s18
	s_wait_alu 0xfffe
	s_delay_alu instid0(SALU_CYCLE_2) | instskip(SKIP_2) | instid1(SALU_CYCLE_1)
	s_fmamk_f32 s2, s18, 0xcf800000, s2
	s_cvt_u32_f32 s47, s18
	s_wait_alu 0xfffe
	s_cvt_u32_f32 s46, s2
	s_wait_alu 0xfffe
	s_delay_alu instid0(SALU_CYCLE_2)
	s_mul_u64 s[50:51], s[48:49], s[46:47]
	s_wait_alu 0xfffe
	s_mul_hi_u32 s59, s46, s51
	s_mul_i32 s58, s46, s51
	s_mul_hi_u32 s18, s46, s50
	s_mul_i32 s37, s47, s50
	s_wait_alu 0xfffe
	s_add_nc_u64 s[58:59], s[18:19], s[58:59]
	s_mul_hi_u32 s2, s47, s50
	s_mul_hi_u32 s39, s47, s51
	s_add_co_u32 s18, s58, s37
	s_wait_alu 0xfffe
	s_add_co_ci_u32 s18, s59, s2
	s_mul_i32 s50, s47, s51
	s_add_co_ci_u32 s51, s39, 0
	s_wait_alu 0xfffe
	s_add_nc_u64 s[50:51], s[18:19], s[50:51]
	s_wait_alu 0xfffe
	s_add_co_u32 s46, s46, s50
	s_cselect_b32 s2, -1, 0
	s_wait_alu 0xfffe
	s_cmp_lg_u32 s2, 0
	s_add_co_ci_u32 s47, s47, s51
	s_wait_alu 0xfffe
	s_mul_u64 s[48:49], s[48:49], s[46:47]
	s_wait_alu 0xfffe
	s_mul_hi_u32 s51, s46, s49
	s_mul_i32 s50, s46, s49
	s_mul_hi_u32 s18, s46, s48
	s_mul_i32 s37, s47, s48
	s_wait_alu 0xfffe
	s_add_nc_u64 s[50:51], s[18:19], s[50:51]
	s_mul_hi_u32 s2, s47, s48
	s_mul_hi_u32 s39, s47, s49
	s_wait_alu 0xfffe
	s_add_co_u32 s18, s50, s37
	s_add_co_ci_u32 s18, s51, s2
	s_mul_i32 s48, s47, s49
	s_add_co_ci_u32 s49, s39, 0
	s_wait_alu 0xfffe
	s_add_nc_u64 s[48:49], s[18:19], s[48:49]
	s_wait_alu 0xfffe
	s_add_co_u32 s2, s46, s48
	s_cselect_b32 s18, -1, 0
	s_wait_alu 0xfffe
	v_mul_hi_u32 v9, v5, s2
	s_cmp_lg_u32 s18, 0
	v_mad_co_u64_u32 v[17:18], null, v7, s2, 0
	s_add_co_ci_u32 s18, s47, s49
	s_wait_alu 0xfffe
	v_mad_co_u64_u32 v[15:16], null, v5, s18, 0
	v_mad_co_u64_u32 v[19:20], null, v7, s18, 0
	s_delay_alu instid0(VALU_DEP_2) | instskip(SKIP_1) | instid1(VALU_DEP_3)
	v_add_co_u32 v9, vcc_lo, v9, v15
	s_wait_alu 0xfffd
	v_add_co_ci_u32_e64 v11, null, 0, v16, vcc_lo
	s_delay_alu instid0(VALU_DEP_2) | instskip(SKIP_1) | instid1(VALU_DEP_2)
	v_add_co_u32 v9, vcc_lo, v9, v17
	s_wait_alu 0xfffd
	v_add_co_ci_u32_e32 v9, vcc_lo, v11, v18, vcc_lo
	s_wait_alu 0xfffd
	v_add_co_ci_u32_e32 v11, vcc_lo, 0, v20, vcc_lo
	s_delay_alu instid0(VALU_DEP_2) | instskip(SKIP_1) | instid1(VALU_DEP_2)
	v_add_co_u32 v9, vcc_lo, v9, v19
	s_wait_alu 0xfffd
	v_add_co_ci_u32_e64 v11, null, 0, v11, vcc_lo
	s_delay_alu instid0(VALU_DEP_2) | instskip(SKIP_1) | instid1(VALU_DEP_3)
	v_mul_lo_u32 v13, s45, v9
	v_mad_co_u64_u32 v[15:16], null, s44, v9, 0
	v_mul_lo_u32 v17, s44, v11
	s_delay_alu instid0(VALU_DEP_2) | instskip(NEXT) | instid1(VALU_DEP_2)
	v_sub_co_u32 v5, vcc_lo, v5, v15
	v_add3_u32 v13, v16, v17, v13
	s_delay_alu instid0(VALU_DEP_1) | instskip(SKIP_2) | instid1(VALU_DEP_2)
	v_sub_nc_u32_e32 v16, v7, v13
	s_wait_alu 0xfffd
	v_sub_co_ci_u32_e64 v7, null, v7, v13, vcc_lo
	v_subrev_co_ci_u32_e64 v15, null, s45, v16, vcc_lo
	v_add_co_u32 v16, s2, v9, 2
	s_wait_alu 0xf1ff
	v_add_co_ci_u32_e64 v17, null, 0, v11, s2
	v_sub_co_u32 v18, s2, v5, s44
	s_wait_alu 0xf1ff
	v_subrev_co_ci_u32_e64 v15, null, 0, v15, s2
	s_delay_alu instid0(VALU_DEP_2) | instskip(SKIP_2) | instid1(VALU_DEP_3)
	v_cmp_le_u32_e32 vcc_lo, s44, v18
	s_wait_alu 0xfffd
	v_cndmask_b32_e64 v13, 0, -1, vcc_lo
	v_cmp_le_u32_e32 vcc_lo, s45, v15
	s_wait_alu 0xfffd
	v_cndmask_b32_e64 v18, 0, -1, vcc_lo
	;; [unrolled: 3-line block ×4, first 2 shown]
	v_cmp_eq_u32_e32 vcc_lo, s45, v15
	s_wait_alu 0xfffd
	v_cndmask_b32_e32 v13, v18, v13, vcc_lo
	v_add_co_u32 v15, vcc_lo, v9, 1
	s_wait_alu 0xfffd
	v_add_co_ci_u32_e64 v18, null, 0, v11, vcc_lo
	v_cmp_eq_u32_e32 vcc_lo, s45, v7
	s_wait_alu 0xfffd
	v_cndmask_b32_e32 v5, v19, v5, vcc_lo
	v_cmp_ne_u32_e32 vcc_lo, 0, v13
	s_delay_alu instid0(VALU_DEP_2) | instskip(SKIP_4) | instid1(VALU_DEP_2)
	v_cmp_ne_u32_e64 s2, 0, v5
	s_wait_alu 0xfffd
	v_cndmask_b32_e32 v5, v15, v16, vcc_lo
	v_cndmask_b32_e32 v7, v18, v17, vcc_lo
	s_wait_alu 0xf1ff
	v_cndmask_b32_e64 v5, v9, v5, s2
	s_delay_alu instid0(VALU_DEP_2) | instskip(NEXT) | instid1(VALU_DEP_2)
	v_cndmask_b32_e64 v7, v11, v7, s2
	v_xor_b32_e32 v5, v5, v3
	s_delay_alu instid0(VALU_DEP_2) | instskip(NEXT) | instid1(VALU_DEP_2)
	v_xor_b32_e32 v7, v7, v3
	v_sub_co_u32 v16, vcc_lo, v5, v3
	s_wait_alu 0xfffd
	s_delay_alu instid0(VALU_DEP_2)
	v_sub_co_ci_u32_e64 v17, null, v7, v3, vcc_lo
.LBB96_40:                              ;   in Loop: Header=BB96_22 Depth=2
	s_wait_alu 0xfffe
	s_and_not1_saveexec_b32 s2, s27
	s_cbranch_execz .LBB96_42
; %bb.41:                               ;   in Loop: Header=BB96_22 Depth=2
	v_cvt_f32_u32_e32 v3, s38
	s_sub_co_i32 s18, 0, s38
	v_mov_b32_e32 v17, v2
	s_delay_alu instid0(VALU_DEP_2) | instskip(NEXT) | instid1(TRANS32_DEP_1)
	v_rcp_iflag_f32_e32 v3, v3
	v_mul_f32_e32 v3, 0x4f7ffffe, v3
	s_delay_alu instid0(VALU_DEP_1) | instskip(SKIP_1) | instid1(VALU_DEP_1)
	v_cvt_u32_f32_e32 v3, v3
	s_wait_alu 0xfffe
	v_mul_lo_u32 v5, s18, v3
	s_delay_alu instid0(VALU_DEP_1) | instskip(NEXT) | instid1(VALU_DEP_1)
	v_mul_hi_u32 v5, v3, v5
	v_add_nc_u32_e32 v3, v3, v5
	s_delay_alu instid0(VALU_DEP_1) | instskip(NEXT) | instid1(VALU_DEP_1)
	v_mul_hi_u32 v3, v14, v3
	v_mul_lo_u32 v5, v3, s38
	v_add_nc_u32_e32 v7, 1, v3
	s_delay_alu instid0(VALU_DEP_2) | instskip(NEXT) | instid1(VALU_DEP_1)
	v_sub_nc_u32_e32 v5, v14, v5
	v_cmp_le_u32_e32 vcc_lo, s38, v5
	v_subrev_nc_u32_e32 v9, s38, v5
	s_wait_alu 0xfffd
	v_cndmask_b32_e32 v3, v3, v7, vcc_lo
	s_delay_alu instid0(VALU_DEP_1) | instskip(NEXT) | instid1(VALU_DEP_3)
	v_add_nc_u32_e32 v7, 1, v3
	v_cndmask_b32_e32 v5, v5, v9, vcc_lo
	s_delay_alu instid0(VALU_DEP_1) | instskip(SKIP_1) | instid1(VALU_DEP_3)
	v_cmp_le_u32_e32 vcc_lo, s38, v5
	s_wait_alu 0xfffd
	v_cndmask_b32_e32 v16, v3, v7, vcc_lo
.LBB96_42:                              ;   in Loop: Header=BB96_22 Depth=2
	s_wait_alu 0xfffe
	s_or_b32 exec_lo, exec_lo, s2
	s_add_co_i32 s18, s26, 2
	s_add_nc_u64 s[42:43], s[0:1], s[42:43]
	s_wait_alu 0xfffe
	s_lshl_b64 s[44:45], s[18:19], 2
                                        ; implicit-def: $vgpr18_vgpr19
	s_mov_b32 s2, exec_lo
	s_wait_alu 0xfffe
	s_add_nc_u64 s[40:41], s[10:11], s[44:45]
	s_clause 0x1
	s_load_b32 s37, s[42:43], 0x6c
	s_load_b32 s40, s[40:41], 0x8
	s_wait_kmcnt 0x0
	s_ashr_i32 s41, s40, 31
	s_wait_alu 0xfffe
	v_or_b32_e32 v3, s41, v17
	s_delay_alu instid0(VALU_DEP_1)
	v_cmpx_ne_u64_e32 0, v[2:3]
	s_xor_b32 s27, exec_lo, s2
	s_cbranch_execz .LBB96_44
; %bb.43:                               ;   in Loop: Header=BB96_22 Depth=2
	s_ashr_i32 s42, s41, 31
	v_ashrrev_i32_e32 v3, 31, v17
	s_wait_alu 0xfffe
	s_mov_b32 s43, s42
	s_wait_alu 0xfffe
	s_add_nc_u64 s[46:47], s[40:41], s[42:43]
	v_add_co_u32 v5, vcc_lo, v16, v3
	s_wait_alu 0xfffe
	s_xor_b64 s[46:47], s[46:47], s[42:43]
	s_wait_alu 0xfffd
	v_add_co_ci_u32_e64 v7, null, v17, v3, vcc_lo
	s_wait_alu 0xfffe
	s_cvt_f32_u32 s2, s46
	s_cvt_f32_u32 s18, s47
	s_sub_nc_u64 s[50:51], 0, s[46:47]
	v_xor_b32_e32 v5, v5, v3
	v_xor_b32_e32 v7, v7, v3
	s_wait_alu 0xfffe
	s_fmamk_f32 s2, s18, 0x4f800000, s2
	v_xor_b32_e32 v3, s42, v3
	s_wait_alu 0xfffe
	s_delay_alu instid0(SALU_CYCLE_1) | instskip(NEXT) | instid1(TRANS32_DEP_1)
	v_s_rcp_f32 s2, s2
	s_mul_f32 s2, s2, 0x5f7ffffc
	s_wait_alu 0xfffe
	s_delay_alu instid0(SALU_CYCLE_2) | instskip(SKIP_1) | instid1(SALU_CYCLE_2)
	s_mul_f32 s18, s2, 0x2f800000
	s_wait_alu 0xfffe
	s_trunc_f32 s18, s18
	s_wait_alu 0xfffe
	s_delay_alu instid0(SALU_CYCLE_2) | instskip(SKIP_2) | instid1(SALU_CYCLE_1)
	s_fmamk_f32 s2, s18, 0xcf800000, s2
	s_cvt_u32_f32 s49, s18
	s_wait_alu 0xfffe
	s_cvt_u32_f32 s48, s2
	s_wait_alu 0xfffe
	s_delay_alu instid0(SALU_CYCLE_2) | instskip(NEXT) | instid1(SALU_CYCLE_1)
	s_mul_u64 s[58:59], s[50:51], s[48:49]
	s_mul_hi_u32 s61, s48, s59
	s_mul_i32 s60, s48, s59
	s_mul_hi_u32 s18, s48, s58
	s_mul_i32 s39, s49, s58
	s_wait_alu 0xfffe
	s_add_nc_u64 s[60:61], s[18:19], s[60:61]
	s_mul_hi_u32 s2, s49, s58
	s_mul_hi_u32 s41, s49, s59
	s_add_co_u32 s18, s60, s39
	s_wait_alu 0xfffe
	s_add_co_ci_u32 s18, s61, s2
	s_mul_i32 s58, s49, s59
	s_add_co_ci_u32 s59, s41, 0
	s_wait_alu 0xfffe
	s_add_nc_u64 s[58:59], s[18:19], s[58:59]
	s_delay_alu instid0(SALU_CYCLE_1)
	s_add_co_u32 s48, s48, s58
	s_cselect_b32 s2, -1, 0
	s_wait_alu 0xfffe
	s_cmp_lg_u32 s2, 0
	s_add_co_ci_u32 s49, s49, s59
	s_wait_alu 0xfffe
	s_mul_u64 s[50:51], s[50:51], s[48:49]
	s_wait_alu 0xfffe
	s_mul_hi_u32 s59, s48, s51
	s_mul_i32 s58, s48, s51
	s_mul_hi_u32 s18, s48, s50
	s_mul_i32 s39, s49, s50
	s_wait_alu 0xfffe
	s_add_nc_u64 s[58:59], s[18:19], s[58:59]
	s_mul_hi_u32 s2, s49, s50
	s_mul_hi_u32 s41, s49, s51
	s_add_co_u32 s18, s58, s39
	s_wait_alu 0xfffe
	s_add_co_ci_u32 s18, s59, s2
	s_mul_i32 s50, s49, s51
	s_add_co_ci_u32 s51, s41, 0
	s_wait_alu 0xfffe
	s_add_nc_u64 s[50:51], s[18:19], s[50:51]
	s_wait_alu 0xfffe
	s_add_co_u32 s2, s48, s50
	s_cselect_b32 s18, -1, 0
	s_wait_alu 0xfffe
	v_mul_hi_u32 v9, v5, s2
	s_cmp_lg_u32 s18, 0
	v_mad_co_u64_u32 v[19:20], null, v7, s2, 0
	s_add_co_ci_u32 s18, s49, s51
	s_wait_alu 0xfffe
	v_mad_co_u64_u32 v[17:18], null, v5, s18, 0
	v_mad_co_u64_u32 v[21:22], null, v7, s18, 0
	s_delay_alu instid0(VALU_DEP_2) | instskip(SKIP_1) | instid1(VALU_DEP_3)
	v_add_co_u32 v9, vcc_lo, v9, v17
	s_wait_alu 0xfffd
	v_add_co_ci_u32_e64 v11, null, 0, v18, vcc_lo
	s_delay_alu instid0(VALU_DEP_2) | instskip(SKIP_1) | instid1(VALU_DEP_2)
	v_add_co_u32 v9, vcc_lo, v9, v19
	s_wait_alu 0xfffd
	v_add_co_ci_u32_e32 v9, vcc_lo, v11, v20, vcc_lo
	s_wait_alu 0xfffd
	v_add_co_ci_u32_e32 v11, vcc_lo, 0, v22, vcc_lo
	s_delay_alu instid0(VALU_DEP_2) | instskip(SKIP_1) | instid1(VALU_DEP_2)
	v_add_co_u32 v9, vcc_lo, v9, v21
	s_wait_alu 0xfffd
	v_add_co_ci_u32_e64 v11, null, 0, v11, vcc_lo
	s_delay_alu instid0(VALU_DEP_2) | instskip(SKIP_1) | instid1(VALU_DEP_3)
	v_mul_lo_u32 v13, s47, v9
	v_mad_co_u64_u32 v[17:18], null, s46, v9, 0
	v_mul_lo_u32 v15, s46, v11
	s_delay_alu instid0(VALU_DEP_2) | instskip(NEXT) | instid1(VALU_DEP_2)
	v_sub_co_u32 v5, vcc_lo, v5, v17
	v_add3_u32 v13, v18, v15, v13
	v_add_co_u32 v17, s2, v9, 2
	s_wait_alu 0xf1ff
	v_add_co_ci_u32_e64 v18, null, 0, v11, s2
	s_delay_alu instid0(VALU_DEP_3) | instskip(SKIP_3) | instid1(VALU_DEP_3)
	v_sub_nc_u32_e32 v15, v7, v13
	v_sub_co_u32 v19, s2, v5, s46
	s_wait_alu 0xfffd
	v_sub_co_ci_u32_e64 v7, null, v7, v13, vcc_lo
	v_subrev_co_ci_u32_e64 v15, null, s47, v15, vcc_lo
	s_delay_alu instid0(VALU_DEP_3) | instskip(SKIP_1) | instid1(VALU_DEP_2)
	v_cmp_le_u32_e32 vcc_lo, s46, v19
	s_wait_alu 0xf1ff
	v_subrev_co_ci_u32_e64 v15, null, 0, v15, s2
	s_wait_alu 0xfffd
	v_cndmask_b32_e64 v13, 0, -1, vcc_lo
	s_delay_alu instid0(VALU_DEP_2)
	v_cmp_le_u32_e32 vcc_lo, s47, v15
	s_wait_alu 0xfffd
	v_cndmask_b32_e64 v19, 0, -1, vcc_lo
	v_cmp_le_u32_e32 vcc_lo, s46, v5
	s_wait_alu 0xfffd
	v_cndmask_b32_e64 v5, 0, -1, vcc_lo
	;; [unrolled: 3-line block ×3, first 2 shown]
	v_cmp_eq_u32_e32 vcc_lo, s47, v15
	s_wait_alu 0xfffd
	v_cndmask_b32_e32 v13, v19, v13, vcc_lo
	v_add_co_u32 v15, vcc_lo, v9, 1
	s_wait_alu 0xfffd
	v_add_co_ci_u32_e64 v19, null, 0, v11, vcc_lo
	v_cmp_eq_u32_e32 vcc_lo, s47, v7
	s_wait_alu 0xfffd
	v_cndmask_b32_e32 v5, v20, v5, vcc_lo
	v_cmp_ne_u32_e32 vcc_lo, 0, v13
	s_delay_alu instid0(VALU_DEP_2) | instskip(SKIP_4) | instid1(VALU_DEP_2)
	v_cmp_ne_u32_e64 s2, 0, v5
	s_wait_alu 0xfffd
	v_cndmask_b32_e32 v5, v15, v17, vcc_lo
	v_cndmask_b32_e32 v7, v19, v18, vcc_lo
	s_wait_alu 0xf1ff
	v_cndmask_b32_e64 v5, v9, v5, s2
	s_delay_alu instid0(VALU_DEP_2) | instskip(NEXT) | instid1(VALU_DEP_2)
	v_cndmask_b32_e64 v7, v11, v7, s2
	v_xor_b32_e32 v5, v5, v3
	s_delay_alu instid0(VALU_DEP_2) | instskip(NEXT) | instid1(VALU_DEP_2)
	v_xor_b32_e32 v7, v7, v3
	v_sub_co_u32 v18, vcc_lo, v5, v3
	s_wait_alu 0xfffd
	s_delay_alu instid0(VALU_DEP_2)
	v_sub_co_ci_u32_e64 v19, null, v7, v3, vcc_lo
.LBB96_44:                              ;   in Loop: Header=BB96_22 Depth=2
	s_wait_alu 0xfffe
	s_and_not1_saveexec_b32 s2, s27
	s_cbranch_execz .LBB96_46
; %bb.45:                               ;   in Loop: Header=BB96_22 Depth=2
	v_cvt_f32_u32_e32 v3, s40
	s_sub_co_i32 s18, 0, s40
	v_mov_b32_e32 v19, v2
	s_delay_alu instid0(VALU_DEP_2) | instskip(NEXT) | instid1(TRANS32_DEP_1)
	v_rcp_iflag_f32_e32 v3, v3
	v_mul_f32_e32 v3, 0x4f7ffffe, v3
	s_delay_alu instid0(VALU_DEP_1) | instskip(SKIP_1) | instid1(VALU_DEP_1)
	v_cvt_u32_f32_e32 v3, v3
	s_wait_alu 0xfffe
	v_mul_lo_u32 v5, s18, v3
	s_delay_alu instid0(VALU_DEP_1) | instskip(NEXT) | instid1(VALU_DEP_1)
	v_mul_hi_u32 v5, v3, v5
	v_add_nc_u32_e32 v3, v3, v5
	s_delay_alu instid0(VALU_DEP_1) | instskip(NEXT) | instid1(VALU_DEP_1)
	v_mul_hi_u32 v3, v16, v3
	v_mul_lo_u32 v5, v3, s40
	v_add_nc_u32_e32 v7, 1, v3
	s_delay_alu instid0(VALU_DEP_2) | instskip(NEXT) | instid1(VALU_DEP_1)
	v_sub_nc_u32_e32 v5, v16, v5
	v_cmp_le_u32_e32 vcc_lo, s40, v5
	v_subrev_nc_u32_e32 v9, s40, v5
	s_wait_alu 0xfffd
	v_cndmask_b32_e32 v3, v3, v7, vcc_lo
	s_delay_alu instid0(VALU_DEP_1) | instskip(NEXT) | instid1(VALU_DEP_3)
	v_add_nc_u32_e32 v7, 1, v3
	v_cndmask_b32_e32 v5, v5, v9, vcc_lo
	s_delay_alu instid0(VALU_DEP_1) | instskip(SKIP_1) | instid1(VALU_DEP_3)
	v_cmp_le_u32_e32 vcc_lo, s40, v5
	s_wait_alu 0xfffd
	v_cndmask_b32_e32 v18, v3, v7, vcc_lo
.LBB96_46:                              ;   in Loop: Header=BB96_22 Depth=2
	s_wait_alu 0xfffe
	s_or_b32 exec_lo, exec_lo, s2
	s_add_co_i32 s18, s26, 1
	s_add_nc_u64 s[44:45], s[0:1], s[44:45]
	s_wait_alu 0xfffe
	s_lshl_b64 s[48:49], s[18:19], 2
                                        ; implicit-def: $vgpr20_vgpr21
	s_mov_b32 s2, exec_lo
	s_wait_alu 0xfffe
	s_add_nc_u64 s[42:43], s[10:11], s[48:49]
	s_clause 0x1
	s_load_b32 s39, s[44:45], 0x6c
	s_load_b32 s42, s[42:43], 0x8
	s_wait_kmcnt 0x0
	s_ashr_i32 s43, s42, 31
	s_wait_alu 0xfffe
	v_or_b32_e32 v3, s43, v19
	s_delay_alu instid0(VALU_DEP_1)
	v_cmpx_ne_u64_e32 0, v[2:3]
	s_xor_b32 s27, exec_lo, s2
	s_cbranch_execz .LBB96_48
; %bb.47:                               ;   in Loop: Header=BB96_22 Depth=2
	s_ashr_i32 s44, s43, 31
	v_ashrrev_i32_e32 v3, 31, v19
	s_wait_alu 0xfffe
	s_mov_b32 s45, s44
	s_wait_alu 0xfffe
	s_add_nc_u64 s[46:47], s[42:43], s[44:45]
	v_add_co_u32 v5, vcc_lo, v18, v3
	s_wait_alu 0xfffe
	s_xor_b64 s[46:47], s[46:47], s[44:45]
	s_wait_alu 0xfffd
	v_add_co_ci_u32_e64 v7, null, v19, v3, vcc_lo
	s_wait_alu 0xfffe
	s_cvt_f32_u32 s2, s46
	s_cvt_f32_u32 s18, s47
	s_sub_nc_u64 s[58:59], 0, s[46:47]
	v_xor_b32_e32 v5, v5, v3
	v_xor_b32_e32 v7, v7, v3
	s_wait_alu 0xfffe
	s_fmamk_f32 s2, s18, 0x4f800000, s2
	v_xor_b32_e32 v3, s44, v3
	s_wait_alu 0xfffe
	s_delay_alu instid0(SALU_CYCLE_1) | instskip(NEXT) | instid1(TRANS32_DEP_1)
	v_s_rcp_f32 s2, s2
	s_mul_f32 s2, s2, 0x5f7ffffc
	s_wait_alu 0xfffe
	s_delay_alu instid0(SALU_CYCLE_2) | instskip(SKIP_1) | instid1(SALU_CYCLE_2)
	s_mul_f32 s18, s2, 0x2f800000
	s_wait_alu 0xfffe
	s_trunc_f32 s18, s18
	s_wait_alu 0xfffe
	s_delay_alu instid0(SALU_CYCLE_2) | instskip(SKIP_2) | instid1(SALU_CYCLE_1)
	s_fmamk_f32 s2, s18, 0xcf800000, s2
	s_cvt_u32_f32 s51, s18
	s_wait_alu 0xfffe
	s_cvt_u32_f32 s50, s2
	s_wait_alu 0xfffe
	s_delay_alu instid0(SALU_CYCLE_2) | instskip(NEXT) | instid1(SALU_CYCLE_1)
	s_mul_u64 s[60:61], s[58:59], s[50:51]
	s_mul_hi_u32 s63, s50, s61
	s_mul_i32 s62, s50, s61
	s_mul_hi_u32 s18, s50, s60
	s_mul_i32 s41, s51, s60
	s_wait_alu 0xfffe
	s_add_nc_u64 s[62:63], s[18:19], s[62:63]
	s_mul_hi_u32 s2, s51, s60
	s_mul_hi_u32 s43, s51, s61
	s_add_co_u32 s18, s62, s41
	s_wait_alu 0xfffe
	s_add_co_ci_u32 s18, s63, s2
	s_mul_i32 s60, s51, s61
	s_add_co_ci_u32 s61, s43, 0
	s_wait_alu 0xfffe
	s_add_nc_u64 s[60:61], s[18:19], s[60:61]
	s_delay_alu instid0(SALU_CYCLE_1)
	s_add_co_u32 s50, s50, s60
	s_cselect_b32 s2, -1, 0
	s_wait_alu 0xfffe
	s_cmp_lg_u32 s2, 0
	s_add_co_ci_u32 s51, s51, s61
	s_wait_alu 0xfffe
	s_mul_u64 s[58:59], s[58:59], s[50:51]
	s_delay_alu instid0(SALU_CYCLE_1)
	s_mul_hi_u32 s61, s50, s59
	s_mul_i32 s60, s50, s59
	s_mul_hi_u32 s18, s50, s58
	s_mul_i32 s41, s51, s58
	s_wait_alu 0xfffe
	s_add_nc_u64 s[60:61], s[18:19], s[60:61]
	s_mul_hi_u32 s2, s51, s58
	s_mul_hi_u32 s43, s51, s59
	s_add_co_u32 s18, s60, s41
	s_wait_alu 0xfffe
	s_add_co_ci_u32 s18, s61, s2
	s_mul_i32 s58, s51, s59
	s_add_co_ci_u32 s59, s43, 0
	s_wait_alu 0xfffe
	s_add_nc_u64 s[58:59], s[18:19], s[58:59]
	s_delay_alu instid0(SALU_CYCLE_1)
	s_add_co_u32 s2, s50, s58
	s_cselect_b32 s18, -1, 0
	s_wait_alu 0xfffe
	v_mul_hi_u32 v9, v5, s2
	s_cmp_lg_u32 s18, 0
	v_mad_co_u64_u32 v[21:22], null, v7, s2, 0
	s_add_co_ci_u32 s18, s51, s59
	s_wait_alu 0xfffe
	v_mad_co_u64_u32 v[19:20], null, v5, s18, 0
	v_mad_co_u64_u32 v[28:29], null, v7, s18, 0
	s_delay_alu instid0(VALU_DEP_2) | instskip(SKIP_1) | instid1(VALU_DEP_3)
	v_add_co_u32 v9, vcc_lo, v9, v19
	s_wait_alu 0xfffd
	v_add_co_ci_u32_e64 v11, null, 0, v20, vcc_lo
	s_delay_alu instid0(VALU_DEP_2) | instskip(SKIP_1) | instid1(VALU_DEP_2)
	v_add_co_u32 v9, vcc_lo, v9, v21
	s_wait_alu 0xfffd
	v_add_co_ci_u32_e32 v9, vcc_lo, v11, v22, vcc_lo
	s_wait_alu 0xfffd
	v_add_co_ci_u32_e32 v11, vcc_lo, 0, v29, vcc_lo
	s_delay_alu instid0(VALU_DEP_2) | instskip(SKIP_1) | instid1(VALU_DEP_2)
	v_add_co_u32 v9, vcc_lo, v9, v28
	s_wait_alu 0xfffd
	v_add_co_ci_u32_e64 v11, null, 0, v11, vcc_lo
	s_delay_alu instid0(VALU_DEP_2) | instskip(SKIP_1) | instid1(VALU_DEP_3)
	v_mul_lo_u32 v13, s47, v9
	v_mad_co_u64_u32 v[19:20], null, s46, v9, 0
	v_mul_lo_u32 v15, s46, v11
	v_add_co_u32 v17, s2, v9, 2
	s_delay_alu instid0(VALU_DEP_3) | instskip(NEXT) | instid1(VALU_DEP_3)
	v_sub_co_u32 v5, vcc_lo, v5, v19
	v_add3_u32 v13, v20, v15, v13
	s_wait_alu 0xf1ff
	v_add_co_ci_u32_e64 v19, null, 0, v11, s2
	s_delay_alu instid0(VALU_DEP_3) | instskip(NEXT) | instid1(VALU_DEP_3)
	v_sub_co_u32 v20, s2, v5, s46
	v_sub_nc_u32_e32 v15, v7, v13
	s_wait_alu 0xfffd
	v_sub_co_ci_u32_e64 v7, null, v7, v13, vcc_lo
	s_delay_alu instid0(VALU_DEP_2) | instskip(SKIP_2) | instid1(VALU_DEP_2)
	v_subrev_co_ci_u32_e64 v15, null, s47, v15, vcc_lo
	v_cmp_le_u32_e32 vcc_lo, s46, v20
	s_wait_alu 0xf1ff
	v_subrev_co_ci_u32_e64 v15, null, 0, v15, s2
	s_wait_alu 0xfffd
	v_cndmask_b32_e64 v13, 0, -1, vcc_lo
	s_delay_alu instid0(VALU_DEP_2)
	v_cmp_le_u32_e32 vcc_lo, s47, v15
	s_wait_alu 0xfffd
	v_cndmask_b32_e64 v20, 0, -1, vcc_lo
	v_cmp_le_u32_e32 vcc_lo, s46, v5
	s_wait_alu 0xfffd
	v_cndmask_b32_e64 v5, 0, -1, vcc_lo
	;; [unrolled: 3-line block ×3, first 2 shown]
	v_cmp_eq_u32_e32 vcc_lo, s47, v15
	s_wait_alu 0xfffd
	v_cndmask_b32_e32 v13, v20, v13, vcc_lo
	v_add_co_u32 v15, vcc_lo, v9, 1
	s_wait_alu 0xfffd
	v_add_co_ci_u32_e64 v20, null, 0, v11, vcc_lo
	v_cmp_eq_u32_e32 vcc_lo, s47, v7
	s_wait_alu 0xfffd
	v_cndmask_b32_e32 v5, v21, v5, vcc_lo
	v_cmp_ne_u32_e32 vcc_lo, 0, v13
	s_delay_alu instid0(VALU_DEP_2) | instskip(SKIP_4) | instid1(VALU_DEP_2)
	v_cmp_ne_u32_e64 s2, 0, v5
	s_wait_alu 0xfffd
	v_cndmask_b32_e32 v5, v15, v17, vcc_lo
	v_cndmask_b32_e32 v7, v20, v19, vcc_lo
	s_wait_alu 0xf1ff
	v_cndmask_b32_e64 v5, v9, v5, s2
	s_delay_alu instid0(VALU_DEP_2) | instskip(NEXT) | instid1(VALU_DEP_2)
	v_cndmask_b32_e64 v7, v11, v7, s2
	v_xor_b32_e32 v5, v5, v3
	s_delay_alu instid0(VALU_DEP_2) | instskip(NEXT) | instid1(VALU_DEP_2)
	v_xor_b32_e32 v7, v7, v3
	v_sub_co_u32 v20, vcc_lo, v5, v3
	s_wait_alu 0xfffd
	s_delay_alu instid0(VALU_DEP_2)
	v_sub_co_ci_u32_e64 v21, null, v7, v3, vcc_lo
.LBB96_48:                              ;   in Loop: Header=BB96_22 Depth=2
	s_wait_alu 0xfffe
	s_and_not1_saveexec_b32 s2, s27
	s_cbranch_execz .LBB96_50
; %bb.49:                               ;   in Loop: Header=BB96_22 Depth=2
	v_cvt_f32_u32_e32 v3, s42
	s_sub_co_i32 s18, 0, s42
	v_mov_b32_e32 v21, v2
	s_delay_alu instid0(VALU_DEP_2) | instskip(NEXT) | instid1(TRANS32_DEP_1)
	v_rcp_iflag_f32_e32 v3, v3
	v_mul_f32_e32 v3, 0x4f7ffffe, v3
	s_delay_alu instid0(VALU_DEP_1) | instskip(SKIP_1) | instid1(VALU_DEP_1)
	v_cvt_u32_f32_e32 v3, v3
	s_wait_alu 0xfffe
	v_mul_lo_u32 v5, s18, v3
	s_delay_alu instid0(VALU_DEP_1) | instskip(NEXT) | instid1(VALU_DEP_1)
	v_mul_hi_u32 v5, v3, v5
	v_add_nc_u32_e32 v3, v3, v5
	s_delay_alu instid0(VALU_DEP_1) | instskip(NEXT) | instid1(VALU_DEP_1)
	v_mul_hi_u32 v3, v18, v3
	v_mul_lo_u32 v5, v3, s42
	v_add_nc_u32_e32 v7, 1, v3
	s_delay_alu instid0(VALU_DEP_2) | instskip(NEXT) | instid1(VALU_DEP_1)
	v_sub_nc_u32_e32 v5, v18, v5
	v_cmp_le_u32_e32 vcc_lo, s42, v5
	v_subrev_nc_u32_e32 v9, s42, v5
	s_wait_alu 0xfffd
	v_cndmask_b32_e32 v3, v3, v7, vcc_lo
	s_delay_alu instid0(VALU_DEP_1) | instskip(NEXT) | instid1(VALU_DEP_3)
	v_add_nc_u32_e32 v7, 1, v3
	v_cndmask_b32_e32 v5, v5, v9, vcc_lo
	s_delay_alu instid0(VALU_DEP_1) | instskip(SKIP_1) | instid1(VALU_DEP_3)
	v_cmp_le_u32_e32 vcc_lo, s42, v5
	s_wait_alu 0xfffd
	v_cndmask_b32_e32 v20, v3, v7, vcc_lo
.LBB96_50:                              ;   in Loop: Header=BB96_22 Depth=2
	s_wait_alu 0xfffe
	s_or_b32 exec_lo, exec_lo, s2
	s_mov_b32 s27, s19
	s_add_nc_u64 s[48:49], s[0:1], s[48:49]
	s_wait_alu 0xfffe
	s_lshl_b64 s[46:47], s[26:27], 2
                                        ; implicit-def: $vgpr22_vgpr23
	s_mov_b32 s2, exec_lo
	s_wait_alu 0xfffe
	s_add_nc_u64 s[44:45], s[10:11], s[46:47]
	s_clause 0x1
	s_load_b32 s27, s[48:49], 0x6c
	s_load_b32 s44, s[44:45], 0x8
	s_wait_kmcnt 0x0
	s_ashr_i32 s45, s44, 31
	s_wait_alu 0xfffe
	v_or_b32_e32 v3, s45, v21
	s_delay_alu instid0(VALU_DEP_1)
	v_cmpx_ne_u64_e32 0, v[2:3]
	s_xor_b32 s41, exec_lo, s2
	s_cbranch_execz .LBB96_52
; %bb.51:                               ;   in Loop: Header=BB96_22 Depth=2
	s_ashr_i32 s48, s45, 31
	v_ashrrev_i32_e32 v3, 31, v21
	s_wait_alu 0xfffe
	s_mov_b32 s49, s48
	s_wait_alu 0xfffe
	s_add_nc_u64 s[50:51], s[44:45], s[48:49]
	v_add_co_u32 v5, vcc_lo, v20, v3
	s_wait_alu 0xfffe
	s_xor_b64 s[50:51], s[50:51], s[48:49]
	s_wait_alu 0xfffd
	v_add_co_ci_u32_e64 v7, null, v21, v3, vcc_lo
	s_wait_alu 0xfffe
	s_cvt_f32_u32 s2, s50
	s_cvt_f32_u32 s18, s51
	s_sub_nc_u64 s[60:61], 0, s[50:51]
	v_xor_b32_e32 v5, v5, v3
	v_xor_b32_e32 v7, v7, v3
	s_wait_alu 0xfffe
	s_fmamk_f32 s2, s18, 0x4f800000, s2
	v_xor_b32_e32 v3, s48, v3
	s_wait_alu 0xfffe
	s_delay_alu instid0(SALU_CYCLE_1) | instskip(NEXT) | instid1(TRANS32_DEP_1)
	v_s_rcp_f32 s2, s2
	s_mul_f32 s2, s2, 0x5f7ffffc
	s_wait_alu 0xfffe
	s_delay_alu instid0(SALU_CYCLE_2) | instskip(SKIP_1) | instid1(SALU_CYCLE_2)
	s_mul_f32 s18, s2, 0x2f800000
	s_wait_alu 0xfffe
	s_trunc_f32 s18, s18
	s_wait_alu 0xfffe
	s_delay_alu instid0(SALU_CYCLE_2) | instskip(SKIP_2) | instid1(SALU_CYCLE_1)
	s_fmamk_f32 s2, s18, 0xcf800000, s2
	s_cvt_u32_f32 s59, s18
	s_wait_alu 0xfffe
	s_cvt_u32_f32 s58, s2
	s_delay_alu instid0(SALU_CYCLE_3) | instskip(NEXT) | instid1(SALU_CYCLE_1)
	s_mul_u64 s[62:63], s[60:61], s[58:59]
	s_mul_hi_u32 s65, s58, s63
	s_mul_i32 s64, s58, s63
	s_mul_hi_u32 s18, s58, s62
	s_mul_i32 s43, s59, s62
	s_wait_alu 0xfffe
	s_add_nc_u64 s[64:65], s[18:19], s[64:65]
	s_mul_hi_u32 s2, s59, s62
	s_mul_hi_u32 s45, s59, s63
	s_add_co_u32 s18, s64, s43
	s_wait_alu 0xfffe
	s_add_co_ci_u32 s18, s65, s2
	s_mul_i32 s62, s59, s63
	s_add_co_ci_u32 s63, s45, 0
	s_wait_alu 0xfffe
	s_add_nc_u64 s[62:63], s[18:19], s[62:63]
	s_delay_alu instid0(SALU_CYCLE_1) | instskip(SKIP_4) | instid1(SALU_CYCLE_1)
	s_add_co_u32 s58, s58, s62
	s_cselect_b32 s2, -1, 0
	s_wait_alu 0xfffe
	s_cmp_lg_u32 s2, 0
	s_add_co_ci_u32 s59, s59, s63
	s_mul_u64 s[60:61], s[60:61], s[58:59]
	s_delay_alu instid0(SALU_CYCLE_1)
	s_mul_hi_u32 s63, s58, s61
	s_mul_i32 s62, s58, s61
	s_mul_hi_u32 s18, s58, s60
	s_mul_i32 s43, s59, s60
	s_wait_alu 0xfffe
	s_add_nc_u64 s[62:63], s[18:19], s[62:63]
	s_mul_hi_u32 s2, s59, s60
	s_mul_hi_u32 s45, s59, s61
	s_add_co_u32 s18, s62, s43
	s_wait_alu 0xfffe
	s_add_co_ci_u32 s18, s63, s2
	s_mul_i32 s60, s59, s61
	s_add_co_ci_u32 s61, s45, 0
	s_wait_alu 0xfffe
	s_add_nc_u64 s[60:61], s[18:19], s[60:61]
	s_delay_alu instid0(SALU_CYCLE_1)
	s_add_co_u32 s2, s58, s60
	s_cselect_b32 s18, -1, 0
	s_wait_alu 0xfffe
	v_mul_hi_u32 v9, v5, s2
	s_cmp_lg_u32 s18, 0
	v_mad_co_u64_u32 v[28:29], null, v7, s2, 0
	s_add_co_ci_u32 s18, s59, s61
	s_wait_alu 0xfffe
	v_mad_co_u64_u32 v[21:22], null, v5, s18, 0
	v_mad_co_u64_u32 v[30:31], null, v7, s18, 0
	s_delay_alu instid0(VALU_DEP_2) | instskip(SKIP_1) | instid1(VALU_DEP_3)
	v_add_co_u32 v9, vcc_lo, v9, v21
	s_wait_alu 0xfffd
	v_add_co_ci_u32_e64 v11, null, 0, v22, vcc_lo
	s_delay_alu instid0(VALU_DEP_2) | instskip(SKIP_1) | instid1(VALU_DEP_2)
	v_add_co_u32 v9, vcc_lo, v9, v28
	s_wait_alu 0xfffd
	v_add_co_ci_u32_e32 v9, vcc_lo, v11, v29, vcc_lo
	s_wait_alu 0xfffd
	v_add_co_ci_u32_e32 v11, vcc_lo, 0, v31, vcc_lo
	s_delay_alu instid0(VALU_DEP_2) | instskip(SKIP_1) | instid1(VALU_DEP_2)
	v_add_co_u32 v9, vcc_lo, v9, v30
	s_wait_alu 0xfffd
	v_add_co_ci_u32_e64 v11, null, 0, v11, vcc_lo
	s_delay_alu instid0(VALU_DEP_2) | instskip(SKIP_1) | instid1(VALU_DEP_3)
	v_mul_lo_u32 v13, s51, v9
	v_mad_co_u64_u32 v[21:22], null, s50, v9, 0
	v_mul_lo_u32 v15, s50, v11
	v_add_co_u32 v17, s2, v9, 2
	s_wait_alu 0xf1ff
	v_add_co_ci_u32_e64 v19, null, 0, v11, s2
	s_delay_alu instid0(VALU_DEP_4) | instskip(NEXT) | instid1(VALU_DEP_4)
	v_sub_co_u32 v5, vcc_lo, v5, v21
	v_add3_u32 v13, v22, v15, v13
	s_delay_alu instid0(VALU_DEP_2) | instskip(NEXT) | instid1(VALU_DEP_2)
	v_sub_co_u32 v21, s2, v5, s50
	v_sub_nc_u32_e32 v15, v7, v13
	s_wait_alu 0xfffd
	v_sub_co_ci_u32_e64 v7, null, v7, v13, vcc_lo
	s_delay_alu instid0(VALU_DEP_2) | instskip(SKIP_2) | instid1(VALU_DEP_2)
	v_subrev_co_ci_u32_e64 v15, null, s51, v15, vcc_lo
	v_cmp_le_u32_e32 vcc_lo, s50, v21
	s_wait_alu 0xf1ff
	v_subrev_co_ci_u32_e64 v15, null, 0, v15, s2
	s_wait_alu 0xfffd
	v_cndmask_b32_e64 v13, 0, -1, vcc_lo
	s_delay_alu instid0(VALU_DEP_2)
	v_cmp_le_u32_e32 vcc_lo, s51, v15
	s_wait_alu 0xfffd
	v_cndmask_b32_e64 v21, 0, -1, vcc_lo
	v_cmp_le_u32_e32 vcc_lo, s50, v5
	s_wait_alu 0xfffd
	v_cndmask_b32_e64 v5, 0, -1, vcc_lo
	;; [unrolled: 3-line block ×3, first 2 shown]
	v_cmp_eq_u32_e32 vcc_lo, s51, v15
	s_wait_alu 0xfffd
	v_cndmask_b32_e32 v13, v21, v13, vcc_lo
	v_add_co_u32 v15, vcc_lo, v9, 1
	s_wait_alu 0xfffd
	v_add_co_ci_u32_e64 v21, null, 0, v11, vcc_lo
	v_cmp_eq_u32_e32 vcc_lo, s51, v7
	s_wait_alu 0xfffd
	v_cndmask_b32_e32 v5, v22, v5, vcc_lo
	v_cmp_ne_u32_e32 vcc_lo, 0, v13
	s_delay_alu instid0(VALU_DEP_2) | instskip(SKIP_4) | instid1(VALU_DEP_2)
	v_cmp_ne_u32_e64 s2, 0, v5
	s_wait_alu 0xfffd
	v_cndmask_b32_e32 v5, v15, v17, vcc_lo
	v_cndmask_b32_e32 v7, v21, v19, vcc_lo
	s_wait_alu 0xf1ff
	v_cndmask_b32_e64 v5, v9, v5, s2
	s_delay_alu instid0(VALU_DEP_2) | instskip(NEXT) | instid1(VALU_DEP_2)
	v_cndmask_b32_e64 v7, v11, v7, s2
	v_xor_b32_e32 v5, v5, v3
	s_delay_alu instid0(VALU_DEP_2) | instskip(NEXT) | instid1(VALU_DEP_2)
	v_xor_b32_e32 v7, v7, v3
	v_sub_co_u32 v22, vcc_lo, v5, v3
	s_wait_alu 0xfffd
	s_delay_alu instid0(VALU_DEP_2)
	v_sub_co_ci_u32_e64 v23, null, v7, v3, vcc_lo
.LBB96_52:                              ;   in Loop: Header=BB96_22 Depth=2
	s_wait_alu 0xfffe
	s_and_not1_saveexec_b32 s2, s41
	s_cbranch_execz .LBB96_54
; %bb.53:                               ;   in Loop: Header=BB96_22 Depth=2
	v_cvt_f32_u32_e32 v3, s44
	s_sub_co_i32 s18, 0, s44
	v_mov_b32_e32 v23, v2
	s_delay_alu instid0(VALU_DEP_2) | instskip(NEXT) | instid1(TRANS32_DEP_1)
	v_rcp_iflag_f32_e32 v3, v3
	v_mul_f32_e32 v3, 0x4f7ffffe, v3
	s_delay_alu instid0(VALU_DEP_1) | instskip(SKIP_1) | instid1(VALU_DEP_1)
	v_cvt_u32_f32_e32 v3, v3
	s_wait_alu 0xfffe
	v_mul_lo_u32 v5, s18, v3
	s_delay_alu instid0(VALU_DEP_1) | instskip(NEXT) | instid1(VALU_DEP_1)
	v_mul_hi_u32 v5, v3, v5
	v_add_nc_u32_e32 v3, v3, v5
	s_delay_alu instid0(VALU_DEP_1) | instskip(NEXT) | instid1(VALU_DEP_1)
	v_mul_hi_u32 v3, v20, v3
	v_mul_lo_u32 v5, v3, s44
	v_add_nc_u32_e32 v7, 1, v3
	s_delay_alu instid0(VALU_DEP_2) | instskip(NEXT) | instid1(VALU_DEP_1)
	v_sub_nc_u32_e32 v5, v20, v5
	v_cmp_le_u32_e32 vcc_lo, s44, v5
	v_subrev_nc_u32_e32 v9, s44, v5
	s_wait_alu 0xfffd
	v_cndmask_b32_e32 v3, v3, v7, vcc_lo
	s_delay_alu instid0(VALU_DEP_1) | instskip(NEXT) | instid1(VALU_DEP_3)
	v_add_nc_u32_e32 v7, 1, v3
	v_cndmask_b32_e32 v5, v5, v9, vcc_lo
	s_delay_alu instid0(VALU_DEP_1) | instskip(SKIP_1) | instid1(VALU_DEP_3)
	v_cmp_le_u32_e32 vcc_lo, s44, v5
	s_wait_alu 0xfffd
	v_cndmask_b32_e32 v22, v3, v7, vcc_lo
.LBB96_54:                              ;   in Loop: Header=BB96_22 Depth=2
	s_wait_alu 0xfffe
	s_or_b32 exec_lo, exec_lo, s2
	v_mul_lo_u32 v3, v8, s28
	v_mul_lo_u32 v5, v10, s30
	v_mul_lo_u32 v7, v12, s34
	v_mul_lo_u32 v9, v14, s36
	v_mul_lo_u32 v13, v18, s40
	s_add_nc_u64 s[40:41], s[0:1], s[46:47]
	v_mul_lo_u32 v11, v16, s38
	s_load_b32 s2, s[40:41], 0x6c
	v_sub_nc_u32_e32 v3, v6, v3
	v_sub_nc_u32_e32 v5, v8, v5
	;; [unrolled: 1-line block ×4, first 2 shown]
	v_mul_lo_u32 v8, v20, s42
	v_mul_lo_u32 v3, s25, v3
	;; [unrolled: 1-line block ×4, first 2 shown]
	v_sub_nc_u32_e32 v10, v14, v11
	v_sub_nc_u32_e32 v11, v16, v13
	v_mul_lo_u32 v6, s31, v6
	v_mul_lo_u32 v7, s35, v7
	s_add_co_i32 s26, s26, -8
	v_mul_lo_u32 v10, s37, v10
	v_add3_u32 v3, v3, v4, v5
	v_sub_nc_u32_e32 v4, v18, v8
	v_sub_nc_u32_e32 v5, v20, v9
	v_mul_lo_u32 v8, s39, v11
	s_wait_alu 0xfffe
	s_cmp_eq_u32 s26, -8
	v_add3_u32 v3, v6, v3, v7
	v_mul_lo_u32 v4, s27, v4
	s_wait_kmcnt 0x0
	v_mul_lo_u32 v5, s2, v5
	s_delay_alu instid0(VALU_DEP_3) | instskip(NEXT) | instid1(VALU_DEP_1)
	v_add3_u32 v3, v10, v3, v8
	v_add3_u32 v4, v4, v3, v5
	s_cbranch_scc1 .LBB96_56
; %bb.55:                               ;   in Loop: Header=BB96_22 Depth=2
	v_dual_mov_b32 v6, v22 :: v_dual_mov_b32 v7, v23
	s_branch .LBB96_22
.LBB96_56:                              ;   in Loop: Header=BB96_3 Depth=1
	s_load_b32 s2, s[12:13], 0x4
	s_wait_kmcnt 0x0
	v_cmp_gt_i32_e32 vcc_lo, s2, v27
	s_and_b32 exec_lo, exec_lo, vcc_lo
	s_cbranch_execz .LBB96_2
; %bb.57:                               ;   in Loop: Header=BB96_3 Depth=1
	v_ashrrev_i32_e32 v5, 31, v4
	v_add_nc_u32_e32 v3, 1, v27
	s_delay_alu instid0(VALU_DEP_2) | instskip(NEXT) | instid1(VALU_DEP_1)
	v_lshlrev_b64_e32 v[5:6], 1, v[4:5]
	v_add_co_u32 v5, vcc_lo, s16, v5
	s_wait_alu 0xfffd
	s_delay_alu instid0(VALU_DEP_2)
	v_add_co_ci_u32_e64 v6, null, s17, v6, vcc_lo
	v_cmp_gt_i32_e32 vcc_lo, s2, v3
	global_store_b16 v[5:6], v2, off
	s_and_b32 exec_lo, exec_lo, vcc_lo
	s_cbranch_execz .LBB96_2
; %bb.58:                               ;   in Loop: Header=BB96_3 Depth=1
	v_sub_nc_u32_e32 v5, v3, v26
	s_mov_b32 s18, exec_lo
	s_delay_alu instid0(VALU_DEP_1) | instskip(NEXT) | instid1(VALU_DEP_1)
	v_ashrrev_i32_e32 v6, 31, v5
	v_cmpx_gt_i64_e64 s[4:5], v[5:6]
	s_cbranch_execz .LBB96_60
; %bb.59:                               ;   in Loop: Header=BB96_3 Depth=1
	v_add_nc_u32_e32 v5, s3, v4
	s_delay_alu instid0(VALU_DEP_1) | instskip(NEXT) | instid1(VALU_DEP_1)
	v_ashrrev_i32_e32 v6, 31, v5
	v_lshlrev_b64_e32 v[5:6], 1, v[5:6]
	s_delay_alu instid0(VALU_DEP_1) | instskip(SKIP_1) | instid1(VALU_DEP_2)
	v_add_co_u32 v5, vcc_lo, s16, v5
	s_wait_alu 0xfffd
	v_add_co_ci_u32_e64 v6, null, s17, v6, vcc_lo
	global_store_b16 v[5:6], v2, off
.LBB96_60:                              ;   in Loop: Header=BB96_3 Depth=1
	s_wait_alu 0xfffe
	s_or_b32 exec_lo, exec_lo, s18
	v_add_nc_u32_e32 v3, 2, v27
	s_delay_alu instid0(VALU_DEP_1)
	v_cmp_gt_i32_e32 vcc_lo, s2, v3
	s_and_b32 exec_lo, exec_lo, vcc_lo
	s_cbranch_execz .LBB96_2
; %bb.61:                               ;   in Loop: Header=BB96_3 Depth=1
	v_sub_nc_u32_e32 v5, v3, v26
	s_mov_b32 s18, exec_lo
	s_delay_alu instid0(VALU_DEP_1) | instskip(NEXT) | instid1(VALU_DEP_1)
	v_ashrrev_i32_e32 v6, 31, v5
	v_cmpx_gt_i64_e64 s[4:5], v[5:6]
	s_cbranch_execz .LBB96_63
; %bb.62:                               ;   in Loop: Header=BB96_3 Depth=1
	v_lshl_add_u32 v5, s3, 1, v4
	s_delay_alu instid0(VALU_DEP_1) | instskip(NEXT) | instid1(VALU_DEP_1)
	v_ashrrev_i32_e32 v6, 31, v5
	v_lshlrev_b64_e32 v[5:6], 1, v[5:6]
	s_delay_alu instid0(VALU_DEP_1) | instskip(SKIP_1) | instid1(VALU_DEP_2)
	v_add_co_u32 v5, vcc_lo, s16, v5
	s_wait_alu 0xfffd
	v_add_co_ci_u32_e64 v6, null, s17, v6, vcc_lo
	global_store_b16 v[5:6], v2, off
.LBB96_63:                              ;   in Loop: Header=BB96_3 Depth=1
	s_wait_alu 0xfffe
	s_or_b32 exec_lo, exec_lo, s18
	v_add_nc_u32_e32 v3, 3, v27
	s_delay_alu instid0(VALU_DEP_1)
	v_cmp_gt_i32_e32 vcc_lo, s2, v3
	s_and_b32 exec_lo, exec_lo, vcc_lo
	s_cbranch_execz .LBB96_2
; %bb.64:                               ;   in Loop: Header=BB96_3 Depth=1
	v_sub_nc_u32_e32 v5, v3, v26
	s_delay_alu instid0(VALU_DEP_1) | instskip(NEXT) | instid1(VALU_DEP_1)
	v_ashrrev_i32_e32 v6, 31, v5
	v_cmp_gt_i64_e32 vcc_lo, s[4:5], v[5:6]
	s_and_b32 exec_lo, exec_lo, vcc_lo
	s_cbranch_execz .LBB96_2
; %bb.65:                               ;   in Loop: Header=BB96_3 Depth=1
	v_mad_co_u64_u32 v[3:4], null, s3, 3, v[4:5]
	s_delay_alu instid0(VALU_DEP_1) | instskip(NEXT) | instid1(VALU_DEP_1)
	v_ashrrev_i32_e32 v4, 31, v3
	v_lshlrev_b64_e32 v[3:4], 1, v[3:4]
	s_delay_alu instid0(VALU_DEP_1) | instskip(SKIP_1) | instid1(VALU_DEP_2)
	v_add_co_u32 v3, vcc_lo, s16, v3
	s_wait_alu 0xfffd
	v_add_co_ci_u32_e64 v4, null, s17, v4, vcc_lo
	global_store_b16 v[3:4], v2, off
	s_branch .LBB96_2
.LBB96_66:
	s_endpgm
	.section	.rodata,"a",@progbits
	.p2align	6, 0x0
	.amdhsa_kernel _ZN2at6native16triu_tril_kernelIN3c108BFloat16EiLb1ELi4ELb1EEEvNS_4cuda6detail10TensorInfoIT_T0_EENS6_IKS7_S8_EEllS8_
		.amdhsa_group_segment_fixed_size 0
		.amdhsa_private_segment_fixed_size 0
		.amdhsa_kernarg_size 712
		.amdhsa_user_sgpr_count 2
		.amdhsa_user_sgpr_dispatch_ptr 0
		.amdhsa_user_sgpr_queue_ptr 0
		.amdhsa_user_sgpr_kernarg_segment_ptr 1
		.amdhsa_user_sgpr_dispatch_id 0
		.amdhsa_user_sgpr_private_segment_size 0
		.amdhsa_wavefront_size32 1
		.amdhsa_uses_dynamic_stack 0
		.amdhsa_enable_private_segment 0
		.amdhsa_system_sgpr_workgroup_id_x 1
		.amdhsa_system_sgpr_workgroup_id_y 0
		.amdhsa_system_sgpr_workgroup_id_z 0
		.amdhsa_system_sgpr_workgroup_info 0
		.amdhsa_system_vgpr_workitem_id 0
		.amdhsa_next_free_vgpr 32
		.amdhsa_next_free_sgpr 66
		.amdhsa_reserve_vcc 1
		.amdhsa_float_round_mode_32 0
		.amdhsa_float_round_mode_16_64 0
		.amdhsa_float_denorm_mode_32 3
		.amdhsa_float_denorm_mode_16_64 3
		.amdhsa_fp16_overflow 0
		.amdhsa_workgroup_processor_mode 1
		.amdhsa_memory_ordered 1
		.amdhsa_forward_progress 1
		.amdhsa_inst_pref_size 97
		.amdhsa_round_robin_scheduling 0
		.amdhsa_exception_fp_ieee_invalid_op 0
		.amdhsa_exception_fp_denorm_src 0
		.amdhsa_exception_fp_ieee_div_zero 0
		.amdhsa_exception_fp_ieee_overflow 0
		.amdhsa_exception_fp_ieee_underflow 0
		.amdhsa_exception_fp_ieee_inexact 0
		.amdhsa_exception_int_div_zero 0
	.end_amdhsa_kernel
	.section	.text._ZN2at6native16triu_tril_kernelIN3c108BFloat16EiLb1ELi4ELb1EEEvNS_4cuda6detail10TensorInfoIT_T0_EENS6_IKS7_S8_EEllS8_,"axG",@progbits,_ZN2at6native16triu_tril_kernelIN3c108BFloat16EiLb1ELi4ELb1EEEvNS_4cuda6detail10TensorInfoIT_T0_EENS6_IKS7_S8_EEllS8_,comdat
.Lfunc_end96:
	.size	_ZN2at6native16triu_tril_kernelIN3c108BFloat16EiLb1ELi4ELb1EEEvNS_4cuda6detail10TensorInfoIT_T0_EENS6_IKS7_S8_EEllS8_, .Lfunc_end96-_ZN2at6native16triu_tril_kernelIN3c108BFloat16EiLb1ELi4ELb1EEEvNS_4cuda6detail10TensorInfoIT_T0_EENS6_IKS7_S8_EEllS8_
                                        ; -- End function
	.set _ZN2at6native16triu_tril_kernelIN3c108BFloat16EiLb1ELi4ELb1EEEvNS_4cuda6detail10TensorInfoIT_T0_EENS6_IKS7_S8_EEllS8_.num_vgpr, 32
	.set _ZN2at6native16triu_tril_kernelIN3c108BFloat16EiLb1ELi4ELb1EEEvNS_4cuda6detail10TensorInfoIT_T0_EENS6_IKS7_S8_EEllS8_.num_agpr, 0
	.set _ZN2at6native16triu_tril_kernelIN3c108BFloat16EiLb1ELi4ELb1EEEvNS_4cuda6detail10TensorInfoIT_T0_EENS6_IKS7_S8_EEllS8_.numbered_sgpr, 66
	.set _ZN2at6native16triu_tril_kernelIN3c108BFloat16EiLb1ELi4ELb1EEEvNS_4cuda6detail10TensorInfoIT_T0_EENS6_IKS7_S8_EEllS8_.num_named_barrier, 0
	.set _ZN2at6native16triu_tril_kernelIN3c108BFloat16EiLb1ELi4ELb1EEEvNS_4cuda6detail10TensorInfoIT_T0_EENS6_IKS7_S8_EEllS8_.private_seg_size, 0
	.set _ZN2at6native16triu_tril_kernelIN3c108BFloat16EiLb1ELi4ELb1EEEvNS_4cuda6detail10TensorInfoIT_T0_EENS6_IKS7_S8_EEllS8_.uses_vcc, 1
	.set _ZN2at6native16triu_tril_kernelIN3c108BFloat16EiLb1ELi4ELb1EEEvNS_4cuda6detail10TensorInfoIT_T0_EENS6_IKS7_S8_EEllS8_.uses_flat_scratch, 0
	.set _ZN2at6native16triu_tril_kernelIN3c108BFloat16EiLb1ELi4ELb1EEEvNS_4cuda6detail10TensorInfoIT_T0_EENS6_IKS7_S8_EEllS8_.has_dyn_sized_stack, 0
	.set _ZN2at6native16triu_tril_kernelIN3c108BFloat16EiLb1ELi4ELb1EEEvNS_4cuda6detail10TensorInfoIT_T0_EENS6_IKS7_S8_EEllS8_.has_recursion, 0
	.set _ZN2at6native16triu_tril_kernelIN3c108BFloat16EiLb1ELi4ELb1EEEvNS_4cuda6detail10TensorInfoIT_T0_EENS6_IKS7_S8_EEllS8_.has_indirect_call, 0
	.section	.AMDGPU.csdata,"",@progbits
; Kernel info:
; codeLenInByte = 12372
; TotalNumSgprs: 68
; NumVgprs: 32
; ScratchSize: 0
; MemoryBound: 0
; FloatMode: 240
; IeeeMode: 1
; LDSByteSize: 0 bytes/workgroup (compile time only)
; SGPRBlocks: 0
; VGPRBlocks: 3
; NumSGPRsForWavesPerEU: 68
; NumVGPRsForWavesPerEU: 32
; Occupancy: 16
; WaveLimiterHint : 0
; COMPUTE_PGM_RSRC2:SCRATCH_EN: 0
; COMPUTE_PGM_RSRC2:USER_SGPR: 2
; COMPUTE_PGM_RSRC2:TRAP_HANDLER: 0
; COMPUTE_PGM_RSRC2:TGID_X_EN: 1
; COMPUTE_PGM_RSRC2:TGID_Y_EN: 0
; COMPUTE_PGM_RSRC2:TGID_Z_EN: 0
; COMPUTE_PGM_RSRC2:TIDIG_COMP_CNT: 0
	.section	.text._ZN2at6native16triu_tril_kernelIN3c108BFloat16EiLb1ELi4ELb0EEEvNS_4cuda6detail10TensorInfoIT_T0_EENS6_IKS7_S8_EEllS8_,"axG",@progbits,_ZN2at6native16triu_tril_kernelIN3c108BFloat16EiLb1ELi4ELb0EEEvNS_4cuda6detail10TensorInfoIT_T0_EENS6_IKS7_S8_EEllS8_,comdat
	.protected	_ZN2at6native16triu_tril_kernelIN3c108BFloat16EiLb1ELi4ELb0EEEvNS_4cuda6detail10TensorInfoIT_T0_EENS6_IKS7_S8_EEllS8_ ; -- Begin function _ZN2at6native16triu_tril_kernelIN3c108BFloat16EiLb1ELi4ELb0EEEvNS_4cuda6detail10TensorInfoIT_T0_EENS6_IKS7_S8_EEllS8_
	.globl	_ZN2at6native16triu_tril_kernelIN3c108BFloat16EiLb1ELi4ELb0EEEvNS_4cuda6detail10TensorInfoIT_T0_EENS6_IKS7_S8_EEllS8_
	.p2align	8
	.type	_ZN2at6native16triu_tril_kernelIN3c108BFloat16EiLb1ELi4ELb0EEEvNS_4cuda6detail10TensorInfoIT_T0_EENS6_IKS7_S8_EEllS8_,@function
_ZN2at6native16triu_tril_kernelIN3c108BFloat16EiLb1ELi4ELb0EEEvNS_4cuda6detail10TensorInfoIT_T0_EENS6_IKS7_S8_EEllS8_: ; @_ZN2at6native16triu_tril_kernelIN3c108BFloat16EiLb1ELi4ELb0EEEvNS_4cuda6detail10TensorInfoIT_T0_EENS6_IKS7_S8_EEllS8_
; %bb.0:
	s_clause 0x1
	s_load_b32 s2, s[0:1], 0x1d4
	s_load_b128 s[4:7], s[0:1], 0x1b0
	v_mov_b32_e32 v2, 0
	s_delay_alu instid0(VALU_DEP_1) | instskip(SKIP_3) | instid1(VALU_DEP_1)
	v_mov_b32_e32 v1, v2
	s_wait_kmcnt 0x0
	s_and_b32 s20, s2, 0xffff
	s_mov_b32 s2, exec_lo
	v_mad_co_u64_u32 v[0:1], null, s20, ttmp9, v[0:1]
	s_delay_alu instid0(VALU_DEP_1) | instskip(NEXT) | instid1(VALU_DEP_1)
	v_lshlrev_b64_e32 v[0:1], 2, v[0:1]
	v_cmpx_gt_i64_e64 s[6:7], v[0:1]
	s_cbranch_execz .LBB97_53
; %bb.1:
	s_clause 0x2
	s_load_b32 s24, s[0:1], 0x1a8
	s_load_b32 s8, s[0:1], 0x1c0
	s_load_b64 s[10:11], s[0:1], 0xd8
	s_add_nc_u64 s[12:13], s[0:1], 0xd8
	s_add_nc_u64 s[18:19], s[0:1], 0x1c8
	s_mov_b32 s21, 0
	s_load_b32 s23, s[18:19], 0x0
	s_mov_b32 s53, 0
	s_wait_kmcnt 0x0
	s_ashr_i32 s25, s24, 31
	v_cvt_f32_u32_e32 v3, s8
	s_lshl_b64 s[14:15], s[24:25], 2
	s_and_b32 s48, s24, 3
	s_add_nc_u64 s[16:17], s[12:13], s[14:15]
	s_add_nc_u64 s[18:19], s[0:1], s[14:15]
	s_load_b64 s[2:3], s[16:17], 0x0
	v_rcp_iflag_f32_e32 v3, v3
	s_clause 0x2
	s_load_b64 s[14:15], s[16:17], 0x64
	s_load_b64 s[16:17], s[18:19], 0x64
	s_load_b64 s[18:19], s[0:1], 0x0
	s_mul_i32 s23, s23, s20
	s_ashr_i32 s9, s8, 31
	s_add_co_i32 s33, s24, -3
	s_lshl_b32 s50, s23, 2
	v_cmp_gt_i64_e64 s49, s[24:25], 2
	v_mul_f32_e32 v3, 0x4f7ffffe, v3
	s_delay_alu instid0(VALU_DEP_1)
	v_cvt_u32_f32_e32 v18, v3
	s_wait_kmcnt 0x0
	s_mov_b32 s22, s2
	s_ashr_i32 s23, s2, 31
	v_cvt_f32_u32_e32 v4, s22
	s_cmp_lg_u32 s48, 2
	s_mov_b32 s24, s15
	s_cselect_b32 s51, -1, 0
	s_cmp_gt_u32 s33, 2
	v_rcp_iflag_f32_e32 v4, v4
	s_mov_b32 s26, s17
	s_cselect_b32 s52, -1, 0
	s_ashr_i32 s25, s15, 31
	s_add_co_i32 s15, s15, s15
	s_ashr_i32 s27, s17, 31
	s_add_co_i32 s17, s17, s17
	s_wait_alu 0xfffe
	s_ashr_i32 s28, s9, 31
	s_delay_alu instid0(TRANS32_DEP_1) | instskip(NEXT) | instid1(VALU_DEP_1)
	v_mul_f32_e32 v3, 0x4f7ffffe, v4
	v_cvt_u32_f32_e32 v19, v3
	s_branch .LBB97_3
.LBB97_2:                               ;   in Loop: Header=BB97_3 Depth=1
	s_wait_alu 0xfffe
	s_or_b32 exec_lo, exec_lo, s2
	v_add_co_u32 v0, vcc_lo, v0, s50
	s_wait_alu 0xfffd
	v_add_co_ci_u32_e64 v1, null, 0, v1, vcc_lo
	s_delay_alu instid0(VALU_DEP_1) | instskip(SKIP_1) | instid1(SALU_CYCLE_1)
	v_cmp_le_i64_e32 vcc_lo, s[6:7], v[0:1]
	s_or_b32 s53, vcc_lo, s53
	s_and_not1_b32 exec_lo, exec_lo, s53
	s_cbranch_execz .LBB97_53
.LBB97_3:                               ; =>This Loop Header: Depth=1
                                        ;     Child Loop BB97_15 Depth 2
                                        ;     Child Loop BB97_20 Depth 2
	v_or_b32_e32 v3, s9, v1
                                        ; implicit-def: $vgpr4_vgpr5
	s_mov_b32 s2, exec_lo
	s_delay_alu instid0(VALU_DEP_1)
	v_cmpx_ne_u64_e32 0, v[2:3]
	s_wait_alu 0xfffe
	s_xor_b32 s34, exec_lo, s2
	s_cbranch_execz .LBB97_5
; %bb.4:                                ;   in Loop: Header=BB97_3 Depth=1
	s_mov_b32 s29, s28
	v_ashrrev_i32_e32 v9, 31, v1
	s_wait_alu 0xfffe
	s_add_nc_u64 s[30:31], s[8:9], s[28:29]
	s_wait_alu 0xfffe
	s_xor_b64 s[30:31], s[30:31], s[28:29]
	v_add_co_u32 v3, vcc_lo, v0, v9
	s_wait_alu 0xfffe
	s_cvt_f32_u32 s2, s30
	s_cvt_f32_u32 s20, s31
	s_sub_nc_u64 s[38:39], 0, s[30:31]
	s_wait_alu 0xfffd
	v_add_co_ci_u32_e64 v4, null, v1, v9, vcc_lo
	s_wait_alu 0xfffe
	s_fmamk_f32 s2, s20, 0x4f800000, s2
	v_xor_b32_e32 v10, v3, v9
	s_delay_alu instid0(VALU_DEP_2) | instskip(SKIP_2) | instid1(TRANS32_DEP_1)
	v_xor_b32_e32 v11, v4, v9
	s_wait_alu 0xfffe
	v_s_rcp_f32 s2, s2
	s_mul_f32 s2, s2, 0x5f7ffffc
	s_wait_alu 0xfffe
	s_delay_alu instid0(SALU_CYCLE_2) | instskip(SKIP_1) | instid1(SALU_CYCLE_2)
	s_mul_f32 s20, s2, 0x2f800000
	s_wait_alu 0xfffe
	s_trunc_f32 s20, s20
	s_wait_alu 0xfffe
	s_delay_alu instid0(SALU_CYCLE_2) | instskip(SKIP_2) | instid1(SALU_CYCLE_1)
	s_fmamk_f32 s2, s20, 0xcf800000, s2
	s_cvt_u32_f32 s37, s20
	s_wait_alu 0xfffe
	s_cvt_u32_f32 s36, s2
	s_wait_alu 0xfffe
	s_delay_alu instid0(SALU_CYCLE_2)
	s_mul_u64 s[40:41], s[38:39], s[36:37]
	s_wait_alu 0xfffe
	s_mul_hi_u32 s43, s36, s41
	s_mul_i32 s42, s36, s41
	s_mul_hi_u32 s20, s36, s40
	s_mul_i32 s29, s37, s40
	s_wait_alu 0xfffe
	s_add_nc_u64 s[42:43], s[20:21], s[42:43]
	s_mul_hi_u32 s2, s37, s40
	s_mul_hi_u32 s35, s37, s41
	s_wait_alu 0xfffe
	s_add_co_u32 s20, s42, s29
	s_add_co_ci_u32 s20, s43, s2
	s_mul_i32 s40, s37, s41
	s_add_co_ci_u32 s41, s35, 0
	s_wait_alu 0xfffe
	s_add_nc_u64 s[40:41], s[20:21], s[40:41]
	s_wait_alu 0xfffe
	s_add_co_u32 s36, s36, s40
	s_cselect_b32 s2, -1, 0
	s_wait_alu 0xfffe
	s_cmp_lg_u32 s2, 0
	s_add_co_ci_u32 s37, s37, s41
	s_wait_alu 0xfffe
	s_mul_u64 s[38:39], s[38:39], s[36:37]
	s_wait_alu 0xfffe
	s_mul_hi_u32 s41, s36, s39
	s_mul_i32 s40, s36, s39
	s_mul_hi_u32 s20, s36, s38
	s_mul_i32 s29, s37, s38
	s_wait_alu 0xfffe
	s_add_nc_u64 s[40:41], s[20:21], s[40:41]
	s_mul_hi_u32 s2, s37, s38
	s_mul_hi_u32 s35, s37, s39
	s_wait_alu 0xfffe
	s_add_co_u32 s20, s40, s29
	s_add_co_ci_u32 s20, s41, s2
	s_mul_i32 s38, s37, s39
	s_add_co_ci_u32 s39, s35, 0
	s_wait_alu 0xfffe
	s_add_nc_u64 s[38:39], s[20:21], s[38:39]
	s_wait_alu 0xfffe
	s_add_co_u32 s2, s36, s38
	s_cselect_b32 s20, -1, 0
	s_wait_alu 0xfffe
	v_mul_hi_u32 v12, v10, s2
	s_cmp_lg_u32 s20, 0
	v_mad_co_u64_u32 v[5:6], null, v11, s2, 0
	s_add_co_ci_u32 s20, s37, s39
	s_wait_alu 0xfffe
	v_mad_co_u64_u32 v[3:4], null, v10, s20, 0
	v_mad_co_u64_u32 v[7:8], null, v11, s20, 0
	s_delay_alu instid0(VALU_DEP_2) | instskip(SKIP_1) | instid1(VALU_DEP_3)
	v_add_co_u32 v3, vcc_lo, v12, v3
	s_wait_alu 0xfffd
	v_add_co_ci_u32_e64 v4, null, 0, v4, vcc_lo
	s_delay_alu instid0(VALU_DEP_2) | instskip(SKIP_1) | instid1(VALU_DEP_2)
	v_add_co_u32 v3, vcc_lo, v3, v5
	s_wait_alu 0xfffd
	v_add_co_ci_u32_e32 v3, vcc_lo, v4, v6, vcc_lo
	s_wait_alu 0xfffd
	v_add_co_ci_u32_e32 v4, vcc_lo, 0, v8, vcc_lo
	s_delay_alu instid0(VALU_DEP_2) | instskip(SKIP_1) | instid1(VALU_DEP_2)
	v_add_co_u32 v5, vcc_lo, v3, v7
	s_wait_alu 0xfffd
	v_add_co_ci_u32_e64 v6, null, 0, v4, vcc_lo
	s_delay_alu instid0(VALU_DEP_2) | instskip(SKIP_1) | instid1(VALU_DEP_3)
	v_mul_lo_u32 v7, s31, v5
	v_mad_co_u64_u32 v[3:4], null, s30, v5, 0
	v_mul_lo_u32 v8, s30, v6
	s_delay_alu instid0(VALU_DEP_2) | instskip(NEXT) | instid1(VALU_DEP_2)
	v_sub_co_u32 v3, vcc_lo, v10, v3
	v_add3_u32 v4, v4, v8, v7
	v_add_co_u32 v8, s2, v5, 2
	s_wait_alu 0xf1ff
	v_add_co_ci_u32_e64 v10, null, 0, v6, s2
	s_delay_alu instid0(VALU_DEP_3) | instskip(SKIP_3) | instid1(VALU_DEP_3)
	v_sub_nc_u32_e32 v7, v11, v4
	v_sub_co_u32 v12, s2, v3, s30
	s_wait_alu 0xfffd
	v_sub_co_ci_u32_e64 v4, null, v11, v4, vcc_lo
	v_subrev_co_ci_u32_e64 v7, null, s31, v7, vcc_lo
	s_delay_alu instid0(VALU_DEP_3) | instskip(SKIP_1) | instid1(VALU_DEP_2)
	v_cmp_le_u32_e32 vcc_lo, s30, v12
	s_wait_alu 0xf1ff
	v_subrev_co_ci_u32_e64 v7, null, 0, v7, s2
	s_wait_alu 0xfffd
	v_cndmask_b32_e64 v11, 0, -1, vcc_lo
	s_delay_alu instid0(VALU_DEP_2)
	v_cmp_le_u32_e32 vcc_lo, s31, v7
	s_wait_alu 0xfffd
	v_cndmask_b32_e64 v12, 0, -1, vcc_lo
	v_cmp_le_u32_e32 vcc_lo, s30, v3
	s_wait_alu 0xfffd
	v_cndmask_b32_e64 v3, 0, -1, vcc_lo
	;; [unrolled: 3-line block ×3, first 2 shown]
	v_cmp_eq_u32_e32 vcc_lo, s31, v7
	s_wait_alu 0xfffd
	v_cndmask_b32_e32 v7, v12, v11, vcc_lo
	v_add_co_u32 v11, vcc_lo, v5, 1
	s_wait_alu 0xfffd
	v_add_co_ci_u32_e64 v12, null, 0, v6, vcc_lo
	v_cmp_eq_u32_e32 vcc_lo, s31, v4
	s_wait_alu 0xfffd
	v_cndmask_b32_e32 v3, v13, v3, vcc_lo
	v_cmp_ne_u32_e32 vcc_lo, 0, v7
	v_xor_b32_e32 v7, s28, v9
	s_wait_alu 0xfffd
	v_cndmask_b32_e32 v4, v12, v10, vcc_lo
	v_cmp_ne_u32_e64 s2, 0, v3
	v_cndmask_b32_e32 v3, v11, v8, vcc_lo
	s_wait_alu 0xf1ff
	s_delay_alu instid0(VALU_DEP_2) | instskip(NEXT) | instid1(VALU_DEP_2)
	v_cndmask_b32_e64 v4, v6, v4, s2
	v_cndmask_b32_e64 v3, v5, v3, s2
	s_delay_alu instid0(VALU_DEP_2) | instskip(NEXT) | instid1(VALU_DEP_2)
	v_xor_b32_e32 v5, v4, v7
	v_xor_b32_e32 v3, v3, v7
	s_delay_alu instid0(VALU_DEP_1) | instskip(SKIP_1) | instid1(VALU_DEP_3)
	v_sub_co_u32 v4, vcc_lo, v3, v7
	s_wait_alu 0xfffd
	v_sub_co_ci_u32_e64 v5, null, v5, v7, vcc_lo
.LBB97_5:                               ;   in Loop: Header=BB97_3 Depth=1
	s_wait_alu 0xfffe
	s_and_not1_saveexec_b32 s2, s34
	s_cbranch_execz .LBB97_7
; %bb.6:                                ;   in Loop: Header=BB97_3 Depth=1
	s_sub_co_i32 s20, 0, s8
	s_wait_alu 0xfffe
	v_mul_lo_u32 v3, s20, v18
	s_delay_alu instid0(VALU_DEP_1) | instskip(NEXT) | instid1(VALU_DEP_1)
	v_mul_hi_u32 v3, v18, v3
	v_add_nc_u32_e32 v3, v18, v3
	s_delay_alu instid0(VALU_DEP_1) | instskip(NEXT) | instid1(VALU_DEP_1)
	v_mul_hi_u32 v3, v0, v3
	v_mul_lo_u32 v4, v3, s8
	v_add_nc_u32_e32 v5, 1, v3
	s_delay_alu instid0(VALU_DEP_2) | instskip(NEXT) | instid1(VALU_DEP_1)
	v_sub_nc_u32_e32 v4, v0, v4
	v_subrev_nc_u32_e32 v6, s8, v4
	v_cmp_le_u32_e32 vcc_lo, s8, v4
	s_wait_alu 0xfffd
	s_delay_alu instid0(VALU_DEP_2) | instskip(NEXT) | instid1(VALU_DEP_1)
	v_dual_cndmask_b32 v4, v4, v6 :: v_dual_cndmask_b32 v3, v3, v5
	v_cmp_le_u32_e32 vcc_lo, s8, v4
	s_delay_alu instid0(VALU_DEP_2) | instskip(SKIP_1) | instid1(VALU_DEP_1)
	v_add_nc_u32_e32 v5, 1, v3
	s_wait_alu 0xfffd
	v_dual_cndmask_b32 v4, v3, v5 :: v_dual_mov_b32 v5, v2
.LBB97_7:                               ;   in Loop: Header=BB97_3 Depth=1
	s_wait_alu 0xfffe
	s_or_b32 exec_lo, exec_lo, s2
	s_delay_alu instid0(VALU_DEP_1) | instskip(SKIP_1) | instid1(VALU_DEP_1)
	v_or_b32_e32 v3, s23, v5
                                        ; implicit-def: $vgpr8_vgpr9
	s_mov_b32 s2, exec_lo
	v_cmpx_ne_u64_e32 0, v[2:3]
	s_wait_alu 0xfffe
	s_xor_b32 s29, exec_lo, s2
	s_cbranch_execz .LBB97_9
; %bb.8:                                ;   in Loop: Header=BB97_3 Depth=1
	s_ashr_i32 s30, s23, 31
	v_ashrrev_i32_e32 v3, 31, v5
	s_wait_alu 0xfffe
	s_mov_b32 s31, s30
	s_wait_alu 0xfffe
	s_add_nc_u64 s[34:35], s[22:23], s[30:31]
	v_add_co_u32 v6, vcc_lo, v4, v3
	s_wait_alu 0xfffe
	s_xor_b64 s[34:35], s[34:35], s[30:31]
	s_wait_alu 0xfffd
	v_add_co_ci_u32_e64 v5, null, v5, v3, vcc_lo
	s_wait_alu 0xfffe
	s_cvt_f32_u32 s2, s34
	s_cvt_f32_u32 s20, s35
	s_sub_nc_u64 s[38:39], 0, s[34:35]
	v_xor_b32_e32 v11, v6, v3
	v_xor_b32_e32 v12, v5, v3
	s_wait_alu 0xfffe
	s_fmamk_f32 s2, s20, 0x4f800000, s2
	v_xor_b32_e32 v3, s30, v3
	s_wait_alu 0xfffe
	s_delay_alu instid0(SALU_CYCLE_1) | instskip(NEXT) | instid1(TRANS32_DEP_1)
	v_s_rcp_f32 s2, s2
	s_mul_f32 s2, s2, 0x5f7ffffc
	s_wait_alu 0xfffe
	s_delay_alu instid0(SALU_CYCLE_2) | instskip(SKIP_1) | instid1(SALU_CYCLE_2)
	s_mul_f32 s20, s2, 0x2f800000
	s_wait_alu 0xfffe
	s_trunc_f32 s20, s20
	s_wait_alu 0xfffe
	s_delay_alu instid0(SALU_CYCLE_2) | instskip(SKIP_2) | instid1(SALU_CYCLE_1)
	s_fmamk_f32 s2, s20, 0xcf800000, s2
	s_cvt_u32_f32 s37, s20
	s_wait_alu 0xfffe
	s_cvt_u32_f32 s36, s2
	s_wait_alu 0xfffe
	s_delay_alu instid0(SALU_CYCLE_2)
	s_mul_u64 s[40:41], s[38:39], s[36:37]
	s_wait_alu 0xfffe
	s_mul_hi_u32 s43, s36, s41
	s_mul_i32 s42, s36, s41
	s_mul_hi_u32 s20, s36, s40
	s_mul_i32 s31, s37, s40
	s_wait_alu 0xfffe
	s_add_nc_u64 s[42:43], s[20:21], s[42:43]
	s_mul_hi_u32 s2, s37, s40
	s_mul_hi_u32 s44, s37, s41
	s_wait_alu 0xfffe
	s_add_co_u32 s20, s42, s31
	s_add_co_ci_u32 s20, s43, s2
	s_mul_i32 s40, s37, s41
	s_add_co_ci_u32 s41, s44, 0
	s_wait_alu 0xfffe
	s_add_nc_u64 s[40:41], s[20:21], s[40:41]
	s_wait_alu 0xfffe
	s_add_co_u32 s36, s36, s40
	s_cselect_b32 s2, -1, 0
	s_wait_alu 0xfffe
	s_cmp_lg_u32 s2, 0
	s_add_co_ci_u32 s37, s37, s41
	s_wait_alu 0xfffe
	s_mul_u64 s[38:39], s[38:39], s[36:37]
	s_wait_alu 0xfffe
	s_mul_hi_u32 s41, s36, s39
	s_mul_i32 s40, s36, s39
	s_mul_hi_u32 s20, s36, s38
	s_mul_i32 s31, s37, s38
	s_wait_alu 0xfffe
	s_add_nc_u64 s[40:41], s[20:21], s[40:41]
	s_mul_hi_u32 s2, s37, s38
	s_mul_hi_u32 s42, s37, s39
	s_wait_alu 0xfffe
	s_add_co_u32 s20, s40, s31
	s_add_co_ci_u32 s20, s41, s2
	s_mul_i32 s38, s37, s39
	s_add_co_ci_u32 s39, s42, 0
	s_wait_alu 0xfffe
	s_add_nc_u64 s[38:39], s[20:21], s[38:39]
	s_wait_alu 0xfffe
	s_add_co_u32 s2, s36, s38
	s_cselect_b32 s20, -1, 0
	s_wait_alu 0xfffe
	v_mul_hi_u32 v13, v11, s2
	s_cmp_lg_u32 s20, 0
	v_mad_co_u64_u32 v[7:8], null, v12, s2, 0
	s_add_co_ci_u32 s20, s37, s39
	s_wait_alu 0xfffe
	v_mad_co_u64_u32 v[5:6], null, v11, s20, 0
	v_mad_co_u64_u32 v[9:10], null, v12, s20, 0
	s_delay_alu instid0(VALU_DEP_2) | instskip(SKIP_1) | instid1(VALU_DEP_3)
	v_add_co_u32 v5, vcc_lo, v13, v5
	s_wait_alu 0xfffd
	v_add_co_ci_u32_e64 v6, null, 0, v6, vcc_lo
	s_delay_alu instid0(VALU_DEP_2) | instskip(SKIP_1) | instid1(VALU_DEP_2)
	v_add_co_u32 v5, vcc_lo, v5, v7
	s_wait_alu 0xfffd
	v_add_co_ci_u32_e32 v5, vcc_lo, v6, v8, vcc_lo
	s_wait_alu 0xfffd
	v_add_co_ci_u32_e32 v6, vcc_lo, 0, v10, vcc_lo
	s_delay_alu instid0(VALU_DEP_2) | instskip(SKIP_1) | instid1(VALU_DEP_2)
	v_add_co_u32 v7, vcc_lo, v5, v9
	s_wait_alu 0xfffd
	v_add_co_ci_u32_e64 v8, null, 0, v6, vcc_lo
	s_delay_alu instid0(VALU_DEP_2) | instskip(SKIP_1) | instid1(VALU_DEP_3)
	v_mul_lo_u32 v9, s35, v7
	v_mad_co_u64_u32 v[5:6], null, s34, v7, 0
	v_mul_lo_u32 v10, s34, v8
	s_delay_alu instid0(VALU_DEP_2) | instskip(NEXT) | instid1(VALU_DEP_2)
	v_sub_co_u32 v5, vcc_lo, v11, v5
	v_add3_u32 v6, v6, v10, v9
	v_add_co_u32 v10, s2, v7, 2
	s_wait_alu 0xf1ff
	v_add_co_ci_u32_e64 v11, null, 0, v8, s2
	s_delay_alu instid0(VALU_DEP_3) | instskip(SKIP_3) | instid1(VALU_DEP_3)
	v_sub_nc_u32_e32 v9, v12, v6
	v_sub_co_u32 v13, s2, v5, s34
	s_wait_alu 0xfffd
	v_sub_co_ci_u32_e64 v6, null, v12, v6, vcc_lo
	v_subrev_co_ci_u32_e64 v9, null, s35, v9, vcc_lo
	s_delay_alu instid0(VALU_DEP_3) | instskip(SKIP_1) | instid1(VALU_DEP_2)
	v_cmp_le_u32_e32 vcc_lo, s34, v13
	s_wait_alu 0xf1ff
	v_subrev_co_ci_u32_e64 v9, null, 0, v9, s2
	s_wait_alu 0xfffd
	v_cndmask_b32_e64 v12, 0, -1, vcc_lo
	s_delay_alu instid0(VALU_DEP_2)
	v_cmp_le_u32_e32 vcc_lo, s35, v9
	s_wait_alu 0xfffd
	v_cndmask_b32_e64 v13, 0, -1, vcc_lo
	v_cmp_le_u32_e32 vcc_lo, s34, v5
	s_wait_alu 0xfffd
	v_cndmask_b32_e64 v5, 0, -1, vcc_lo
	;; [unrolled: 3-line block ×3, first 2 shown]
	v_cmp_eq_u32_e32 vcc_lo, s35, v9
	s_wait_alu 0xfffd
	v_cndmask_b32_e32 v9, v13, v12, vcc_lo
	v_add_co_u32 v12, vcc_lo, v7, 1
	s_wait_alu 0xfffd
	v_add_co_ci_u32_e64 v13, null, 0, v8, vcc_lo
	v_cmp_eq_u32_e32 vcc_lo, s35, v6
	s_wait_alu 0xfffd
	v_cndmask_b32_e32 v5, v14, v5, vcc_lo
	v_cmp_ne_u32_e32 vcc_lo, 0, v9
	s_wait_alu 0xfffd
	v_cndmask_b32_e32 v6, v13, v11, vcc_lo
	s_delay_alu instid0(VALU_DEP_3) | instskip(SKIP_2) | instid1(VALU_DEP_2)
	v_cmp_ne_u32_e64 s2, 0, v5
	v_cndmask_b32_e32 v5, v12, v10, vcc_lo
	s_wait_alu 0xf1ff
	v_cndmask_b32_e64 v6, v8, v6, s2
	s_delay_alu instid0(VALU_DEP_2) | instskip(NEXT) | instid1(VALU_DEP_2)
	v_cndmask_b32_e64 v5, v7, v5, s2
	v_xor_b32_e32 v6, v6, v3
	s_delay_alu instid0(VALU_DEP_2) | instskip(NEXT) | instid1(VALU_DEP_1)
	v_xor_b32_e32 v5, v5, v3
	v_sub_co_u32 v8, vcc_lo, v5, v3
	s_wait_alu 0xfffd
	s_delay_alu instid0(VALU_DEP_3)
	v_sub_co_ci_u32_e64 v9, null, v6, v3, vcc_lo
.LBB97_9:                               ;   in Loop: Header=BB97_3 Depth=1
	s_wait_alu 0xfffe
	s_and_not1_saveexec_b32 s2, s29
	s_cbranch_execz .LBB97_11
; %bb.10:                               ;   in Loop: Header=BB97_3 Depth=1
	s_sub_co_i32 s20, 0, s22
	v_mov_b32_e32 v9, v2
	s_wait_alu 0xfffe
	v_mul_lo_u32 v3, s20, v19
	s_delay_alu instid0(VALU_DEP_1) | instskip(NEXT) | instid1(VALU_DEP_1)
	v_mul_hi_u32 v3, v19, v3
	v_add_nc_u32_e32 v3, v19, v3
	s_delay_alu instid0(VALU_DEP_1) | instskip(NEXT) | instid1(VALU_DEP_1)
	v_mul_hi_u32 v3, v4, v3
	v_mul_lo_u32 v5, v3, s22
	v_add_nc_u32_e32 v6, 1, v3
	s_delay_alu instid0(VALU_DEP_2) | instskip(NEXT) | instid1(VALU_DEP_1)
	v_sub_nc_u32_e32 v5, v4, v5
	v_cmp_le_u32_e32 vcc_lo, s22, v5
	v_subrev_nc_u32_e32 v7, s22, v5
	s_wait_alu 0xfffd
	v_cndmask_b32_e32 v3, v3, v6, vcc_lo
	s_delay_alu instid0(VALU_DEP_1) | instskip(NEXT) | instid1(VALU_DEP_3)
	v_add_nc_u32_e32 v6, 1, v3
	v_cndmask_b32_e32 v5, v5, v7, vcc_lo
	s_delay_alu instid0(VALU_DEP_1) | instskip(SKIP_1) | instid1(VALU_DEP_3)
	v_cmp_le_u32_e32 vcc_lo, s22, v5
	s_wait_alu 0xfffd
	v_cndmask_b32_e32 v8, v3, v6, vcc_lo
.LBB97_11:                              ;   in Loop: Header=BB97_3 Depth=1
	s_wait_alu 0xfffe
	s_or_b32 exec_lo, exec_lo, s2
	v_mad_co_u64_u32 v[5:6], null, v4, s8, 0
	s_delay_alu instid0(VALU_DEP_2) | instskip(SKIP_3) | instid1(VALU_DEP_2)
	v_mad_co_u64_u32 v[6:7], null, v8, s22, 0
	s_and_not1_b32 vcc_lo, exec_lo, s49
	v_sub_co_u32 v20, null, v0, v5
	v_sub_co_u32 v21, null, v4, v6
	v_mul_lo_u32 v3, s24, v20
	v_mul_lo_u32 v5, s26, v20
	s_delay_alu instid0(VALU_DEP_2) | instskip(NEXT) | instid1(VALU_DEP_1)
	v_mad_co_u64_u32 v[6:7], null, s14, v21, v[3:4]
	v_mad_co_u64_u32 v[4:5], null, s16, v21, v[5:6]
	s_wait_alu 0xfffe
	s_cbranch_vccnz .LBB97_38
; %bb.12:                               ;   in Loop: Header=BB97_3 Depth=1
	s_mov_b32 s29, 1
	s_and_not1_b32 vcc_lo, exec_lo, s51
	s_mov_b32 s20, s33
	s_mov_b32 s2, s33
	s_wait_alu 0xfffe
	s_cbranch_vccz .LBB97_15
; %bb.13:                               ;   in Loop: Header=BB97_3 Depth=1
	s_and_b32 vcc_lo, exec_lo, s52
	s_mov_b32 s20, s2
	s_wait_alu 0xfffe
	s_cbranch_vccnz .LBB97_20
	s_branch .LBB97_38
.LBB97_14:                              ;   in Loop: Header=BB97_15 Depth=2
	s_wait_alu 0xfffe
	s_or_b32 exec_lo, exec_lo, s2
	s_add_nc_u64 s[36:37], s[0:1], s[36:37]
	s_clause 0x1
	s_load_b32 s2, s[34:35], 0x6c
	s_load_b32 s31, s[36:37], 0x6c
	v_mul_lo_u32 v3, v10, s30
	s_add_co_i32 s20, s20, -1
	s_delay_alu instid0(VALU_DEP_1) | instskip(SKIP_2) | instid1(VALU_DEP_2)
	v_sub_nc_u32_e32 v3, v8, v3
	v_dual_mov_b32 v8, v10 :: v_dual_mov_b32 v9, v11
	s_wait_kmcnt 0x0
	v_mad_co_u64_u32 v[6:7], null, s2, v3, v[6:7]
	v_mad_co_u64_u32 v[4:5], null, s31, v3, v[4:5]
	s_xor_b32 s2, s48, s29
	s_add_co_i32 s29, s29, 1
	s_wait_alu 0xfffe
	s_cmp_lg_u32 s2, 2
	s_cbranch_scc0 .LBB97_19
.LBB97_15:                              ;   Parent Loop BB97_3 Depth=1
                                        ; =>  This Inner Loop Header: Depth=2
	s_lshl_b64 s[36:37], s[20:21], 2
                                        ; implicit-def: $vgpr10_vgpr11
	s_mov_b32 s2, exec_lo
	s_wait_alu 0xfffe
	s_add_nc_u64 s[34:35], s[12:13], s[36:37]
	s_load_b32 s30, s[34:35], 0x8
	s_wait_kmcnt 0x0
	s_ashr_i32 s31, s30, 31
	s_wait_alu 0xfffe
	v_or_b32_e32 v3, s31, v9
	s_delay_alu instid0(VALU_DEP_1)
	v_cmpx_ne_u64_e32 0, v[2:3]
	s_xor_b32 s42, exec_lo, s2
	s_cbranch_execz .LBB97_17
; %bb.16:                               ;   in Loop: Header=BB97_15 Depth=2
	s_ashr_i32 s38, s31, 31
	s_mov_b32 s55, s21
	s_wait_alu 0xfffe
	s_mov_b32 s39, s38
	s_mov_b32 s59, s21
	s_wait_alu 0xfffe
	s_add_nc_u64 s[40:41], s[30:31], s[38:39]
	v_ashrrev_i32_e32 v3, 31, v9
	s_wait_alu 0xfffe
	s_xor_b64 s[40:41], s[40:41], s[38:39]
	s_wait_alu 0xfffe
	s_cvt_f32_u32 s2, s40
	s_cvt_f32_u32 s31, s41
	s_sub_nc_u64 s[46:47], 0, s[40:41]
	v_add_co_u32 v5, vcc_lo, v8, v3
	s_wait_alu 0xfffe
	s_fmamk_f32 s2, s31, 0x4f800000, s2
	s_wait_alu 0xfffd
	v_add_co_ci_u32_e64 v7, null, v9, v3, vcc_lo
	v_xor_b32_e32 v5, v5, v3
	s_wait_alu 0xfffe
	v_s_rcp_f32 s2, s2
	s_delay_alu instid0(VALU_DEP_2) | instskip(SKIP_1) | instid1(TRANS32_DEP_1)
	v_xor_b32_e32 v7, v7, v3
	v_xor_b32_e32 v3, s38, v3
	s_mul_f32 s2, s2, 0x5f7ffffc
	s_wait_alu 0xfffe
	s_delay_alu instid0(SALU_CYCLE_2) | instskip(SKIP_1) | instid1(SALU_CYCLE_2)
	s_mul_f32 s31, s2, 0x2f800000
	s_wait_alu 0xfffe
	s_trunc_f32 s31, s31
	s_wait_alu 0xfffe
	s_delay_alu instid0(SALU_CYCLE_2) | instskip(SKIP_2) | instid1(SALU_CYCLE_1)
	s_fmamk_f32 s2, s31, 0xcf800000, s2
	s_cvt_u32_f32 s45, s31
	s_wait_alu 0xfffe
	s_cvt_u32_f32 s44, s2
	s_wait_alu 0xfffe
	s_delay_alu instid0(SALU_CYCLE_2) | instskip(NEXT) | instid1(SALU_CYCLE_1)
	s_mul_u64 s[56:57], s[46:47], s[44:45]
	s_mul_hi_u32 s61, s44, s57
	s_mul_i32 s60, s44, s57
	s_mul_hi_u32 s54, s44, s56
	s_mul_i32 s31, s45, s56
	s_wait_alu 0xfffe
	s_add_nc_u64 s[54:55], s[54:55], s[60:61]
	s_mul_hi_u32 s2, s45, s56
	s_mul_hi_u32 s39, s45, s57
	s_wait_alu 0xfffe
	s_add_co_u32 s31, s54, s31
	s_add_co_ci_u32 s58, s55, s2
	s_mul_i32 s56, s45, s57
	s_add_co_ci_u32 s57, s39, 0
	s_delay_alu instid0(SALU_CYCLE_1)
	s_add_nc_u64 s[54:55], s[58:59], s[56:57]
	s_mov_b32 s57, s21
	s_wait_alu 0xfffe
	s_add_co_u32 s44, s44, s54
	s_cselect_b32 s2, -1, 0
	s_wait_alu 0xfffe
	s_cmp_lg_u32 s2, 0
	s_add_co_ci_u32 s45, s45, s55
	s_mov_b32 s55, s21
	s_wait_alu 0xfffe
	s_mul_u64 s[46:47], s[46:47], s[44:45]
	s_wait_alu 0xfffe
	s_mul_hi_u32 s59, s44, s47
	s_mul_i32 s58, s44, s47
	s_mul_hi_u32 s56, s44, s46
	s_mul_i32 s31, s45, s46
	s_add_nc_u64 s[56:57], s[56:57], s[58:59]
	s_mul_hi_u32 s2, s45, s46
	s_mul_hi_u32 s39, s45, s47
	s_wait_alu 0xfffe
	s_add_co_u32 s31, s56, s31
	s_add_co_ci_u32 s54, s57, s2
	s_mul_i32 s46, s45, s47
	s_add_co_ci_u32 s47, s39, 0
	s_wait_alu 0xfffe
	s_add_nc_u64 s[46:47], s[54:55], s[46:47]
	s_wait_alu 0xfffe
	s_add_co_u32 s2, s44, s46
	s_cselect_b32 s31, -1, 0
	s_wait_alu 0xfffe
	v_mul_hi_u32 v15, v5, s2
	s_cmp_lg_u32 s31, 0
	v_mad_co_u64_u32 v[11:12], null, v7, s2, 0
	s_add_co_ci_u32 s31, s45, s47
	s_wait_alu 0xfffe
	v_mad_co_u64_u32 v[9:10], null, v5, s31, 0
	v_mad_co_u64_u32 v[13:14], null, v7, s31, 0
	s_delay_alu instid0(VALU_DEP_2) | instskip(SKIP_1) | instid1(VALU_DEP_3)
	v_add_co_u32 v9, vcc_lo, v15, v9
	s_wait_alu 0xfffd
	v_add_co_ci_u32_e64 v10, null, 0, v10, vcc_lo
	s_delay_alu instid0(VALU_DEP_2) | instskip(SKIP_1) | instid1(VALU_DEP_2)
	v_add_co_u32 v9, vcc_lo, v9, v11
	s_wait_alu 0xfffd
	v_add_co_ci_u32_e32 v9, vcc_lo, v10, v12, vcc_lo
	s_wait_alu 0xfffd
	v_add_co_ci_u32_e32 v10, vcc_lo, 0, v14, vcc_lo
	s_delay_alu instid0(VALU_DEP_2) | instskip(SKIP_1) | instid1(VALU_DEP_2)
	v_add_co_u32 v11, vcc_lo, v9, v13
	s_wait_alu 0xfffd
	v_add_co_ci_u32_e64 v12, null, 0, v10, vcc_lo
	s_delay_alu instid0(VALU_DEP_2) | instskip(SKIP_1) | instid1(VALU_DEP_3)
	v_mul_lo_u32 v13, s41, v11
	v_mad_co_u64_u32 v[9:10], null, s40, v11, 0
	v_mul_lo_u32 v14, s40, v12
	s_delay_alu instid0(VALU_DEP_2) | instskip(NEXT) | instid1(VALU_DEP_2)
	v_sub_co_u32 v5, vcc_lo, v5, v9
	v_add3_u32 v10, v10, v14, v13
	s_delay_alu instid0(VALU_DEP_1) | instskip(SKIP_2) | instid1(VALU_DEP_2)
	v_sub_nc_u32_e32 v13, v7, v10
	s_wait_alu 0xfffd
	v_sub_co_ci_u32_e64 v7, null, v7, v10, vcc_lo
	v_subrev_co_ci_u32_e64 v9, null, s41, v13, vcc_lo
	v_add_co_u32 v13, s2, v11, 2
	s_wait_alu 0xf1ff
	v_add_co_ci_u32_e64 v14, null, 0, v12, s2
	v_sub_co_u32 v15, s2, v5, s40
	s_wait_alu 0xf1ff
	v_subrev_co_ci_u32_e64 v9, null, 0, v9, s2
	s_delay_alu instid0(VALU_DEP_2) | instskip(SKIP_2) | instid1(VALU_DEP_3)
	v_cmp_le_u32_e32 vcc_lo, s40, v15
	s_wait_alu 0xfffd
	v_cndmask_b32_e64 v10, 0, -1, vcc_lo
	v_cmp_le_u32_e32 vcc_lo, s41, v9
	s_wait_alu 0xfffd
	v_cndmask_b32_e64 v15, 0, -1, vcc_lo
	;; [unrolled: 3-line block ×4, first 2 shown]
	v_cmp_eq_u32_e32 vcc_lo, s41, v9
	s_wait_alu 0xfffd
	v_cndmask_b32_e32 v9, v15, v10, vcc_lo
	v_add_co_u32 v10, vcc_lo, v11, 1
	s_wait_alu 0xfffd
	v_add_co_ci_u32_e64 v15, null, 0, v12, vcc_lo
	v_cmp_eq_u32_e32 vcc_lo, s41, v7
	s_wait_alu 0xfffd
	v_cndmask_b32_e32 v5, v16, v5, vcc_lo
	v_cmp_ne_u32_e32 vcc_lo, 0, v9
	s_delay_alu instid0(VALU_DEP_2) | instskip(SKIP_4) | instid1(VALU_DEP_2)
	v_cmp_ne_u32_e64 s2, 0, v5
	s_wait_alu 0xfffd
	v_cndmask_b32_e32 v5, v10, v13, vcc_lo
	v_cndmask_b32_e32 v7, v15, v14, vcc_lo
	s_wait_alu 0xf1ff
	v_cndmask_b32_e64 v5, v11, v5, s2
	s_delay_alu instid0(VALU_DEP_2) | instskip(NEXT) | instid1(VALU_DEP_2)
	v_cndmask_b32_e64 v7, v12, v7, s2
	v_xor_b32_e32 v5, v5, v3
	s_delay_alu instid0(VALU_DEP_2) | instskip(NEXT) | instid1(VALU_DEP_2)
	v_xor_b32_e32 v7, v7, v3
	v_sub_co_u32 v10, vcc_lo, v5, v3
	s_wait_alu 0xfffd
	s_delay_alu instid0(VALU_DEP_2)
	v_sub_co_ci_u32_e64 v11, null, v7, v3, vcc_lo
.LBB97_17:                              ;   in Loop: Header=BB97_15 Depth=2
	s_wait_alu 0xfffe
	s_and_not1_saveexec_b32 s2, s42
	s_cbranch_execz .LBB97_14
; %bb.18:                               ;   in Loop: Header=BB97_15 Depth=2
	v_cvt_f32_u32_e32 v3, s30
	s_sub_co_i32 s31, 0, s30
	v_mov_b32_e32 v11, v2
	s_delay_alu instid0(VALU_DEP_2) | instskip(NEXT) | instid1(TRANS32_DEP_1)
	v_rcp_iflag_f32_e32 v3, v3
	v_mul_f32_e32 v3, 0x4f7ffffe, v3
	s_delay_alu instid0(VALU_DEP_1) | instskip(SKIP_1) | instid1(VALU_DEP_1)
	v_cvt_u32_f32_e32 v3, v3
	s_wait_alu 0xfffe
	v_mul_lo_u32 v5, s31, v3
	s_delay_alu instid0(VALU_DEP_1) | instskip(NEXT) | instid1(VALU_DEP_1)
	v_mul_hi_u32 v5, v3, v5
	v_add_nc_u32_e32 v3, v3, v5
	s_delay_alu instid0(VALU_DEP_1) | instskip(NEXT) | instid1(VALU_DEP_1)
	v_mul_hi_u32 v3, v8, v3
	v_mul_lo_u32 v5, v3, s30
	v_add_nc_u32_e32 v7, 1, v3
	s_delay_alu instid0(VALU_DEP_2) | instskip(NEXT) | instid1(VALU_DEP_1)
	v_sub_nc_u32_e32 v5, v8, v5
	v_cmp_le_u32_e32 vcc_lo, s30, v5
	v_subrev_nc_u32_e32 v9, s30, v5
	s_wait_alu 0xfffd
	v_cndmask_b32_e32 v3, v3, v7, vcc_lo
	s_delay_alu instid0(VALU_DEP_1) | instskip(NEXT) | instid1(VALU_DEP_3)
	v_add_nc_u32_e32 v7, 1, v3
	v_cndmask_b32_e32 v5, v5, v9, vcc_lo
	s_delay_alu instid0(VALU_DEP_1) | instskip(SKIP_1) | instid1(VALU_DEP_3)
	v_cmp_le_u32_e32 vcc_lo, s30, v5
	s_wait_alu 0xfffd
	v_cndmask_b32_e32 v10, v3, v7, vcc_lo
	s_branch .LBB97_14
.LBB97_19:                              ;   in Loop: Header=BB97_3 Depth=1
	s_mov_b32 s2, s20
	s_and_b32 vcc_lo, exec_lo, s52
	s_wait_alu 0xfffe
	s_mov_b32 s20, s2
	s_cbranch_vccz .LBB97_38
.LBB97_20:                              ;   Parent Loop BB97_3 Depth=1
                                        ; =>  This Inner Loop Header: Depth=2
	s_wait_alu 0xfffe
	s_lshl_b64 s[42:43], s[20:21], 2
                                        ; implicit-def: $vgpr10_vgpr11
	s_mov_b32 s2, exec_lo
	s_wait_alu 0xfffe
	s_add_nc_u64 s[36:37], s[12:13], s[42:43]
	s_load_b32 s30, s[36:37], 0x8
	s_wait_kmcnt 0x0
	s_ashr_i32 s31, s30, 31
	s_wait_alu 0xfffe
	v_or_b32_e32 v3, s31, v9
	s_delay_alu instid0(VALU_DEP_1)
	v_cmpx_ne_u64_e32 0, v[2:3]
	s_xor_b32 s29, exec_lo, s2
	s_cbranch_execz .LBB97_22
; %bb.21:                               ;   in Loop: Header=BB97_20 Depth=2
	s_ashr_i32 s34, s31, 31
	s_mov_b32 s47, s21
	s_wait_alu 0xfffe
	s_mov_b32 s35, s34
	s_mov_b32 s57, s21
	s_wait_alu 0xfffe
	s_add_nc_u64 s[38:39], s[30:31], s[34:35]
	v_ashrrev_i32_e32 v3, 31, v9
	s_wait_alu 0xfffe
	s_xor_b64 s[38:39], s[38:39], s[34:35]
	s_wait_alu 0xfffe
	s_cvt_f32_u32 s2, s38
	s_cvt_f32_u32 s31, s39
	s_sub_nc_u64 s[44:45], 0, s[38:39]
	v_add_co_u32 v5, vcc_lo, v8, v3
	s_wait_alu 0xfffe
	s_fmamk_f32 s2, s31, 0x4f800000, s2
	s_wait_alu 0xfffd
	v_add_co_ci_u32_e64 v7, null, v9, v3, vcc_lo
	v_xor_b32_e32 v5, v5, v3
	s_wait_alu 0xfffe
	v_s_rcp_f32 s2, s2
	s_delay_alu instid0(VALU_DEP_2) | instskip(SKIP_1) | instid1(TRANS32_DEP_1)
	v_xor_b32_e32 v7, v7, v3
	v_xor_b32_e32 v3, s34, v3
	s_mul_f32 s2, s2, 0x5f7ffffc
	s_wait_alu 0xfffe
	s_delay_alu instid0(SALU_CYCLE_2) | instskip(SKIP_1) | instid1(SALU_CYCLE_2)
	s_mul_f32 s31, s2, 0x2f800000
	s_wait_alu 0xfffe
	s_trunc_f32 s31, s31
	s_wait_alu 0xfffe
	s_delay_alu instid0(SALU_CYCLE_2) | instskip(SKIP_2) | instid1(SALU_CYCLE_1)
	s_fmamk_f32 s2, s31, 0xcf800000, s2
	s_cvt_u32_f32 s41, s31
	s_wait_alu 0xfffe
	s_cvt_u32_f32 s40, s2
	s_wait_alu 0xfffe
	s_delay_alu instid0(SALU_CYCLE_2)
	s_mul_u64 s[54:55], s[44:45], s[40:41]
	s_wait_alu 0xfffe
	s_mul_hi_u32 s59, s40, s55
	s_mul_i32 s58, s40, s55
	s_mul_hi_u32 s46, s40, s54
	s_mul_i32 s31, s41, s54
	s_wait_alu 0xfffe
	s_add_nc_u64 s[46:47], s[46:47], s[58:59]
	s_mul_hi_u32 s2, s41, s54
	s_mul_hi_u32 s35, s41, s55
	s_wait_alu 0xfffe
	s_add_co_u32 s31, s46, s31
	s_add_co_ci_u32 s56, s47, s2
	s_mul_i32 s54, s41, s55
	s_add_co_ci_u32 s55, s35, 0
	s_wait_alu 0xfffe
	s_add_nc_u64 s[46:47], s[56:57], s[54:55]
	s_mov_b32 s55, s21
	s_wait_alu 0xfffe
	s_add_co_u32 s40, s40, s46
	s_cselect_b32 s2, -1, 0
	s_wait_alu 0xfffe
	s_cmp_lg_u32 s2, 0
	s_add_co_ci_u32 s41, s41, s47
	s_mov_b32 s47, s21
	s_wait_alu 0xfffe
	s_mul_u64 s[44:45], s[44:45], s[40:41]
	s_wait_alu 0xfffe
	s_mul_hi_u32 s57, s40, s45
	s_mul_i32 s56, s40, s45
	s_mul_hi_u32 s54, s40, s44
	s_mul_i32 s31, s41, s44
	s_wait_alu 0xfffe
	s_add_nc_u64 s[54:55], s[54:55], s[56:57]
	s_mul_hi_u32 s2, s41, s44
	s_mul_hi_u32 s35, s41, s45
	s_wait_alu 0xfffe
	s_add_co_u32 s31, s54, s31
	s_add_co_ci_u32 s46, s55, s2
	s_mul_i32 s44, s41, s45
	s_add_co_ci_u32 s45, s35, 0
	s_wait_alu 0xfffe
	s_add_nc_u64 s[44:45], s[46:47], s[44:45]
	s_wait_alu 0xfffe
	s_add_co_u32 s2, s40, s44
	s_cselect_b32 s31, -1, 0
	s_wait_alu 0xfffe
	v_mul_hi_u32 v15, v5, s2
	s_cmp_lg_u32 s31, 0
	v_mad_co_u64_u32 v[11:12], null, v7, s2, 0
	s_add_co_ci_u32 s31, s41, s45
	s_wait_alu 0xfffe
	v_mad_co_u64_u32 v[9:10], null, v5, s31, 0
	v_mad_co_u64_u32 v[13:14], null, v7, s31, 0
	s_delay_alu instid0(VALU_DEP_2) | instskip(SKIP_1) | instid1(VALU_DEP_3)
	v_add_co_u32 v9, vcc_lo, v15, v9
	s_wait_alu 0xfffd
	v_add_co_ci_u32_e64 v10, null, 0, v10, vcc_lo
	s_delay_alu instid0(VALU_DEP_2) | instskip(SKIP_1) | instid1(VALU_DEP_2)
	v_add_co_u32 v9, vcc_lo, v9, v11
	s_wait_alu 0xfffd
	v_add_co_ci_u32_e32 v9, vcc_lo, v10, v12, vcc_lo
	s_wait_alu 0xfffd
	v_add_co_ci_u32_e32 v10, vcc_lo, 0, v14, vcc_lo
	s_delay_alu instid0(VALU_DEP_2) | instskip(SKIP_1) | instid1(VALU_DEP_2)
	v_add_co_u32 v11, vcc_lo, v9, v13
	s_wait_alu 0xfffd
	v_add_co_ci_u32_e64 v12, null, 0, v10, vcc_lo
	s_delay_alu instid0(VALU_DEP_2) | instskip(SKIP_1) | instid1(VALU_DEP_3)
	v_mul_lo_u32 v13, s39, v11
	v_mad_co_u64_u32 v[9:10], null, s38, v11, 0
	v_mul_lo_u32 v14, s38, v12
	s_delay_alu instid0(VALU_DEP_2) | instskip(NEXT) | instid1(VALU_DEP_2)
	v_sub_co_u32 v5, vcc_lo, v5, v9
	v_add3_u32 v10, v10, v14, v13
	s_delay_alu instid0(VALU_DEP_1) | instskip(SKIP_2) | instid1(VALU_DEP_2)
	v_sub_nc_u32_e32 v13, v7, v10
	s_wait_alu 0xfffd
	v_sub_co_ci_u32_e64 v7, null, v7, v10, vcc_lo
	v_subrev_co_ci_u32_e64 v9, null, s39, v13, vcc_lo
	v_add_co_u32 v13, s2, v11, 2
	s_wait_alu 0xf1ff
	v_add_co_ci_u32_e64 v14, null, 0, v12, s2
	v_sub_co_u32 v15, s2, v5, s38
	s_wait_alu 0xf1ff
	v_subrev_co_ci_u32_e64 v9, null, 0, v9, s2
	s_delay_alu instid0(VALU_DEP_2) | instskip(SKIP_2) | instid1(VALU_DEP_3)
	v_cmp_le_u32_e32 vcc_lo, s38, v15
	s_wait_alu 0xfffd
	v_cndmask_b32_e64 v10, 0, -1, vcc_lo
	v_cmp_le_u32_e32 vcc_lo, s39, v9
	s_wait_alu 0xfffd
	v_cndmask_b32_e64 v15, 0, -1, vcc_lo
	;; [unrolled: 3-line block ×4, first 2 shown]
	v_cmp_eq_u32_e32 vcc_lo, s39, v9
	s_wait_alu 0xfffd
	v_cndmask_b32_e32 v9, v15, v10, vcc_lo
	v_add_co_u32 v10, vcc_lo, v11, 1
	s_wait_alu 0xfffd
	v_add_co_ci_u32_e64 v15, null, 0, v12, vcc_lo
	v_cmp_eq_u32_e32 vcc_lo, s39, v7
	s_wait_alu 0xfffd
	v_cndmask_b32_e32 v5, v16, v5, vcc_lo
	v_cmp_ne_u32_e32 vcc_lo, 0, v9
	s_delay_alu instid0(VALU_DEP_2) | instskip(SKIP_4) | instid1(VALU_DEP_2)
	v_cmp_ne_u32_e64 s2, 0, v5
	s_wait_alu 0xfffd
	v_cndmask_b32_e32 v5, v10, v13, vcc_lo
	v_cndmask_b32_e32 v7, v15, v14, vcc_lo
	s_wait_alu 0xf1ff
	v_cndmask_b32_e64 v5, v11, v5, s2
	s_delay_alu instid0(VALU_DEP_2) | instskip(NEXT) | instid1(VALU_DEP_2)
	v_cndmask_b32_e64 v7, v12, v7, s2
	v_xor_b32_e32 v5, v5, v3
	s_delay_alu instid0(VALU_DEP_2) | instskip(NEXT) | instid1(VALU_DEP_2)
	v_xor_b32_e32 v7, v7, v3
	v_sub_co_u32 v10, vcc_lo, v5, v3
	s_wait_alu 0xfffd
	s_delay_alu instid0(VALU_DEP_2)
	v_sub_co_ci_u32_e64 v11, null, v7, v3, vcc_lo
.LBB97_22:                              ;   in Loop: Header=BB97_20 Depth=2
	s_wait_alu 0xfffe
	s_and_not1_saveexec_b32 s2, s29
	s_cbranch_execz .LBB97_24
; %bb.23:                               ;   in Loop: Header=BB97_20 Depth=2
	v_cvt_f32_u32_e32 v3, s30
	s_sub_co_i32 s29, 0, s30
	v_mov_b32_e32 v11, v2
	s_delay_alu instid0(VALU_DEP_2) | instskip(NEXT) | instid1(TRANS32_DEP_1)
	v_rcp_iflag_f32_e32 v3, v3
	v_mul_f32_e32 v3, 0x4f7ffffe, v3
	s_delay_alu instid0(VALU_DEP_1) | instskip(SKIP_1) | instid1(VALU_DEP_1)
	v_cvt_u32_f32_e32 v3, v3
	s_wait_alu 0xfffe
	v_mul_lo_u32 v5, s29, v3
	s_delay_alu instid0(VALU_DEP_1) | instskip(NEXT) | instid1(VALU_DEP_1)
	v_mul_hi_u32 v5, v3, v5
	v_add_nc_u32_e32 v3, v3, v5
	s_delay_alu instid0(VALU_DEP_1) | instskip(NEXT) | instid1(VALU_DEP_1)
	v_mul_hi_u32 v3, v8, v3
	v_mul_lo_u32 v5, v3, s30
	v_add_nc_u32_e32 v7, 1, v3
	s_delay_alu instid0(VALU_DEP_2) | instskip(NEXT) | instid1(VALU_DEP_1)
	v_sub_nc_u32_e32 v5, v8, v5
	v_cmp_le_u32_e32 vcc_lo, s30, v5
	v_subrev_nc_u32_e32 v9, s30, v5
	s_wait_alu 0xfffd
	v_cndmask_b32_e32 v3, v3, v7, vcc_lo
	s_delay_alu instid0(VALU_DEP_1) | instskip(NEXT) | instid1(VALU_DEP_3)
	v_add_nc_u32_e32 v7, 1, v3
	v_cndmask_b32_e32 v5, v5, v9, vcc_lo
	s_delay_alu instid0(VALU_DEP_1) | instskip(SKIP_1) | instid1(VALU_DEP_3)
	v_cmp_le_u32_e32 vcc_lo, s30, v5
	s_wait_alu 0xfffd
	v_cndmask_b32_e32 v10, v3, v7, vcc_lo
.LBB97_24:                              ;   in Loop: Header=BB97_20 Depth=2
	s_wait_alu 0xfffe
	s_or_b32 exec_lo, exec_lo, s2
	s_add_co_i32 s34, s20, -1
	s_mov_b32 s35, s21
	s_add_nc_u64 s[42:43], s[0:1], s[42:43]
	s_wait_alu 0xfffe
	s_lshl_b64 s[40:41], s[34:35], 2
                                        ; implicit-def: $vgpr12_vgpr13
	s_mov_b32 s2, exec_lo
	s_wait_alu 0xfffe
	s_add_nc_u64 s[38:39], s[12:13], s[40:41]
	s_clause 0x2
	s_load_b32 s34, s[38:39], 0x8
	s_load_b32 s29, s[36:37], 0x6c
	;; [unrolled: 1-line block ×3, first 2 shown]
	s_wait_kmcnt 0x0
	s_ashr_i32 s35, s34, 31
	s_wait_alu 0xfffe
	v_or_b32_e32 v3, s35, v11
	s_delay_alu instid0(VALU_DEP_1)
	v_cmpx_ne_u64_e32 0, v[2:3]
	s_xor_b32 s44, exec_lo, s2
	s_cbranch_execz .LBB97_26
; %bb.25:                               ;   in Loop: Header=BB97_20 Depth=2
	s_ashr_i32 s36, s35, 31
	s_mov_b32 s57, s21
	s_wait_alu 0xfffe
	s_mov_b32 s37, s36
	s_mov_b32 s61, s21
	s_wait_alu 0xfffe
	s_add_nc_u64 s[42:43], s[34:35], s[36:37]
	v_ashrrev_i32_e32 v3, 31, v11
	s_wait_alu 0xfffe
	s_xor_b64 s[42:43], s[42:43], s[36:37]
	s_wait_alu 0xfffe
	s_cvt_f32_u32 s2, s42
	s_cvt_f32_u32 s35, s43
	s_sub_nc_u64 s[54:55], 0, s[42:43]
	v_add_co_u32 v5, vcc_lo, v10, v3
	s_wait_alu 0xfffe
	s_fmamk_f32 s2, s35, 0x4f800000, s2
	s_wait_alu 0xfffd
	v_add_co_ci_u32_e64 v7, null, v11, v3, vcc_lo
	v_xor_b32_e32 v5, v5, v3
	s_wait_alu 0xfffe
	v_s_rcp_f32 s2, s2
	s_delay_alu instid0(VALU_DEP_2) | instskip(SKIP_1) | instid1(TRANS32_DEP_1)
	v_xor_b32_e32 v7, v7, v3
	v_xor_b32_e32 v3, s36, v3
	s_mul_f32 s2, s2, 0x5f7ffffc
	s_wait_alu 0xfffe
	s_delay_alu instid0(SALU_CYCLE_2) | instskip(SKIP_1) | instid1(SALU_CYCLE_2)
	s_mul_f32 s35, s2, 0x2f800000
	s_wait_alu 0xfffe
	s_trunc_f32 s35, s35
	s_wait_alu 0xfffe
	s_delay_alu instid0(SALU_CYCLE_2) | instskip(SKIP_2) | instid1(SALU_CYCLE_1)
	s_fmamk_f32 s2, s35, 0xcf800000, s2
	s_cvt_u32_f32 s47, s35
	s_wait_alu 0xfffe
	s_cvt_u32_f32 s46, s2
	s_wait_alu 0xfffe
	s_delay_alu instid0(SALU_CYCLE_2) | instskip(NEXT) | instid1(SALU_CYCLE_1)
	s_mul_u64 s[58:59], s[54:55], s[46:47]
	s_mul_hi_u32 s63, s46, s59
	s_mul_i32 s62, s46, s59
	s_mul_hi_u32 s56, s46, s58
	s_mul_i32 s35, s47, s58
	s_add_nc_u64 s[56:57], s[56:57], s[62:63]
	s_mul_hi_u32 s2, s47, s58
	s_mul_hi_u32 s37, s47, s59
	s_wait_alu 0xfffe
	s_add_co_u32 s35, s56, s35
	s_add_co_ci_u32 s60, s57, s2
	s_mul_i32 s58, s47, s59
	s_add_co_ci_u32 s59, s37, 0
	s_delay_alu instid0(SALU_CYCLE_1)
	s_add_nc_u64 s[56:57], s[60:61], s[58:59]
	s_mov_b32 s59, s21
	s_add_co_u32 s46, s46, s56
	s_cselect_b32 s2, -1, 0
	s_wait_alu 0xfffe
	s_cmp_lg_u32 s2, 0
	s_add_co_ci_u32 s47, s47, s57
	s_mov_b32 s57, s21
	s_wait_alu 0xfffe
	s_mul_u64 s[54:55], s[54:55], s[46:47]
	s_wait_alu 0xfffe
	s_mul_hi_u32 s61, s46, s55
	s_mul_i32 s60, s46, s55
	s_mul_hi_u32 s58, s46, s54
	s_mul_i32 s35, s47, s54
	s_add_nc_u64 s[58:59], s[58:59], s[60:61]
	s_mul_hi_u32 s2, s47, s54
	s_mul_hi_u32 s37, s47, s55
	s_wait_alu 0xfffe
	s_add_co_u32 s35, s58, s35
	s_add_co_ci_u32 s56, s59, s2
	s_mul_i32 s54, s47, s55
	s_add_co_ci_u32 s55, s37, 0
	s_wait_alu 0xfffe
	s_add_nc_u64 s[54:55], s[56:57], s[54:55]
	s_wait_alu 0xfffe
	s_add_co_u32 s2, s46, s54
	s_cselect_b32 s35, -1, 0
	s_wait_alu 0xfffe
	v_mul_hi_u32 v9, v5, s2
	s_cmp_lg_u32 s35, 0
	v_mad_co_u64_u32 v[13:14], null, v7, s2, 0
	s_add_co_ci_u32 s35, s47, s55
	s_wait_alu 0xfffe
	v_mad_co_u64_u32 v[11:12], null, v5, s35, 0
	v_mad_co_u64_u32 v[15:16], null, v7, s35, 0
	s_delay_alu instid0(VALU_DEP_2) | instskip(SKIP_1) | instid1(VALU_DEP_3)
	v_add_co_u32 v9, vcc_lo, v9, v11
	s_wait_alu 0xfffd
	v_add_co_ci_u32_e64 v11, null, 0, v12, vcc_lo
	s_delay_alu instid0(VALU_DEP_2) | instskip(SKIP_1) | instid1(VALU_DEP_2)
	v_add_co_u32 v9, vcc_lo, v9, v13
	s_wait_alu 0xfffd
	v_add_co_ci_u32_e32 v9, vcc_lo, v11, v14, vcc_lo
	s_wait_alu 0xfffd
	v_add_co_ci_u32_e32 v11, vcc_lo, 0, v16, vcc_lo
	s_delay_alu instid0(VALU_DEP_2) | instskip(SKIP_1) | instid1(VALU_DEP_2)
	v_add_co_u32 v9, vcc_lo, v9, v15
	s_wait_alu 0xfffd
	v_add_co_ci_u32_e64 v13, null, 0, v11, vcc_lo
	s_delay_alu instid0(VALU_DEP_2) | instskip(SKIP_1) | instid1(VALU_DEP_3)
	v_mul_lo_u32 v14, s43, v9
	v_mad_co_u64_u32 v[11:12], null, s42, v9, 0
	v_mul_lo_u32 v15, s42, v13
	s_delay_alu instid0(VALU_DEP_2) | instskip(NEXT) | instid1(VALU_DEP_2)
	v_sub_co_u32 v5, vcc_lo, v5, v11
	v_add3_u32 v12, v12, v15, v14
	s_delay_alu instid0(VALU_DEP_1) | instskip(SKIP_2) | instid1(VALU_DEP_2)
	v_sub_nc_u32_e32 v14, v7, v12
	s_wait_alu 0xfffd
	v_sub_co_ci_u32_e64 v7, null, v7, v12, vcc_lo
	v_subrev_co_ci_u32_e64 v11, null, s43, v14, vcc_lo
	v_add_co_u32 v14, s2, v9, 2
	s_wait_alu 0xf1ff
	v_add_co_ci_u32_e64 v15, null, 0, v13, s2
	v_sub_co_u32 v16, s2, v5, s42
	s_wait_alu 0xf1ff
	v_subrev_co_ci_u32_e64 v11, null, 0, v11, s2
	s_delay_alu instid0(VALU_DEP_2) | instskip(SKIP_2) | instid1(VALU_DEP_3)
	v_cmp_le_u32_e32 vcc_lo, s42, v16
	s_wait_alu 0xfffd
	v_cndmask_b32_e64 v12, 0, -1, vcc_lo
	v_cmp_le_u32_e32 vcc_lo, s43, v11
	s_wait_alu 0xfffd
	v_cndmask_b32_e64 v16, 0, -1, vcc_lo
	;; [unrolled: 3-line block ×4, first 2 shown]
	v_cmp_eq_u32_e32 vcc_lo, s43, v11
	s_wait_alu 0xfffd
	v_cndmask_b32_e32 v11, v16, v12, vcc_lo
	v_add_co_u32 v12, vcc_lo, v9, 1
	s_wait_alu 0xfffd
	v_add_co_ci_u32_e64 v16, null, 0, v13, vcc_lo
	v_cmp_eq_u32_e32 vcc_lo, s43, v7
	s_wait_alu 0xfffd
	v_cndmask_b32_e32 v5, v17, v5, vcc_lo
	v_cmp_ne_u32_e32 vcc_lo, 0, v11
	s_delay_alu instid0(VALU_DEP_2) | instskip(SKIP_4) | instid1(VALU_DEP_2)
	v_cmp_ne_u32_e64 s2, 0, v5
	s_wait_alu 0xfffd
	v_cndmask_b32_e32 v5, v12, v14, vcc_lo
	v_cndmask_b32_e32 v7, v16, v15, vcc_lo
	s_wait_alu 0xf1ff
	v_cndmask_b32_e64 v5, v9, v5, s2
	s_delay_alu instid0(VALU_DEP_2) | instskip(NEXT) | instid1(VALU_DEP_2)
	v_cndmask_b32_e64 v7, v13, v7, s2
	v_xor_b32_e32 v5, v5, v3
	s_delay_alu instid0(VALU_DEP_2) | instskip(NEXT) | instid1(VALU_DEP_2)
	v_xor_b32_e32 v7, v7, v3
	v_sub_co_u32 v12, vcc_lo, v5, v3
	s_wait_alu 0xfffd
	s_delay_alu instid0(VALU_DEP_2)
	v_sub_co_ci_u32_e64 v13, null, v7, v3, vcc_lo
.LBB97_26:                              ;   in Loop: Header=BB97_20 Depth=2
	s_wait_alu 0xfffe
	s_and_not1_saveexec_b32 s2, s44
	s_cbranch_execz .LBB97_28
; %bb.27:                               ;   in Loop: Header=BB97_20 Depth=2
	v_cvt_f32_u32_e32 v3, s34
	s_sub_co_i32 s35, 0, s34
	v_mov_b32_e32 v13, v2
	s_delay_alu instid0(VALU_DEP_2) | instskip(NEXT) | instid1(TRANS32_DEP_1)
	v_rcp_iflag_f32_e32 v3, v3
	v_mul_f32_e32 v3, 0x4f7ffffe, v3
	s_delay_alu instid0(VALU_DEP_1) | instskip(SKIP_1) | instid1(VALU_DEP_1)
	v_cvt_u32_f32_e32 v3, v3
	s_wait_alu 0xfffe
	v_mul_lo_u32 v5, s35, v3
	s_delay_alu instid0(VALU_DEP_1) | instskip(NEXT) | instid1(VALU_DEP_1)
	v_mul_hi_u32 v5, v3, v5
	v_add_nc_u32_e32 v3, v3, v5
	s_delay_alu instid0(VALU_DEP_1) | instskip(NEXT) | instid1(VALU_DEP_1)
	v_mul_hi_u32 v3, v10, v3
	v_mul_lo_u32 v5, v3, s34
	v_add_nc_u32_e32 v7, 1, v3
	s_delay_alu instid0(VALU_DEP_2) | instskip(NEXT) | instid1(VALU_DEP_1)
	v_sub_nc_u32_e32 v5, v10, v5
	v_cmp_le_u32_e32 vcc_lo, s34, v5
	v_subrev_nc_u32_e32 v9, s34, v5
	s_wait_alu 0xfffd
	v_cndmask_b32_e32 v3, v3, v7, vcc_lo
	s_delay_alu instid0(VALU_DEP_1) | instskip(NEXT) | instid1(VALU_DEP_3)
	v_add_nc_u32_e32 v7, 1, v3
	v_cndmask_b32_e32 v5, v5, v9, vcc_lo
	s_delay_alu instid0(VALU_DEP_1) | instskip(SKIP_1) | instid1(VALU_DEP_3)
	v_cmp_le_u32_e32 vcc_lo, s34, v5
	s_wait_alu 0xfffd
	v_cndmask_b32_e32 v12, v3, v7, vcc_lo
.LBB97_28:                              ;   in Loop: Header=BB97_20 Depth=2
	s_wait_alu 0xfffe
	s_or_b32 exec_lo, exec_lo, s2
	s_add_co_i32 s36, s20, -2
	s_mov_b32 s37, s21
	s_add_nc_u64 s[40:41], s[0:1], s[40:41]
	s_wait_alu 0xfffe
	s_lshl_b64 s[46:47], s[36:37], 2
                                        ; implicit-def: $vgpr14_vgpr15
	s_mov_b32 s2, exec_lo
	s_wait_alu 0xfffe
	s_add_nc_u64 s[44:45], s[12:13], s[46:47]
	s_clause 0x2
	s_load_b32 s36, s[44:45], 0x8
	s_load_b32 s35, s[38:39], 0x6c
	;; [unrolled: 1-line block ×3, first 2 shown]
	s_wait_kmcnt 0x0
	s_ashr_i32 s37, s36, 31
	s_wait_alu 0xfffe
	v_or_b32_e32 v3, s37, v13
	s_delay_alu instid0(VALU_DEP_1)
	v_cmpx_ne_u64_e32 0, v[2:3]
	s_xor_b32 s42, exec_lo, s2
	s_cbranch_execz .LBB97_30
; %bb.29:                               ;   in Loop: Header=BB97_20 Depth=2
	s_ashr_i32 s38, s37, 31
	s_mov_b32 s61, s21
	s_wait_alu 0xfffe
	s_mov_b32 s39, s38
	s_mov_b32 s65, s21
	s_wait_alu 0xfffe
	s_add_nc_u64 s[40:41], s[36:37], s[38:39]
	v_ashrrev_i32_e32 v3, 31, v13
	s_wait_alu 0xfffe
	s_xor_b64 s[40:41], s[40:41], s[38:39]
	s_wait_alu 0xfffe
	s_cvt_f32_u32 s2, s40
	s_cvt_f32_u32 s37, s41
	s_sub_nc_u64 s[58:59], 0, s[40:41]
	v_add_co_u32 v5, vcc_lo, v12, v3
	s_wait_alu 0xfffe
	s_fmamk_f32 s2, s37, 0x4f800000, s2
	s_wait_alu 0xfffd
	v_add_co_ci_u32_e64 v7, null, v13, v3, vcc_lo
	v_xor_b32_e32 v5, v5, v3
	s_wait_alu 0xfffe
	v_s_rcp_f32 s2, s2
	s_delay_alu instid0(VALU_DEP_2) | instskip(SKIP_1) | instid1(TRANS32_DEP_1)
	v_xor_b32_e32 v7, v7, v3
	v_xor_b32_e32 v3, s38, v3
	s_mul_f32 s2, s2, 0x5f7ffffc
	s_wait_alu 0xfffe
	s_delay_alu instid0(SALU_CYCLE_2) | instskip(SKIP_1) | instid1(SALU_CYCLE_2)
	s_mul_f32 s37, s2, 0x2f800000
	s_wait_alu 0xfffe
	s_trunc_f32 s37, s37
	s_wait_alu 0xfffe
	s_delay_alu instid0(SALU_CYCLE_2) | instskip(SKIP_2) | instid1(SALU_CYCLE_1)
	s_fmamk_f32 s2, s37, 0xcf800000, s2
	s_cvt_u32_f32 s57, s37
	s_wait_alu 0xfffe
	s_cvt_u32_f32 s56, s2
	s_delay_alu instid0(SALU_CYCLE_3) | instskip(NEXT) | instid1(SALU_CYCLE_1)
	s_mul_u64 s[62:63], s[58:59], s[56:57]
	s_mul_hi_u32 s67, s56, s63
	s_mul_i32 s66, s56, s63
	s_mul_hi_u32 s60, s56, s62
	s_mul_i32 s37, s57, s62
	s_add_nc_u64 s[60:61], s[60:61], s[66:67]
	s_mul_hi_u32 s2, s57, s62
	s_mul_hi_u32 s39, s57, s63
	s_wait_alu 0xfffe
	s_add_co_u32 s37, s60, s37
	s_add_co_ci_u32 s64, s61, s2
	s_mul_i32 s62, s57, s63
	s_add_co_ci_u32 s63, s39, 0
	s_delay_alu instid0(SALU_CYCLE_1)
	s_add_nc_u64 s[60:61], s[64:65], s[62:63]
	s_mov_b32 s63, s21
	s_add_co_u32 s56, s56, s60
	s_cselect_b32 s2, -1, 0
	s_wait_alu 0xfffe
	s_cmp_lg_u32 s2, 0
	s_add_co_ci_u32 s57, s57, s61
	s_mov_b32 s61, s21
	s_mul_u64 s[58:59], s[58:59], s[56:57]
	s_delay_alu instid0(SALU_CYCLE_1)
	s_mul_hi_u32 s65, s56, s59
	s_mul_i32 s64, s56, s59
	s_mul_hi_u32 s62, s56, s58
	s_mul_i32 s37, s57, s58
	s_add_nc_u64 s[62:63], s[62:63], s[64:65]
	s_mul_hi_u32 s2, s57, s58
	s_mul_hi_u32 s39, s57, s59
	s_wait_alu 0xfffe
	s_add_co_u32 s37, s62, s37
	s_add_co_ci_u32 s60, s63, s2
	s_mul_i32 s58, s57, s59
	s_add_co_ci_u32 s59, s39, 0
	s_delay_alu instid0(SALU_CYCLE_1) | instskip(NEXT) | instid1(SALU_CYCLE_1)
	s_add_nc_u64 s[58:59], s[60:61], s[58:59]
	s_add_co_u32 s2, s56, s58
	s_cselect_b32 s37, -1, 0
	s_wait_alu 0xfffe
	v_mul_hi_u32 v9, v5, s2
	s_cmp_lg_u32 s37, 0
	v_mad_co_u64_u32 v[15:16], null, v7, s2, 0
	s_add_co_ci_u32 s37, s57, s59
	s_wait_alu 0xfffe
	v_mad_co_u64_u32 v[13:14], null, v5, s37, 0
	v_mad_co_u64_u32 v[22:23], null, v7, s37, 0
	s_delay_alu instid0(VALU_DEP_2) | instskip(SKIP_1) | instid1(VALU_DEP_3)
	v_add_co_u32 v9, vcc_lo, v9, v13
	s_wait_alu 0xfffd
	v_add_co_ci_u32_e64 v11, null, 0, v14, vcc_lo
	s_delay_alu instid0(VALU_DEP_2) | instskip(SKIP_1) | instid1(VALU_DEP_2)
	v_add_co_u32 v9, vcc_lo, v9, v15
	s_wait_alu 0xfffd
	v_add_co_ci_u32_e32 v9, vcc_lo, v11, v16, vcc_lo
	s_wait_alu 0xfffd
	v_add_co_ci_u32_e32 v11, vcc_lo, 0, v23, vcc_lo
	s_delay_alu instid0(VALU_DEP_2) | instskip(SKIP_1) | instid1(VALU_DEP_2)
	v_add_co_u32 v9, vcc_lo, v9, v22
	s_wait_alu 0xfffd
	v_add_co_ci_u32_e64 v11, null, 0, v11, vcc_lo
	s_delay_alu instid0(VALU_DEP_2) | instskip(SKIP_1) | instid1(VALU_DEP_3)
	v_mul_lo_u32 v15, s41, v9
	v_mad_co_u64_u32 v[13:14], null, s40, v9, 0
	v_mul_lo_u32 v16, s40, v11
	s_delay_alu instid0(VALU_DEP_2) | instskip(NEXT) | instid1(VALU_DEP_2)
	v_sub_co_u32 v5, vcc_lo, v5, v13
	v_add3_u32 v14, v14, v16, v15
	s_delay_alu instid0(VALU_DEP_1) | instskip(SKIP_2) | instid1(VALU_DEP_2)
	v_sub_nc_u32_e32 v15, v7, v14
	s_wait_alu 0xfffd
	v_sub_co_ci_u32_e64 v7, null, v7, v14, vcc_lo
	v_subrev_co_ci_u32_e64 v13, null, s41, v15, vcc_lo
	v_add_co_u32 v15, s2, v9, 2
	s_wait_alu 0xf1ff
	v_add_co_ci_u32_e64 v16, null, 0, v11, s2
	v_sub_co_u32 v17, s2, v5, s40
	s_wait_alu 0xf1ff
	v_subrev_co_ci_u32_e64 v13, null, 0, v13, s2
	s_delay_alu instid0(VALU_DEP_2) | instskip(SKIP_2) | instid1(VALU_DEP_3)
	v_cmp_le_u32_e32 vcc_lo, s40, v17
	s_wait_alu 0xfffd
	v_cndmask_b32_e64 v14, 0, -1, vcc_lo
	v_cmp_le_u32_e32 vcc_lo, s41, v13
	s_wait_alu 0xfffd
	v_cndmask_b32_e64 v17, 0, -1, vcc_lo
	;; [unrolled: 3-line block ×4, first 2 shown]
	v_cmp_eq_u32_e32 vcc_lo, s41, v13
	s_wait_alu 0xfffd
	v_cndmask_b32_e32 v13, v17, v14, vcc_lo
	v_add_co_u32 v14, vcc_lo, v9, 1
	s_wait_alu 0xfffd
	v_add_co_ci_u32_e64 v17, null, 0, v11, vcc_lo
	v_cmp_eq_u32_e32 vcc_lo, s41, v7
	s_wait_alu 0xfffd
	v_cndmask_b32_e32 v5, v22, v5, vcc_lo
	v_cmp_ne_u32_e32 vcc_lo, 0, v13
	s_delay_alu instid0(VALU_DEP_2) | instskip(SKIP_4) | instid1(VALU_DEP_2)
	v_cmp_ne_u32_e64 s2, 0, v5
	s_wait_alu 0xfffd
	v_cndmask_b32_e32 v5, v14, v15, vcc_lo
	v_cndmask_b32_e32 v7, v17, v16, vcc_lo
	s_wait_alu 0xf1ff
	v_cndmask_b32_e64 v5, v9, v5, s2
	s_delay_alu instid0(VALU_DEP_2) | instskip(NEXT) | instid1(VALU_DEP_2)
	v_cndmask_b32_e64 v7, v11, v7, s2
	v_xor_b32_e32 v5, v5, v3
	s_delay_alu instid0(VALU_DEP_2) | instskip(NEXT) | instid1(VALU_DEP_2)
	v_xor_b32_e32 v7, v7, v3
	v_sub_co_u32 v14, vcc_lo, v5, v3
	s_wait_alu 0xfffd
	s_delay_alu instid0(VALU_DEP_2)
	v_sub_co_ci_u32_e64 v15, null, v7, v3, vcc_lo
.LBB97_30:                              ;   in Loop: Header=BB97_20 Depth=2
	s_wait_alu 0xfffe
	s_and_not1_saveexec_b32 s2, s42
	s_cbranch_execz .LBB97_32
; %bb.31:                               ;   in Loop: Header=BB97_20 Depth=2
	v_cvt_f32_u32_e32 v3, s36
	s_sub_co_i32 s37, 0, s36
	v_mov_b32_e32 v15, v2
	s_delay_alu instid0(VALU_DEP_2) | instskip(NEXT) | instid1(TRANS32_DEP_1)
	v_rcp_iflag_f32_e32 v3, v3
	v_mul_f32_e32 v3, 0x4f7ffffe, v3
	s_delay_alu instid0(VALU_DEP_1) | instskip(SKIP_1) | instid1(VALU_DEP_1)
	v_cvt_u32_f32_e32 v3, v3
	s_wait_alu 0xfffe
	v_mul_lo_u32 v5, s37, v3
	s_delay_alu instid0(VALU_DEP_1) | instskip(NEXT) | instid1(VALU_DEP_1)
	v_mul_hi_u32 v5, v3, v5
	v_add_nc_u32_e32 v3, v3, v5
	s_delay_alu instid0(VALU_DEP_1) | instskip(NEXT) | instid1(VALU_DEP_1)
	v_mul_hi_u32 v3, v12, v3
	v_mul_lo_u32 v5, v3, s36
	v_add_nc_u32_e32 v7, 1, v3
	s_delay_alu instid0(VALU_DEP_2) | instskip(NEXT) | instid1(VALU_DEP_1)
	v_sub_nc_u32_e32 v5, v12, v5
	v_cmp_le_u32_e32 vcc_lo, s36, v5
	v_subrev_nc_u32_e32 v9, s36, v5
	s_wait_alu 0xfffd
	v_cndmask_b32_e32 v3, v3, v7, vcc_lo
	s_delay_alu instid0(VALU_DEP_1) | instskip(NEXT) | instid1(VALU_DEP_3)
	v_add_nc_u32_e32 v7, 1, v3
	v_cndmask_b32_e32 v5, v5, v9, vcc_lo
	s_delay_alu instid0(VALU_DEP_1) | instskip(SKIP_1) | instid1(VALU_DEP_3)
	v_cmp_le_u32_e32 vcc_lo, s36, v5
	s_wait_alu 0xfffd
	v_cndmask_b32_e32 v14, v3, v7, vcc_lo
.LBB97_32:                              ;   in Loop: Header=BB97_20 Depth=2
	s_wait_alu 0xfffe
	s_or_b32 exec_lo, exec_lo, s2
	s_add_co_i32 s38, s20, -3
	s_mov_b32 s39, s21
	s_add_nc_u64 s[46:47], s[0:1], s[46:47]
	s_wait_alu 0xfffe
	s_lshl_b64 s[42:43], s[38:39], 2
                                        ; implicit-def: $vgpr16_vgpr17
	s_mov_b32 s2, exec_lo
	s_wait_alu 0xfffe
	s_add_nc_u64 s[40:41], s[12:13], s[42:43]
	s_clause 0x2
	s_load_b32 s38, s[40:41], 0x8
	s_load_b32 s37, s[44:45], 0x6c
	;; [unrolled: 1-line block ×3, first 2 shown]
	s_wait_kmcnt 0x0
	s_ashr_i32 s39, s38, 31
	s_wait_alu 0xfffe
	v_or_b32_e32 v3, s39, v15
	s_delay_alu instid0(VALU_DEP_1)
	v_cmpx_ne_u64_e32 0, v[2:3]
	s_xor_b32 s56, exec_lo, s2
	s_cbranch_execz .LBB97_34
; %bb.33:                               ;   in Loop: Header=BB97_20 Depth=2
	s_ashr_i32 s44, s39, 31
	s_mov_b32 s63, s21
	s_wait_alu 0xfffe
	s_mov_b32 s45, s44
	s_mov_b32 s67, s21
	s_wait_alu 0xfffe
	s_add_nc_u64 s[46:47], s[38:39], s[44:45]
	v_ashrrev_i32_e32 v3, 31, v15
	s_wait_alu 0xfffe
	s_xor_b64 s[46:47], s[46:47], s[44:45]
	s_wait_alu 0xfffe
	s_cvt_f32_u32 s2, s46
	s_cvt_f32_u32 s39, s47
	s_sub_nc_u64 s[60:61], 0, s[46:47]
	v_add_co_u32 v5, vcc_lo, v14, v3
	s_wait_alu 0xfffe
	s_fmamk_f32 s2, s39, 0x4f800000, s2
	s_wait_alu 0xfffd
	v_add_co_ci_u32_e64 v7, null, v15, v3, vcc_lo
	v_xor_b32_e32 v5, v5, v3
	s_wait_alu 0xfffe
	v_s_rcp_f32 s2, s2
	s_delay_alu instid0(VALU_DEP_2) | instskip(SKIP_1) | instid1(TRANS32_DEP_1)
	v_xor_b32_e32 v7, v7, v3
	v_xor_b32_e32 v3, s44, v3
	s_mul_f32 s2, s2, 0x5f7ffffc
	s_wait_alu 0xfffe
	s_delay_alu instid0(SALU_CYCLE_2) | instskip(SKIP_1) | instid1(SALU_CYCLE_2)
	s_mul_f32 s39, s2, 0x2f800000
	s_wait_alu 0xfffe
	s_trunc_f32 s39, s39
	s_wait_alu 0xfffe
	s_delay_alu instid0(SALU_CYCLE_2) | instskip(SKIP_2) | instid1(SALU_CYCLE_1)
	s_fmamk_f32 s2, s39, 0xcf800000, s2
	s_cvt_u32_f32 s59, s39
	s_wait_alu 0xfffe
	s_cvt_u32_f32 s58, s2
	s_delay_alu instid0(SALU_CYCLE_3) | instskip(NEXT) | instid1(SALU_CYCLE_1)
	s_mul_u64 s[64:65], s[60:61], s[58:59]
	s_mul_hi_u32 s69, s58, s65
	s_mul_i32 s68, s58, s65
	s_mul_hi_u32 s62, s58, s64
	s_mul_i32 s39, s59, s64
	s_add_nc_u64 s[62:63], s[62:63], s[68:69]
	s_mul_hi_u32 s2, s59, s64
	s_mul_hi_u32 s45, s59, s65
	s_wait_alu 0xfffe
	s_add_co_u32 s39, s62, s39
	s_add_co_ci_u32 s66, s63, s2
	s_mul_i32 s64, s59, s65
	s_add_co_ci_u32 s65, s45, 0
	s_delay_alu instid0(SALU_CYCLE_1)
	s_add_nc_u64 s[62:63], s[66:67], s[64:65]
	s_mov_b32 s65, s21
	s_add_co_u32 s58, s58, s62
	s_cselect_b32 s2, -1, 0
	s_wait_alu 0xfffe
	s_cmp_lg_u32 s2, 0
	s_add_co_ci_u32 s59, s59, s63
	s_mov_b32 s63, s21
	s_mul_u64 s[60:61], s[60:61], s[58:59]
	s_delay_alu instid0(SALU_CYCLE_1)
	s_mul_hi_u32 s67, s58, s61
	s_mul_i32 s66, s58, s61
	s_mul_hi_u32 s64, s58, s60
	s_mul_i32 s39, s59, s60
	s_add_nc_u64 s[64:65], s[64:65], s[66:67]
	s_mul_hi_u32 s2, s59, s60
	s_mul_hi_u32 s45, s59, s61
	s_wait_alu 0xfffe
	s_add_co_u32 s39, s64, s39
	s_add_co_ci_u32 s62, s65, s2
	s_mul_i32 s60, s59, s61
	s_add_co_ci_u32 s61, s45, 0
	s_delay_alu instid0(SALU_CYCLE_1) | instskip(NEXT) | instid1(SALU_CYCLE_1)
	s_add_nc_u64 s[60:61], s[62:63], s[60:61]
	s_add_co_u32 s2, s58, s60
	s_cselect_b32 s39, -1, 0
	s_wait_alu 0xfffe
	v_mul_hi_u32 v9, v5, s2
	s_cmp_lg_u32 s39, 0
	v_mad_co_u64_u32 v[22:23], null, v7, s2, 0
	s_add_co_ci_u32 s39, s59, s61
	s_wait_alu 0xfffe
	v_mad_co_u64_u32 v[15:16], null, v5, s39, 0
	v_mad_co_u64_u32 v[24:25], null, v7, s39, 0
	s_delay_alu instid0(VALU_DEP_2) | instskip(SKIP_1) | instid1(VALU_DEP_3)
	v_add_co_u32 v9, vcc_lo, v9, v15
	s_wait_alu 0xfffd
	v_add_co_ci_u32_e64 v11, null, 0, v16, vcc_lo
	s_delay_alu instid0(VALU_DEP_2) | instskip(SKIP_1) | instid1(VALU_DEP_2)
	v_add_co_u32 v9, vcc_lo, v9, v22
	s_wait_alu 0xfffd
	v_add_co_ci_u32_e32 v9, vcc_lo, v11, v23, vcc_lo
	s_wait_alu 0xfffd
	v_add_co_ci_u32_e32 v11, vcc_lo, 0, v25, vcc_lo
	s_delay_alu instid0(VALU_DEP_2) | instskip(SKIP_1) | instid1(VALU_DEP_2)
	v_add_co_u32 v9, vcc_lo, v9, v24
	s_wait_alu 0xfffd
	v_add_co_ci_u32_e64 v11, null, 0, v11, vcc_lo
	s_delay_alu instid0(VALU_DEP_2) | instskip(SKIP_1) | instid1(VALU_DEP_3)
	v_mul_lo_u32 v13, s47, v9
	v_mad_co_u64_u32 v[15:16], null, s46, v9, 0
	v_mul_lo_u32 v17, s46, v11
	s_delay_alu instid0(VALU_DEP_2) | instskip(NEXT) | instid1(VALU_DEP_2)
	v_sub_co_u32 v5, vcc_lo, v5, v15
	v_add3_u32 v13, v16, v17, v13
	s_delay_alu instid0(VALU_DEP_1) | instskip(SKIP_2) | instid1(VALU_DEP_2)
	v_sub_nc_u32_e32 v16, v7, v13
	s_wait_alu 0xfffd
	v_sub_co_ci_u32_e64 v7, null, v7, v13, vcc_lo
	v_subrev_co_ci_u32_e64 v15, null, s47, v16, vcc_lo
	v_add_co_u32 v16, s2, v9, 2
	s_wait_alu 0xf1ff
	v_add_co_ci_u32_e64 v17, null, 0, v11, s2
	v_sub_co_u32 v22, s2, v5, s46
	s_wait_alu 0xf1ff
	v_subrev_co_ci_u32_e64 v15, null, 0, v15, s2
	s_delay_alu instid0(VALU_DEP_2) | instskip(SKIP_2) | instid1(VALU_DEP_3)
	v_cmp_le_u32_e32 vcc_lo, s46, v22
	s_wait_alu 0xfffd
	v_cndmask_b32_e64 v13, 0, -1, vcc_lo
	v_cmp_le_u32_e32 vcc_lo, s47, v15
	s_wait_alu 0xfffd
	v_cndmask_b32_e64 v22, 0, -1, vcc_lo
	;; [unrolled: 3-line block ×4, first 2 shown]
	v_cmp_eq_u32_e32 vcc_lo, s47, v15
	s_wait_alu 0xfffd
	v_cndmask_b32_e32 v13, v22, v13, vcc_lo
	v_add_co_u32 v15, vcc_lo, v9, 1
	s_wait_alu 0xfffd
	v_add_co_ci_u32_e64 v22, null, 0, v11, vcc_lo
	v_cmp_eq_u32_e32 vcc_lo, s47, v7
	s_wait_alu 0xfffd
	v_cndmask_b32_e32 v5, v23, v5, vcc_lo
	v_cmp_ne_u32_e32 vcc_lo, 0, v13
	s_delay_alu instid0(VALU_DEP_2) | instskip(SKIP_4) | instid1(VALU_DEP_2)
	v_cmp_ne_u32_e64 s2, 0, v5
	s_wait_alu 0xfffd
	v_cndmask_b32_e32 v5, v15, v16, vcc_lo
	v_cndmask_b32_e32 v7, v22, v17, vcc_lo
	s_wait_alu 0xf1ff
	v_cndmask_b32_e64 v5, v9, v5, s2
	s_delay_alu instid0(VALU_DEP_2) | instskip(NEXT) | instid1(VALU_DEP_2)
	v_cndmask_b32_e64 v7, v11, v7, s2
	v_xor_b32_e32 v5, v5, v3
	s_delay_alu instid0(VALU_DEP_2) | instskip(NEXT) | instid1(VALU_DEP_2)
	v_xor_b32_e32 v7, v7, v3
	v_sub_co_u32 v16, vcc_lo, v5, v3
	s_wait_alu 0xfffd
	s_delay_alu instid0(VALU_DEP_2)
	v_sub_co_ci_u32_e64 v17, null, v7, v3, vcc_lo
.LBB97_34:                              ;   in Loop: Header=BB97_20 Depth=2
	s_and_not1_saveexec_b32 s2, s56
	s_cbranch_execz .LBB97_36
; %bb.35:                               ;   in Loop: Header=BB97_20 Depth=2
	v_cvt_f32_u32_e32 v3, s38
	s_sub_co_i32 s39, 0, s38
	v_mov_b32_e32 v17, v2
	s_delay_alu instid0(VALU_DEP_2) | instskip(NEXT) | instid1(TRANS32_DEP_1)
	v_rcp_iflag_f32_e32 v3, v3
	v_mul_f32_e32 v3, 0x4f7ffffe, v3
	s_delay_alu instid0(VALU_DEP_1) | instskip(SKIP_1) | instid1(VALU_DEP_1)
	v_cvt_u32_f32_e32 v3, v3
	s_wait_alu 0xfffe
	v_mul_lo_u32 v5, s39, v3
	s_delay_alu instid0(VALU_DEP_1) | instskip(NEXT) | instid1(VALU_DEP_1)
	v_mul_hi_u32 v5, v3, v5
	v_add_nc_u32_e32 v3, v3, v5
	s_delay_alu instid0(VALU_DEP_1) | instskip(NEXT) | instid1(VALU_DEP_1)
	v_mul_hi_u32 v3, v14, v3
	v_mul_lo_u32 v5, v3, s38
	v_add_nc_u32_e32 v7, 1, v3
	s_delay_alu instid0(VALU_DEP_2) | instskip(NEXT) | instid1(VALU_DEP_1)
	v_sub_nc_u32_e32 v5, v14, v5
	v_cmp_le_u32_e32 vcc_lo, s38, v5
	v_subrev_nc_u32_e32 v9, s38, v5
	s_wait_alu 0xfffd
	v_cndmask_b32_e32 v3, v3, v7, vcc_lo
	s_delay_alu instid0(VALU_DEP_1) | instskip(NEXT) | instid1(VALU_DEP_3)
	v_add_nc_u32_e32 v7, 1, v3
	v_cndmask_b32_e32 v5, v5, v9, vcc_lo
	s_delay_alu instid0(VALU_DEP_1) | instskip(SKIP_1) | instid1(VALU_DEP_3)
	v_cmp_le_u32_e32 vcc_lo, s38, v5
	s_wait_alu 0xfffd
	v_cndmask_b32_e32 v16, v3, v7, vcc_lo
.LBB97_36:                              ;   in Loop: Header=BB97_20 Depth=2
	s_wait_alu 0xfffe
	s_or_b32 exec_lo, exec_lo, s2
	s_add_nc_u64 s[42:43], s[0:1], s[42:43]
	v_mul_lo_u32 v3, v10, s30
	s_clause 0x1
	s_load_b32 s2, s[40:41], 0x6c
	s_load_b32 s30, s[42:43], 0x6c
	v_mul_lo_u32 v5, v12, s34
	v_mul_lo_u32 v7, v14, s36
	;; [unrolled: 1-line block ×3, first 2 shown]
	s_add_co_i32 s20, s20, -4
	s_wait_alu 0xfffe
	s_cmp_eq_u32 s20, -1
	v_sub_nc_u32_e32 v3, v8, v3
	s_delay_alu instid0(VALU_DEP_4) | instskip(NEXT) | instid1(VALU_DEP_4)
	v_sub_nc_u32_e32 v5, v10, v5
	v_sub_nc_u32_e32 v7, v12, v7
	s_delay_alu instid0(VALU_DEP_4) | instskip(NEXT) | instid1(VALU_DEP_4)
	v_sub_nc_u32_e32 v8, v14, v9
	v_mul_lo_u32 v9, s29, v3
	v_mul_lo_u32 v3, s31, v3
	v_mul_lo_u32 v10, s35, v5
	v_mul_lo_u32 v5, s54, v5
	v_mul_lo_u32 v11, s37, v7
	v_mul_lo_u32 v7, s55, v7
	s_wait_kmcnt 0x0
	v_mul_lo_u32 v12, s2, v8
	v_mul_lo_u32 v8, s30, v8
	v_add3_u32 v6, v9, v6, v10
	v_add3_u32 v3, v3, v4, v5
	s_delay_alu instid0(VALU_DEP_2) | instskip(NEXT) | instid1(VALU_DEP_2)
	v_add3_u32 v6, v11, v6, v12
	v_add3_u32 v4, v7, v3, v8
	s_cbranch_scc1 .LBB97_38
; %bb.37:                               ;   in Loop: Header=BB97_20 Depth=2
	v_dual_mov_b32 v8, v16 :: v_dual_mov_b32 v9, v17
	s_branch .LBB97_20
.LBB97_38:                              ;   in Loop: Header=BB97_3 Depth=1
	v_sub_nc_u32_e32 v5, v20, v21
	v_dual_mov_b32 v3, 0 :: v_dual_mov_b32 v12, 0
	s_delay_alu instid0(VALU_DEP_2) | instskip(NEXT) | instid1(VALU_DEP_1)
	v_add_nc_u32_e32 v7, 4, v5
	v_ashrrev_i32_e32 v8, 31, v7
	s_delay_alu instid0(VALU_DEP_1)
	v_cmp_le_i64_e32 vcc_lo, s[4:5], v[7:8]
	v_dual_mov_b32 v8, 0 :: v_dual_mov_b32 v7, 0
	s_and_saveexec_b32 s2, vcc_lo
	s_cbranch_execz .LBB97_48
; %bb.39:                               ;   in Loop: Header=BB97_3 Depth=1
	v_dual_mov_b32 v11, 0 :: v_dual_mov_b32 v10, 0
	v_mov_b32_e32 v9, 0
	v_mov_b32_e32 v3, 0
	s_mov_b32 s20, exec_lo
	v_cmpx_gt_i32_e64 s3, v20
	s_cbranch_execz .LBB97_47
; %bb.40:                               ;   in Loop: Header=BB97_3 Depth=1
	v_ashrrev_i32_e32 v7, 31, v6
	v_dual_mov_b32 v10, 0 :: v_dual_add_nc_u32 v9, 1, v20
	v_mov_b32_e32 v11, 0
	s_delay_alu instid0(VALU_DEP_3) | instskip(NEXT) | instid1(VALU_DEP_1)
	v_lshlrev_b64_e32 v[7:8], 1, v[6:7]
	v_add_co_u32 v7, vcc_lo, s10, v7
	s_wait_alu 0xfffd
	s_delay_alu instid0(VALU_DEP_2)
	v_add_co_ci_u32_e64 v8, null, s11, v8, vcc_lo
	v_cmp_gt_i32_e32 vcc_lo, s3, v9
	v_mov_b32_e32 v9, 0
	global_load_u16 v3, v[7:8], off
	s_and_saveexec_b32 s29, vcc_lo
	s_wait_alu 0xfffe
	s_xor_b32 s29, exec_lo, s29
	s_cbranch_execz .LBB97_46
; %bb.41:                               ;   in Loop: Header=BB97_3 Depth=1
	s_lshl_b64 s[30:31], s[24:25], 1
	v_mov_b32_e32 v11, 0
	s_wait_alu 0xfffe
	v_add_co_u32 v7, vcc_lo, v7, s30
	s_wait_alu 0xfffd
	v_add_co_ci_u32_e64 v8, null, s31, v8, vcc_lo
	s_mov_b32 s30, exec_lo
	v_mov_b32_e32 v10, 0
	global_load_u16 v9, v[7:8], off
	v_add_nc_u32_e32 v7, 2, v20
	s_delay_alu instid0(VALU_DEP_1)
	v_cmpx_gt_i32_e64 s3, v7
	s_wait_alu 0xfffe
	s_xor_b32 s30, exec_lo, s30
	s_cbranch_execz .LBB97_45
; %bb.42:                               ;   in Loop: Header=BB97_3 Depth=1
	v_dual_mov_b32 v11, 0 :: v_dual_add_nc_u32 v6, s15, v6
	s_mov_b32 s31, exec_lo
	s_delay_alu instid0(VALU_DEP_1) | instskip(NEXT) | instid1(VALU_DEP_1)
	v_ashrrev_i32_e32 v7, 31, v6
	v_lshlrev_b64_e32 v[7:8], 1, v[6:7]
	s_delay_alu instid0(VALU_DEP_1) | instskip(SKIP_1) | instid1(VALU_DEP_2)
	v_add_co_u32 v7, vcc_lo, s10, v7
	s_wait_alu 0xfffd
	v_add_co_ci_u32_e64 v8, null, s11, v8, vcc_lo
	global_load_u16 v10, v[7:8], off
	v_add_nc_u32_e32 v7, 3, v20
	s_delay_alu instid0(VALU_DEP_1)
	v_cmpx_gt_i32_e64 s3, v7
	s_wait_alu 0xfffe
	s_xor_b32 s31, exec_lo, s31
	s_cbranch_execz .LBB97_44
; %bb.43:                               ;   in Loop: Header=BB97_3 Depth=1
	v_add_nc_u32_e32 v6, s24, v6
	s_delay_alu instid0(VALU_DEP_1) | instskip(NEXT) | instid1(VALU_DEP_1)
	v_ashrrev_i32_e32 v7, 31, v6
	v_lshlrev_b64_e32 v[6:7], 1, v[6:7]
	s_delay_alu instid0(VALU_DEP_1) | instskip(SKIP_1) | instid1(VALU_DEP_2)
	v_add_co_u32 v6, vcc_lo, s10, v6
	s_wait_alu 0xfffd
	v_add_co_ci_u32_e64 v7, null, s11, v7, vcc_lo
	global_load_u16 v11, v[6:7], off
.LBB97_44:                              ;   in Loop: Header=BB97_3 Depth=1
	s_wait_alu 0xfffe
	s_or_b32 exec_lo, exec_lo, s31
.LBB97_45:                              ;   in Loop: Header=BB97_3 Depth=1
	s_wait_alu 0xfffe
	s_or_b32 exec_lo, exec_lo, s30
.LBB97_46:                              ;   in Loop: Header=BB97_3 Depth=1
	s_wait_alu 0xfffe
	s_or_b32 exec_lo, exec_lo, s29
.LBB97_47:                              ;   in Loop: Header=BB97_3 Depth=1
	s_wait_alu 0xfffe
	s_or_b32 exec_lo, exec_lo, s20
	v_ashrrev_i32_e32 v6, 31, v5
	v_add_nc_u32_e32 v13, 2, v5
	v_add_nc_u32_e32 v15, 3, v5
	s_delay_alu instid0(VALU_DEP_3) | instskip(SKIP_1) | instid1(VALU_DEP_4)
	v_cmp_le_i64_e32 vcc_lo, s[4:5], v[5:6]
	v_add_nc_u32_e32 v7, 1, v5
	v_ashrrev_i32_e32 v14, 31, v13
	s_delay_alu instid0(VALU_DEP_4) | instskip(SKIP_4) | instid1(VALU_DEP_1)
	v_ashrrev_i32_e32 v16, 31, v15
	s_wait_loadcnt 0x0
	s_wait_alu 0xfffd
	v_cndmask_b32_e32 v12, 0, v3, vcc_lo
	v_ashrrev_i32_e32 v8, 31, v7
	v_cmp_le_i64_e32 vcc_lo, s[4:5], v[7:8]
	s_wait_alu 0xfffd
	v_cndmask_b32_e32 v3, 0, v9, vcc_lo
	v_cmp_le_i64_e32 vcc_lo, s[4:5], v[13:14]
	s_wait_alu 0xfffd
	v_cndmask_b32_e32 v8, 0, v10, vcc_lo
	;; [unrolled: 3-line block ×3, first 2 shown]
.LBB97_48:                              ;   in Loop: Header=BB97_3 Depth=1
	s_wait_alu 0xfffe
	s_or_b32 exec_lo, exec_lo, s2
	s_delay_alu instid0(SALU_CYCLE_1)
	s_mov_b32 s2, exec_lo
	v_cmpx_gt_i32_e64 s3, v20
	s_cbranch_execz .LBB97_2
; %bb.49:                               ;   in Loop: Header=BB97_3 Depth=1
	v_ashrrev_i32_e32 v5, 31, v4
	v_add_nc_u32_e32 v9, 1, v20
	s_mov_b32 s20, exec_lo
	s_delay_alu instid0(VALU_DEP_2) | instskip(NEXT) | instid1(VALU_DEP_1)
	v_lshlrev_b64_e32 v[5:6], 1, v[4:5]
	v_add_co_u32 v5, vcc_lo, s18, v5
	s_wait_alu 0xfffd
	s_delay_alu instid0(VALU_DEP_2)
	v_add_co_ci_u32_e64 v6, null, s19, v6, vcc_lo
	global_store_b16 v[5:6], v12, off
	v_cmpx_gt_i32_e64 s3, v9
	s_wait_alu 0xfffe
	s_xor_b32 s20, exec_lo, s20
	s_cbranch_execz .LBB97_2
; %bb.50:                               ;   in Loop: Header=BB97_3 Depth=1
	s_lshl_b64 s[30:31], s[26:27], 1
	v_add_nc_u32_e32 v9, 2, v20
	s_wait_alu 0xfffe
	v_add_co_u32 v5, vcc_lo, v5, s30
	s_wait_alu 0xfffd
	v_add_co_ci_u32_e64 v6, null, s31, v6, vcc_lo
	s_mov_b32 s20, exec_lo
	global_store_b16 v[5:6], v3, off
	v_cmpx_gt_i32_e64 s3, v9
	s_wait_alu 0xfffe
	s_xor_b32 s20, exec_lo, s20
	s_cbranch_execz .LBB97_2
; %bb.51:                               ;   in Loop: Header=BB97_3 Depth=1
	v_add_nc_u32_e32 v3, s17, v4
	v_add_nc_u32_e32 v6, 3, v20
	s_mov_b32 s20, exec_lo
	s_delay_alu instid0(VALU_DEP_2) | instskip(NEXT) | instid1(VALU_DEP_1)
	v_ashrrev_i32_e32 v4, 31, v3
	v_lshlrev_b64_e32 v[4:5], 1, v[3:4]
	s_delay_alu instid0(VALU_DEP_1) | instskip(SKIP_1) | instid1(VALU_DEP_2)
	v_add_co_u32 v4, vcc_lo, s18, v4
	s_wait_alu 0xfffd
	v_add_co_ci_u32_e64 v5, null, s19, v5, vcc_lo
	global_store_b16 v[4:5], v8, off
	v_cmpx_gt_i32_e64 s3, v6
	s_wait_alu 0xfffe
	s_xor_b32 s20, exec_lo, s20
	s_cbranch_execz .LBB97_2
; %bb.52:                               ;   in Loop: Header=BB97_3 Depth=1
	v_add_nc_u32_e32 v3, s26, v3
	s_delay_alu instid0(VALU_DEP_1) | instskip(NEXT) | instid1(VALU_DEP_1)
	v_ashrrev_i32_e32 v4, 31, v3
	v_lshlrev_b64_e32 v[3:4], 1, v[3:4]
	s_delay_alu instid0(VALU_DEP_1) | instskip(SKIP_1) | instid1(VALU_DEP_2)
	v_add_co_u32 v3, vcc_lo, s18, v3
	s_wait_alu 0xfffd
	v_add_co_ci_u32_e64 v4, null, s19, v4, vcc_lo
	global_store_b16 v[3:4], v7, off
	s_branch .LBB97_2
.LBB97_53:
	s_endpgm
	.section	.rodata,"a",@progbits
	.p2align	6, 0x0
	.amdhsa_kernel _ZN2at6native16triu_tril_kernelIN3c108BFloat16EiLb1ELi4ELb0EEEvNS_4cuda6detail10TensorInfoIT_T0_EENS6_IKS7_S8_EEllS8_
		.amdhsa_group_segment_fixed_size 0
		.amdhsa_private_segment_fixed_size 0
		.amdhsa_kernarg_size 712
		.amdhsa_user_sgpr_count 2
		.amdhsa_user_sgpr_dispatch_ptr 0
		.amdhsa_user_sgpr_queue_ptr 0
		.amdhsa_user_sgpr_kernarg_segment_ptr 1
		.amdhsa_user_sgpr_dispatch_id 0
		.amdhsa_user_sgpr_private_segment_size 0
		.amdhsa_wavefront_size32 1
		.amdhsa_uses_dynamic_stack 0
		.amdhsa_enable_private_segment 0
		.amdhsa_system_sgpr_workgroup_id_x 1
		.amdhsa_system_sgpr_workgroup_id_y 0
		.amdhsa_system_sgpr_workgroup_id_z 0
		.amdhsa_system_sgpr_workgroup_info 0
		.amdhsa_system_vgpr_workitem_id 0
		.amdhsa_next_free_vgpr 26
		.amdhsa_next_free_sgpr 70
		.amdhsa_reserve_vcc 1
		.amdhsa_float_round_mode_32 0
		.amdhsa_float_round_mode_16_64 0
		.amdhsa_float_denorm_mode_32 3
		.amdhsa_float_denorm_mode_16_64 3
		.amdhsa_fp16_overflow 0
		.amdhsa_workgroup_processor_mode 1
		.amdhsa_memory_ordered 1
		.amdhsa_forward_progress 1
		.amdhsa_inst_pref_size 68
		.amdhsa_round_robin_scheduling 0
		.amdhsa_exception_fp_ieee_invalid_op 0
		.amdhsa_exception_fp_denorm_src 0
		.amdhsa_exception_fp_ieee_div_zero 0
		.amdhsa_exception_fp_ieee_overflow 0
		.amdhsa_exception_fp_ieee_underflow 0
		.amdhsa_exception_fp_ieee_inexact 0
		.amdhsa_exception_int_div_zero 0
	.end_amdhsa_kernel
	.section	.text._ZN2at6native16triu_tril_kernelIN3c108BFloat16EiLb1ELi4ELb0EEEvNS_4cuda6detail10TensorInfoIT_T0_EENS6_IKS7_S8_EEllS8_,"axG",@progbits,_ZN2at6native16triu_tril_kernelIN3c108BFloat16EiLb1ELi4ELb0EEEvNS_4cuda6detail10TensorInfoIT_T0_EENS6_IKS7_S8_EEllS8_,comdat
.Lfunc_end97:
	.size	_ZN2at6native16triu_tril_kernelIN3c108BFloat16EiLb1ELi4ELb0EEEvNS_4cuda6detail10TensorInfoIT_T0_EENS6_IKS7_S8_EEllS8_, .Lfunc_end97-_ZN2at6native16triu_tril_kernelIN3c108BFloat16EiLb1ELi4ELb0EEEvNS_4cuda6detail10TensorInfoIT_T0_EENS6_IKS7_S8_EEllS8_
                                        ; -- End function
	.set _ZN2at6native16triu_tril_kernelIN3c108BFloat16EiLb1ELi4ELb0EEEvNS_4cuda6detail10TensorInfoIT_T0_EENS6_IKS7_S8_EEllS8_.num_vgpr, 26
	.set _ZN2at6native16triu_tril_kernelIN3c108BFloat16EiLb1ELi4ELb0EEEvNS_4cuda6detail10TensorInfoIT_T0_EENS6_IKS7_S8_EEllS8_.num_agpr, 0
	.set _ZN2at6native16triu_tril_kernelIN3c108BFloat16EiLb1ELi4ELb0EEEvNS_4cuda6detail10TensorInfoIT_T0_EENS6_IKS7_S8_EEllS8_.numbered_sgpr, 70
	.set _ZN2at6native16triu_tril_kernelIN3c108BFloat16EiLb1ELi4ELb0EEEvNS_4cuda6detail10TensorInfoIT_T0_EENS6_IKS7_S8_EEllS8_.num_named_barrier, 0
	.set _ZN2at6native16triu_tril_kernelIN3c108BFloat16EiLb1ELi4ELb0EEEvNS_4cuda6detail10TensorInfoIT_T0_EENS6_IKS7_S8_EEllS8_.private_seg_size, 0
	.set _ZN2at6native16triu_tril_kernelIN3c108BFloat16EiLb1ELi4ELb0EEEvNS_4cuda6detail10TensorInfoIT_T0_EENS6_IKS7_S8_EEllS8_.uses_vcc, 1
	.set _ZN2at6native16triu_tril_kernelIN3c108BFloat16EiLb1ELi4ELb0EEEvNS_4cuda6detail10TensorInfoIT_T0_EENS6_IKS7_S8_EEllS8_.uses_flat_scratch, 0
	.set _ZN2at6native16triu_tril_kernelIN3c108BFloat16EiLb1ELi4ELb0EEEvNS_4cuda6detail10TensorInfoIT_T0_EENS6_IKS7_S8_EEllS8_.has_dyn_sized_stack, 0
	.set _ZN2at6native16triu_tril_kernelIN3c108BFloat16EiLb1ELi4ELb0EEEvNS_4cuda6detail10TensorInfoIT_T0_EENS6_IKS7_S8_EEllS8_.has_recursion, 0
	.set _ZN2at6native16triu_tril_kernelIN3c108BFloat16EiLb1ELi4ELb0EEEvNS_4cuda6detail10TensorInfoIT_T0_EENS6_IKS7_S8_EEllS8_.has_indirect_call, 0
	.section	.AMDGPU.csdata,"",@progbits
; Kernel info:
; codeLenInByte = 8700
; TotalNumSgprs: 72
; NumVgprs: 26
; ScratchSize: 0
; MemoryBound: 0
; FloatMode: 240
; IeeeMode: 1
; LDSByteSize: 0 bytes/workgroup (compile time only)
; SGPRBlocks: 0
; VGPRBlocks: 3
; NumSGPRsForWavesPerEU: 72
; NumVGPRsForWavesPerEU: 26
; Occupancy: 16
; WaveLimiterHint : 1
; COMPUTE_PGM_RSRC2:SCRATCH_EN: 0
; COMPUTE_PGM_RSRC2:USER_SGPR: 2
; COMPUTE_PGM_RSRC2:TRAP_HANDLER: 0
; COMPUTE_PGM_RSRC2:TGID_X_EN: 1
; COMPUTE_PGM_RSRC2:TGID_Y_EN: 0
; COMPUTE_PGM_RSRC2:TGID_Z_EN: 0
; COMPUTE_PGM_RSRC2:TIDIG_COMP_CNT: 0
	.section	.text._ZN2at6native16triu_tril_kernelIN3c108BFloat16ElLb1ELi4ELb1EEEvNS_4cuda6detail10TensorInfoIT_T0_EENS6_IKS7_S8_EEllS8_,"axG",@progbits,_ZN2at6native16triu_tril_kernelIN3c108BFloat16ElLb1ELi4ELb1EEEvNS_4cuda6detail10TensorInfoIT_T0_EENS6_IKS7_S8_EEllS8_,comdat
	.protected	_ZN2at6native16triu_tril_kernelIN3c108BFloat16ElLb1ELi4ELb1EEEvNS_4cuda6detail10TensorInfoIT_T0_EENS6_IKS7_S8_EEllS8_ ; -- Begin function _ZN2at6native16triu_tril_kernelIN3c108BFloat16ElLb1ELi4ELb1EEEvNS_4cuda6detail10TensorInfoIT_T0_EENS6_IKS7_S8_EEllS8_
	.globl	_ZN2at6native16triu_tril_kernelIN3c108BFloat16ElLb1ELi4ELb1EEEvNS_4cuda6detail10TensorInfoIT_T0_EENS6_IKS7_S8_EEllS8_
	.p2align	8
	.type	_ZN2at6native16triu_tril_kernelIN3c108BFloat16ElLb1ELi4ELb1EEEvNS_4cuda6detail10TensorInfoIT_T0_EENS6_IKS7_S8_EEllS8_,@function
_ZN2at6native16triu_tril_kernelIN3c108BFloat16ElLb1ELi4ELb1EEEvNS_4cuda6detail10TensorInfoIT_T0_EENS6_IKS7_S8_EEllS8_: ; @_ZN2at6native16triu_tril_kernelIN3c108BFloat16ElLb1ELi4ELb1EEEvNS_4cuda6detail10TensorInfoIT_T0_EENS6_IKS7_S8_EEllS8_
; %bb.0:
	s_clause 0x1
	s_load_b32 s2, s[0:1], 0x364
	s_load_b128 s[4:7], s[0:1], 0x340
	v_mov_b32_e32 v2, 0
	s_mov_b32 s3, exec_lo
	s_delay_alu instid0(VALU_DEP_1)
	v_mov_b32_e32 v1, v2
	s_wait_kmcnt 0x0
	s_and_b32 s2, s2, 0xffff
	s_delay_alu instid0(VALU_DEP_1) | instid1(SALU_CYCLE_1)
	v_mad_co_u64_u32 v[0:1], null, s2, ttmp9, v[0:1]
	s_delay_alu instid0(VALU_DEP_1) | instskip(NEXT) | instid1(VALU_DEP_1)
	v_lshlrev_b64_e32 v[0:1], 2, v[0:1]
	v_cmpx_gt_i64_e64 s[6:7], v[0:1]
	s_cbranch_execz .LBB98_47
; %bb.1:
	s_load_b32 s22, s[0:1], 0x338
	s_add_nc_u64 s[12:13], s[0:1], 0x358
	s_clause 0x1
	s_load_b64 s[8:9], s[0:1], 0x350
	s_load_b64 s[10:11], s[0:1], 0x0
	s_add_nc_u64 s[28:29], s[0:1], 0x1a0
	s_load_b32 s3, s[12:13], 0x0
	s_movk_i32 s18, 0xffe0
	s_add_nc_u64 s[16:17], s[0:1], 0xb8
	s_mov_b32 s19, -1
	s_add_nc_u64 s[34:35], s[0:1], 0x190
	s_mov_b32 s65, 0
	s_wait_kmcnt 0x0
	s_add_co_i32 s14, s22, -2
	v_cvt_f32_u32_e32 v3, s8
	s_ashr_i32 s15, s14, 31
	s_add_co_i32 s20, s22, -3
	s_lshl_b64 s[12:13], s[14:15], 3
	s_ashr_i32 s23, s22, 31
	s_add_nc_u64 s[12:13], s[28:29], s[12:13]
	v_rcp_iflag_f32_e32 v3, v3
	s_load_b64 s[12:13], s[12:13], 0x8
	s_mul_i32 s24, s3, s2
	s_and_b32 s25, s20, 3
	s_lshl_b64 s[2:3], s[22:23], 3
	s_ashr_i32 s21, s20, 31
	s_and_b32 s14, s14, 3
	s_lshl_b32 s62, s24, 2
	s_cmp_lg_u32 s25, 3
	v_cmp_gt_i64_e64 s33, s[22:23], 2
	s_cselect_b32 s63, -1, 0
	s_cmp_gt_u32 s20, 2
	s_wait_alu 0xfffe
	s_add_nc_u64 s[22:23], s[0:1], s[2:3]
	s_add_nc_u64 s[24:25], s[28:29], s[2:3]
	s_cselect_b32 s64, -1, 0
	s_lshl_b64 s[2:3], s[20:21], 3
	s_mov_b32 s15, 0
	s_wait_alu 0xfffe
	s_add_nc_u64 s[30:31], s[0:1], s[2:3]
	s_add_nc_u64 s[2:3], s[28:29], s[2:3]
	s_mov_b64 s[26:27], s[14:15]
	s_add_nc_u64 s[28:29], s[30:31], 0xd0
	s_wait_kmcnt 0x0
	v_cvt_f32_u32_e32 v4, s12
	s_wait_alu 0xfffe
	s_add_nc_u64 s[30:31], s[2:3], 8
	s_ashr_i32 s36, s9, 31
	s_delay_alu instid0(VALU_DEP_1) | instskip(NEXT) | instid1(TRANS32_DEP_1)
	v_rcp_iflag_f32_e32 v4, v4
	v_dual_mul_f32 v3, 0x4f7ffffe, v3 :: v_dual_mul_f32 v4, 0x4f7ffffe, v4
	s_delay_alu instid0(VALU_DEP_1) | instskip(NEXT) | instid1(VALU_DEP_2)
	v_cvt_u32_f32_e32 v18, v3
	v_cvt_u32_f32_e32 v19, v4
	s_branch .LBB98_3
.LBB98_2:                               ;   in Loop: Header=BB98_3 Depth=1
	s_wait_alu 0xfffe
	s_or_b32 exec_lo, exec_lo, s37
	v_add_co_u32 v0, vcc_lo, v0, s62
	s_wait_alu 0xfffd
	v_add_co_ci_u32_e64 v1, null, 0, v1, vcc_lo
	s_delay_alu instid0(VALU_DEP_1) | instskip(SKIP_1) | instid1(SALU_CYCLE_1)
	v_cmp_le_i64_e32 vcc_lo, s[6:7], v[0:1]
	s_or_b32 s65, vcc_lo, s65
	s_and_not1_b32 exec_lo, exec_lo, s65
	s_cbranch_execz .LBB98_47
.LBB98_3:                               ; =>This Loop Header: Depth=1
                                        ;     Child Loop BB98_17 Depth 2
                                        ;     Child Loop BB98_22 Depth 2
	v_or_b32_e32 v3, s9, v1
                                        ; implicit-def: $vgpr6_vgpr7
	s_mov_b32 s0, exec_lo
	s_delay_alu instid0(VALU_DEP_1)
	v_cmpx_ne_u64_e32 0, v[2:3]
	s_wait_alu 0xfffe
	s_xor_b32 s1, exec_lo, s0
	s_cbranch_execz .LBB98_5
; %bb.4:                                ;   in Loop: Header=BB98_3 Depth=1
	s_mov_b32 s37, s36
	v_ashrrev_i32_e32 v9, 31, v1
	s_wait_alu 0xfffe
	s_add_nc_u64 s[2:3], s[8:9], s[36:37]
	s_wait_alu 0xfffe
	s_xor_b64 s[2:3], s[2:3], s[36:37]
	v_add_co_u32 v3, vcc_lo, v0, v9
	s_wait_alu 0xfffe
	s_cvt_f32_u32 s0, s2
	s_cvt_f32_u32 s14, s3
	s_sub_nc_u64 s[40:41], 0, s[2:3]
	s_wait_alu 0xfffd
	v_add_co_ci_u32_e64 v4, null, v1, v9, vcc_lo
	s_wait_alu 0xfffe
	s_fmamk_f32 s0, s14, 0x4f800000, s0
	v_xor_b32_e32 v10, v3, v9
	s_delay_alu instid0(VALU_DEP_2) | instskip(SKIP_2) | instid1(TRANS32_DEP_1)
	v_xor_b32_e32 v11, v4, v9
	s_wait_alu 0xfffe
	v_s_rcp_f32 s0, s0
	s_mul_f32 s0, s0, 0x5f7ffffc
	s_wait_alu 0xfffe
	s_delay_alu instid0(SALU_CYCLE_2) | instskip(SKIP_1) | instid1(SALU_CYCLE_2)
	s_mul_f32 s14, s0, 0x2f800000
	s_wait_alu 0xfffe
	s_trunc_f32 s14, s14
	s_wait_alu 0xfffe
	s_delay_alu instid0(SALU_CYCLE_2) | instskip(SKIP_2) | instid1(SALU_CYCLE_1)
	s_fmamk_f32 s0, s14, 0xcf800000, s0
	s_cvt_u32_f32 s39, s14
	s_wait_alu 0xfffe
	s_cvt_u32_f32 s38, s0
	s_wait_alu 0xfffe
	s_delay_alu instid0(SALU_CYCLE_2) | instskip(NEXT) | instid1(SALU_CYCLE_1)
	s_mul_u64 s[42:43], s[40:41], s[38:39]
	s_mul_hi_u32 s45, s38, s43
	s_mul_i32 s44, s38, s43
	s_mul_hi_u32 s14, s38, s42
	s_mul_i32 s37, s39, s42
	s_wait_alu 0xfffe
	s_add_nc_u64 s[44:45], s[14:15], s[44:45]
	s_mul_hi_u32 s0, s39, s42
	s_mul_hi_u32 s46, s39, s43
	s_wait_alu 0xfffe
	s_add_co_u32 s14, s44, s37
	s_add_co_ci_u32 s14, s45, s0
	s_mul_i32 s42, s39, s43
	s_add_co_ci_u32 s43, s46, 0
	s_wait_alu 0xfffe
	s_add_nc_u64 s[42:43], s[14:15], s[42:43]
	s_delay_alu instid0(SALU_CYCLE_1)
	s_add_co_u32 s38, s38, s42
	s_cselect_b32 s0, -1, 0
	s_wait_alu 0xfffe
	s_cmp_lg_u32 s0, 0
	s_add_co_ci_u32 s39, s39, s43
	s_wait_alu 0xfffe
	s_mul_u64 s[40:41], s[40:41], s[38:39]
	s_delay_alu instid0(SALU_CYCLE_1)
	s_mul_hi_u32 s43, s38, s41
	s_mul_i32 s42, s38, s41
	s_mul_hi_u32 s14, s38, s40
	s_mul_i32 s37, s39, s40
	s_wait_alu 0xfffe
	s_add_nc_u64 s[42:43], s[14:15], s[42:43]
	s_mul_hi_u32 s0, s39, s40
	s_mul_hi_u32 s44, s39, s41
	s_add_co_u32 s14, s42, s37
	s_wait_alu 0xfffe
	s_add_co_ci_u32 s14, s43, s0
	s_mul_i32 s40, s39, s41
	s_add_co_ci_u32 s41, s44, 0
	s_wait_alu 0xfffe
	s_add_nc_u64 s[40:41], s[14:15], s[40:41]
	s_delay_alu instid0(SALU_CYCLE_1)
	s_add_co_u32 s0, s38, s40
	s_cselect_b32 s14, -1, 0
	s_wait_alu 0xfffe
	v_mul_hi_u32 v12, v10, s0
	s_cmp_lg_u32 s14, 0
	v_mad_co_u64_u32 v[5:6], null, v11, s0, 0
	s_add_co_ci_u32 s14, s39, s41
	s_wait_alu 0xfffe
	v_mad_co_u64_u32 v[3:4], null, v10, s14, 0
	v_mad_co_u64_u32 v[7:8], null, v11, s14, 0
	s_delay_alu instid0(VALU_DEP_2) | instskip(SKIP_1) | instid1(VALU_DEP_3)
	v_add_co_u32 v3, vcc_lo, v12, v3
	s_wait_alu 0xfffd
	v_add_co_ci_u32_e64 v4, null, 0, v4, vcc_lo
	s_delay_alu instid0(VALU_DEP_2) | instskip(SKIP_1) | instid1(VALU_DEP_2)
	v_add_co_u32 v3, vcc_lo, v3, v5
	s_wait_alu 0xfffd
	v_add_co_ci_u32_e32 v3, vcc_lo, v4, v6, vcc_lo
	s_wait_alu 0xfffd
	v_add_co_ci_u32_e32 v4, vcc_lo, 0, v8, vcc_lo
	s_delay_alu instid0(VALU_DEP_2) | instskip(SKIP_1) | instid1(VALU_DEP_2)
	v_add_co_u32 v5, vcc_lo, v3, v7
	s_wait_alu 0xfffd
	v_add_co_ci_u32_e64 v6, null, 0, v4, vcc_lo
	s_delay_alu instid0(VALU_DEP_2) | instskip(SKIP_1) | instid1(VALU_DEP_3)
	v_mul_lo_u32 v7, s3, v5
	v_mad_co_u64_u32 v[3:4], null, s2, v5, 0
	v_mul_lo_u32 v8, s2, v6
	s_delay_alu instid0(VALU_DEP_2) | instskip(NEXT) | instid1(VALU_DEP_2)
	v_sub_co_u32 v3, vcc_lo, v10, v3
	v_add3_u32 v4, v4, v8, v7
	v_add_co_u32 v8, s0, v5, 2
	s_wait_alu 0xf1ff
	v_add_co_ci_u32_e64 v10, null, 0, v6, s0
	s_delay_alu instid0(VALU_DEP_3) | instskip(SKIP_3) | instid1(VALU_DEP_3)
	v_sub_nc_u32_e32 v7, v11, v4
	v_sub_co_u32 v12, s0, v3, s2
	s_wait_alu 0xfffd
	v_sub_co_ci_u32_e64 v4, null, v11, v4, vcc_lo
	v_subrev_co_ci_u32_e64 v7, null, s3, v7, vcc_lo
	s_delay_alu instid0(VALU_DEP_3) | instskip(SKIP_1) | instid1(VALU_DEP_2)
	v_cmp_le_u32_e32 vcc_lo, s2, v12
	s_wait_alu 0xf1ff
	v_subrev_co_ci_u32_e64 v7, null, 0, v7, s0
	s_wait_alu 0xfffd
	v_cndmask_b32_e64 v11, 0, -1, vcc_lo
	s_delay_alu instid0(VALU_DEP_2)
	v_cmp_le_u32_e32 vcc_lo, s3, v7
	s_wait_alu 0xfffd
	v_cndmask_b32_e64 v12, 0, -1, vcc_lo
	v_cmp_le_u32_e32 vcc_lo, s2, v3
	s_wait_alu 0xfffd
	v_cndmask_b32_e64 v3, 0, -1, vcc_lo
	;; [unrolled: 3-line block ×3, first 2 shown]
	v_cmp_eq_u32_e32 vcc_lo, s3, v7
	s_wait_alu 0xfffd
	v_cndmask_b32_e32 v7, v12, v11, vcc_lo
	v_add_co_u32 v11, vcc_lo, v5, 1
	s_wait_alu 0xfffd
	v_add_co_ci_u32_e64 v12, null, 0, v6, vcc_lo
	v_cmp_eq_u32_e32 vcc_lo, s3, v4
	s_wait_alu 0xfffd
	v_cndmask_b32_e32 v3, v13, v3, vcc_lo
	v_cmp_ne_u32_e32 vcc_lo, 0, v7
	v_xor_b32_e32 v7, s36, v9
	s_wait_alu 0xfffd
	v_cndmask_b32_e32 v4, v12, v10, vcc_lo
	v_cmp_ne_u32_e64 s0, 0, v3
	v_cndmask_b32_e32 v3, v11, v8, vcc_lo
	s_wait_alu 0xf1ff
	s_delay_alu instid0(VALU_DEP_2) | instskip(NEXT) | instid1(VALU_DEP_2)
	v_cndmask_b32_e64 v4, v6, v4, s0
	v_cndmask_b32_e64 v3, v5, v3, s0
	s_delay_alu instid0(VALU_DEP_2) | instskip(NEXT) | instid1(VALU_DEP_2)
	v_xor_b32_e32 v4, v4, v7
	v_xor_b32_e32 v3, v3, v7
	s_delay_alu instid0(VALU_DEP_1) | instskip(SKIP_1) | instid1(VALU_DEP_3)
	v_sub_co_u32 v6, vcc_lo, v3, v7
	s_wait_alu 0xfffd
	v_sub_co_ci_u32_e64 v7, null, v4, v7, vcc_lo
.LBB98_5:                               ;   in Loop: Header=BB98_3 Depth=1
	s_wait_alu 0xfffe
	s_and_not1_saveexec_b32 s0, s1
	s_cbranch_execz .LBB98_7
; %bb.6:                                ;   in Loop: Header=BB98_3 Depth=1
	s_sub_co_i32 s1, 0, s8
	v_mov_b32_e32 v7, v2
	s_wait_alu 0xfffe
	v_mul_lo_u32 v3, s1, v18
	s_delay_alu instid0(VALU_DEP_1) | instskip(NEXT) | instid1(VALU_DEP_1)
	v_mul_hi_u32 v3, v18, v3
	v_add_nc_u32_e32 v3, v18, v3
	s_delay_alu instid0(VALU_DEP_1) | instskip(NEXT) | instid1(VALU_DEP_1)
	v_mul_hi_u32 v3, v0, v3
	v_mul_lo_u32 v4, v3, s8
	v_add_nc_u32_e32 v5, 1, v3
	s_delay_alu instid0(VALU_DEP_2) | instskip(NEXT) | instid1(VALU_DEP_1)
	v_sub_nc_u32_e32 v4, v0, v4
	v_subrev_nc_u32_e32 v6, s8, v4
	v_cmp_le_u32_e32 vcc_lo, s8, v4
	s_wait_alu 0xfffd
	s_delay_alu instid0(VALU_DEP_2) | instskip(NEXT) | instid1(VALU_DEP_1)
	v_dual_cndmask_b32 v4, v4, v6 :: v_dual_cndmask_b32 v3, v3, v5
	v_cmp_le_u32_e32 vcc_lo, s8, v4
	s_delay_alu instid0(VALU_DEP_2) | instskip(SKIP_1) | instid1(VALU_DEP_1)
	v_add_nc_u32_e32 v5, 1, v3
	s_wait_alu 0xfffd
	v_cndmask_b32_e32 v6, v3, v5, vcc_lo
.LBB98_7:                               ;   in Loop: Header=BB98_3 Depth=1
	s_wait_alu 0xfffe
	s_or_b32 exec_lo, exec_lo, s0
	v_or_b32_e32 v3, s13, v7
                                        ; implicit-def: $vgpr8_vgpr9
	s_mov_b32 s0, exec_lo
	s_delay_alu instid0(VALU_DEP_1)
	v_cmpx_ne_u64_e32 0, v[2:3]
	s_wait_alu 0xfffe
	s_xor_b32 s1, exec_lo, s0
	s_cbranch_execz .LBB98_9
; %bb.8:                                ;   in Loop: Header=BB98_3 Depth=1
	s_ashr_i32 s2, s13, 31
	v_ashrrev_i32_e32 v5, 31, v7
	s_wait_alu 0xfffe
	s_mov_b32 s3, s2
	s_wait_alu 0xfffe
	s_add_nc_u64 s[38:39], s[12:13], s[2:3]
	v_add_co_u32 v3, vcc_lo, v6, v5
	s_wait_alu 0xfffe
	s_xor_b64 s[38:39], s[38:39], s[2:3]
	s_wait_alu 0xfffd
	v_add_co_ci_u32_e64 v4, null, v7, v5, vcc_lo
	s_wait_alu 0xfffe
	s_cvt_f32_u32 s0, s38
	s_cvt_f32_u32 s3, s39
	s_sub_nc_u64 s[42:43], 0, s[38:39]
	v_xor_b32_e32 v12, v3, v5
	v_xor_b32_e32 v13, v4, v5
	s_wait_alu 0xfffe
	s_fmamk_f32 s0, s3, 0x4f800000, s0
	v_xor_b32_e32 v5, s2, v5
	s_wait_alu 0xfffe
	s_delay_alu instid0(SALU_CYCLE_1) | instskip(NEXT) | instid1(TRANS32_DEP_1)
	v_s_rcp_f32 s0, s0
	s_mul_f32 s0, s0, 0x5f7ffffc
	s_wait_alu 0xfffe
	s_delay_alu instid0(SALU_CYCLE_2) | instskip(SKIP_1) | instid1(SALU_CYCLE_2)
	s_mul_f32 s3, s0, 0x2f800000
	s_wait_alu 0xfffe
	s_trunc_f32 s3, s3
	s_wait_alu 0xfffe
	s_delay_alu instid0(SALU_CYCLE_2) | instskip(SKIP_2) | instid1(SALU_CYCLE_1)
	s_fmamk_f32 s0, s3, 0xcf800000, s0
	s_cvt_u32_f32 s41, s3
	s_wait_alu 0xfffe
	s_cvt_u32_f32 s40, s0
	s_delay_alu instid0(SALU_CYCLE_3)
	s_mul_u64 s[44:45], s[42:43], s[40:41]
	s_wait_alu 0xfffe
	s_mul_hi_u32 s47, s40, s45
	s_mul_i32 s46, s40, s45
	s_mul_hi_u32 s14, s40, s44
	s_mul_i32 s3, s41, s44
	s_wait_alu 0xfffe
	s_add_nc_u64 s[46:47], s[14:15], s[46:47]
	s_mul_hi_u32 s0, s41, s44
	s_mul_hi_u32 s37, s41, s45
	s_wait_alu 0xfffe
	s_add_co_u32 s3, s46, s3
	s_add_co_ci_u32 s14, s47, s0
	s_mul_i32 s44, s41, s45
	s_add_co_ci_u32 s45, s37, 0
	s_wait_alu 0xfffe
	s_add_nc_u64 s[44:45], s[14:15], s[44:45]
	s_wait_alu 0xfffe
	s_add_co_u32 s40, s40, s44
	s_cselect_b32 s0, -1, 0
	s_wait_alu 0xfffe
	s_cmp_lg_u32 s0, 0
	s_add_co_ci_u32 s41, s41, s45
	s_delay_alu instid0(SALU_CYCLE_1) | instskip(NEXT) | instid1(SALU_CYCLE_1)
	s_mul_u64 s[42:43], s[42:43], s[40:41]
	s_mul_hi_u32 s45, s40, s43
	s_mul_i32 s44, s40, s43
	s_mul_hi_u32 s14, s40, s42
	s_mul_i32 s3, s41, s42
	s_wait_alu 0xfffe
	s_add_nc_u64 s[44:45], s[14:15], s[44:45]
	s_mul_hi_u32 s0, s41, s42
	s_mul_hi_u32 s37, s41, s43
	s_wait_alu 0xfffe
	s_add_co_u32 s3, s44, s3
	s_add_co_ci_u32 s14, s45, s0
	s_mul_i32 s42, s41, s43
	s_add_co_ci_u32 s43, s37, 0
	s_wait_alu 0xfffe
	s_add_nc_u64 s[42:43], s[14:15], s[42:43]
	s_delay_alu instid0(SALU_CYCLE_1)
	s_add_co_u32 s0, s40, s42
	s_cselect_b32 s3, -1, 0
	s_wait_alu 0xfffe
	v_mul_hi_u32 v14, v12, s0
	s_cmp_lg_u32 s3, 0
	v_mad_co_u64_u32 v[8:9], null, v13, s0, 0
	s_add_co_ci_u32 s3, s41, s43
	s_wait_alu 0xfffe
	v_mad_co_u64_u32 v[3:4], null, v12, s3, 0
	v_mad_co_u64_u32 v[10:11], null, v13, s3, 0
	s_delay_alu instid0(VALU_DEP_2) | instskip(SKIP_1) | instid1(VALU_DEP_3)
	v_add_co_u32 v3, vcc_lo, v14, v3
	s_wait_alu 0xfffd
	v_add_co_ci_u32_e64 v4, null, 0, v4, vcc_lo
	s_delay_alu instid0(VALU_DEP_2) | instskip(SKIP_1) | instid1(VALU_DEP_2)
	v_add_co_u32 v3, vcc_lo, v3, v8
	s_wait_alu 0xfffd
	v_add_co_ci_u32_e32 v3, vcc_lo, v4, v9, vcc_lo
	s_wait_alu 0xfffd
	v_add_co_ci_u32_e32 v4, vcc_lo, 0, v11, vcc_lo
	s_delay_alu instid0(VALU_DEP_2) | instskip(SKIP_1) | instid1(VALU_DEP_2)
	v_add_co_u32 v8, vcc_lo, v3, v10
	s_wait_alu 0xfffd
	v_add_co_ci_u32_e64 v9, null, 0, v4, vcc_lo
	s_delay_alu instid0(VALU_DEP_2) | instskip(SKIP_1) | instid1(VALU_DEP_3)
	v_mul_lo_u32 v10, s39, v8
	v_mad_co_u64_u32 v[3:4], null, s38, v8, 0
	v_mul_lo_u32 v11, s38, v9
	s_delay_alu instid0(VALU_DEP_2) | instskip(NEXT) | instid1(VALU_DEP_2)
	v_sub_co_u32 v3, vcc_lo, v12, v3
	v_add3_u32 v4, v4, v11, v10
	v_add_co_u32 v11, s0, v8, 2
	s_wait_alu 0xf1ff
	v_add_co_ci_u32_e64 v12, null, 0, v9, s0
	s_delay_alu instid0(VALU_DEP_3) | instskip(SKIP_3) | instid1(VALU_DEP_3)
	v_sub_nc_u32_e32 v10, v13, v4
	v_sub_co_u32 v14, s0, v3, s38
	s_wait_alu 0xfffd
	v_sub_co_ci_u32_e64 v4, null, v13, v4, vcc_lo
	v_subrev_co_ci_u32_e64 v10, null, s39, v10, vcc_lo
	s_delay_alu instid0(VALU_DEP_3) | instskip(SKIP_1) | instid1(VALU_DEP_2)
	v_cmp_le_u32_e32 vcc_lo, s38, v14
	s_wait_alu 0xf1ff
	v_subrev_co_ci_u32_e64 v10, null, 0, v10, s0
	s_wait_alu 0xfffd
	v_cndmask_b32_e64 v13, 0, -1, vcc_lo
	s_delay_alu instid0(VALU_DEP_2)
	v_cmp_le_u32_e32 vcc_lo, s39, v10
	s_wait_alu 0xfffd
	v_cndmask_b32_e64 v14, 0, -1, vcc_lo
	v_cmp_le_u32_e32 vcc_lo, s38, v3
	s_wait_alu 0xfffd
	v_cndmask_b32_e64 v3, 0, -1, vcc_lo
	;; [unrolled: 3-line block ×3, first 2 shown]
	v_cmp_eq_u32_e32 vcc_lo, s39, v10
	s_wait_alu 0xfffd
	v_cndmask_b32_e32 v10, v14, v13, vcc_lo
	v_add_co_u32 v13, vcc_lo, v8, 1
	s_wait_alu 0xfffd
	v_add_co_ci_u32_e64 v14, null, 0, v9, vcc_lo
	v_cmp_eq_u32_e32 vcc_lo, s39, v4
	s_wait_alu 0xfffd
	v_cndmask_b32_e32 v3, v15, v3, vcc_lo
	v_cmp_ne_u32_e32 vcc_lo, 0, v10
	s_delay_alu instid0(VALU_DEP_2) | instskip(SKIP_3) | instid1(VALU_DEP_1)
	v_cmp_ne_u32_e64 s0, 0, v3
	s_wait_alu 0xfffd
	v_dual_cndmask_b32 v4, v14, v12 :: v_dual_cndmask_b32 v3, v13, v11
	s_wait_alu 0xf1ff
	v_cndmask_b32_e64 v4, v9, v4, s0
	s_delay_alu instid0(VALU_DEP_2) | instskip(NEXT) | instid1(VALU_DEP_2)
	v_cndmask_b32_e64 v3, v8, v3, s0
	v_xor_b32_e32 v4, v4, v5
	s_delay_alu instid0(VALU_DEP_2) | instskip(NEXT) | instid1(VALU_DEP_1)
	v_xor_b32_e32 v3, v3, v5
	v_sub_co_u32 v8, vcc_lo, v3, v5
	s_wait_alu 0xfffd
	s_delay_alu instid0(VALU_DEP_3)
	v_sub_co_ci_u32_e64 v9, null, v4, v5, vcc_lo
.LBB98_9:                               ;   in Loop: Header=BB98_3 Depth=1
	s_wait_alu 0xfffe
	s_and_not1_saveexec_b32 s0, s1
	s_cbranch_execz .LBB98_11
; %bb.10:                               ;   in Loop: Header=BB98_3 Depth=1
	s_sub_co_i32 s1, 0, s12
	v_mov_b32_e32 v9, v2
	s_wait_alu 0xfffe
	v_mul_lo_u32 v3, s1, v19
	s_delay_alu instid0(VALU_DEP_1) | instskip(NEXT) | instid1(VALU_DEP_1)
	v_mul_hi_u32 v3, v19, v3
	v_add_nc_u32_e32 v3, v19, v3
	s_delay_alu instid0(VALU_DEP_1) | instskip(NEXT) | instid1(VALU_DEP_1)
	v_mul_hi_u32 v3, v6, v3
	v_mul_lo_u32 v4, v3, s12
	v_add_nc_u32_e32 v5, 1, v3
	s_delay_alu instid0(VALU_DEP_2) | instskip(NEXT) | instid1(VALU_DEP_1)
	v_sub_nc_u32_e32 v4, v6, v4
	v_subrev_nc_u32_e32 v8, s12, v4
	v_cmp_le_u32_e32 vcc_lo, s12, v4
	s_wait_alu 0xfffd
	s_delay_alu instid0(VALU_DEP_2) | instskip(NEXT) | instid1(VALU_DEP_1)
	v_dual_cndmask_b32 v4, v4, v8 :: v_dual_cndmask_b32 v3, v3, v5
	v_cmp_le_u32_e32 vcc_lo, s12, v4
	s_delay_alu instid0(VALU_DEP_2) | instskip(SKIP_1) | instid1(VALU_DEP_1)
	v_add_nc_u32_e32 v5, 1, v3
	s_wait_alu 0xfffd
	v_cndmask_b32_e32 v8, v3, v5, vcc_lo
.LBB98_11:                              ;   in Loop: Header=BB98_3 Depth=1
	s_wait_alu 0xfffe
	s_or_b32 exec_lo, exec_lo, s0
	v_mul_lo_u32 v5, v7, s8
	v_mul_lo_u32 v12, v6, s9
	v_mad_co_u64_u32 v[3:4], null, v6, s8, 0
	v_mul_lo_u32 v13, v9, s12
	v_mul_lo_u32 v14, v8, s13
	v_mad_co_u64_u32 v[10:11], null, v8, s12, 0
	s_mov_b32 s37, exec_lo
	v_add3_u32 v5, v4, v12, v5
	v_sub_co_u32 v4, vcc_lo, v0, v3
	v_add3_u32 v11, v11, v14, v13
	s_wait_alu 0xfffd
	s_delay_alu instid0(VALU_DEP_3) | instskip(SKIP_3) | instid1(VALU_DEP_2)
	v_sub_co_ci_u32_e64 v5, null, v1, v5, vcc_lo
	v_sub_co_u32 v20, vcc_lo, v6, v10
	s_wait_alu 0xfffd
	v_sub_co_ci_u32_e64 v21, null, v7, v11, vcc_lo
	v_sub_co_u32 v6, vcc_lo, v4, v20
	s_wait_alu 0xfffd
	s_delay_alu instid0(VALU_DEP_2) | instskip(NEXT) | instid1(VALU_DEP_1)
	v_sub_co_ci_u32_e64 v7, null, v5, v21, vcc_lo
	v_cmpx_gt_i64_e64 s[4:5], v[6:7]
	s_cbranch_execz .LBB98_2
; %bb.12:                               ;   in Loop: Header=BB98_3 Depth=1
	s_load_b128 s[0:3], s[22:23], 0xc0
	s_and_not1_b32 vcc_lo, exec_lo, s33
	s_wait_kmcnt 0x0
	v_mul_lo_u32 v3, s3, v4
	v_mul_lo_u32 v10, s2, v5
	v_mad_co_u64_u32 v[6:7], null, s2, v4, 0
	s_delay_alu instid0(VALU_DEP_1) | instskip(SKIP_2) | instid1(VALU_DEP_3)
	v_add3_u32 v7, v7, v10, v3
	v_mul_lo_u32 v3, s0, v21
	v_mul_lo_u32 v10, s1, v20
	v_mad_co_u64_u32 v[6:7], null, s0, v20, v[6:7]
	s_delay_alu instid0(VALU_DEP_1)
	v_add3_u32 v7, v10, v7, v3
	s_wait_alu 0xfffe
	s_cbranch_vccnz .LBB98_38
; %bb.13:                               ;   in Loop: Header=BB98_3 Depth=1
	s_mov_b64 s[38:39], s[26:27]
	s_mov_b64 s[40:41], s[30:31]
	s_and_not1_b32 vcc_lo, exec_lo, s63
	s_mov_b64 s[44:45], s[28:29]
	s_mov_b64 s[42:43], s[20:21]
	s_wait_alu 0xfffe
	s_cbranch_vccz .LBB98_17
.LBB98_14:                              ;   in Loop: Header=BB98_3 Depth=1
	s_and_not1_b32 vcc_lo, exec_lo, s64
	s_wait_alu 0xfffe
	s_cbranch_vccnz .LBB98_38
; %bb.15:                               ;   in Loop: Header=BB98_3 Depth=1
	s_lshl_b64 s[0:1], s[42:43], 3
	s_add_nc_u64 s[42:43], s[42:43], 1
	s_wait_alu 0xfffe
	s_add_nc_u64 s[38:39], s[16:17], s[0:1]
	s_add_nc_u64 s[40:41], s[34:35], s[0:1]
	s_branch .LBB98_22
.LBB98_16:                              ;   in Loop: Header=BB98_17 Depth=2
	s_wait_alu 0xfffe
	s_or_b32 exec_lo, exec_lo, s0
	s_load_b64 s[0:1], s[44:45], 0x0
	v_mul_lo_u32 v3, v11, s46
	v_mul_lo_u32 v14, v10, s47
	v_mad_co_u64_u32 v[12:13], null, v10, s46, 0
	s_add_nc_u64 s[38:39], s[38:39], -1
	s_add_nc_u64 s[42:43], s[42:43], -1
	;; [unrolled: 1-line block ×3, first 2 shown]
	s_wait_alu 0xfffe
	s_cmp_lg_u64 s[38:39], 0
	s_add_nc_u64 s[40:41], s[40:41], -8
	v_add3_u32 v3, v13, v14, v3
	v_sub_co_u32 v8, vcc_lo, v8, v12
	s_wait_alu 0xfffd
	s_delay_alu instid0(VALU_DEP_2) | instskip(SKIP_1) | instid1(VALU_DEP_2)
	v_sub_co_ci_u32_e64 v3, null, v9, v3, vcc_lo
	s_wait_kmcnt 0x0
	v_mul_lo_u32 v9, s1, v8
	s_delay_alu instid0(VALU_DEP_2) | instskip(SKIP_1) | instid1(VALU_DEP_1)
	v_mul_lo_u32 v3, s0, v3
	v_mad_co_u64_u32 v[6:7], null, s0, v8, v[6:7]
	v_add3_u32 v7, v9, v7, v3
	v_dual_mov_b32 v8, v10 :: v_dual_mov_b32 v9, v11
	s_cbranch_scc0 .LBB98_14
.LBB98_17:                              ;   Parent Loop BB98_3 Depth=1
                                        ; =>  This Inner Loop Header: Depth=2
	s_load_b64 s[46:47], s[40:41], 0x0
                                        ; implicit-def: $vgpr10_vgpr11
	s_mov_b32 s0, exec_lo
	s_wait_kmcnt 0x0
	v_or_b32_e32 v3, s47, v9
	s_delay_alu instid0(VALU_DEP_1)
	v_cmpx_ne_u64_e32 0, v[2:3]
	s_wait_alu 0xfffe
	s_xor_b32 s1, exec_lo, s0
	s_cbranch_execz .LBB98_19
; %bb.18:                               ;   in Loop: Header=BB98_17 Depth=2
	s_ashr_i32 s48, s47, 31
	v_ashrrev_i32_e32 v3, 31, v9
	s_wait_alu 0xfffe
	s_mov_b32 s49, s48
	s_wait_alu 0xfffe
	s_add_nc_u64 s[50:51], s[46:47], s[48:49]
	v_add_co_u32 v10, vcc_lo, v8, v3
	s_wait_alu 0xfffe
	s_xor_b64 s[50:51], s[50:51], s[48:49]
	s_wait_alu 0xfffd
	v_add_co_ci_u32_e64 v11, null, v9, v3, vcc_lo
	s_wait_alu 0xfffe
	s_cvt_f32_u32 s0, s50
	s_cvt_f32_u32 s14, s51
	s_sub_nc_u64 s[54:55], 0, s[50:51]
	v_xor_b32_e32 v16, v10, v3
	v_xor_b32_e32 v17, v11, v3
	s_wait_alu 0xfffe
	s_fmamk_f32 s0, s14, 0x4f800000, s0
	v_xor_b32_e32 v3, s48, v3
	s_wait_alu 0xfffe
	s_delay_alu instid0(SALU_CYCLE_1) | instskip(NEXT) | instid1(TRANS32_DEP_1)
	v_s_rcp_f32 s0, s0
	s_mul_f32 s0, s0, 0x5f7ffffc
	s_wait_alu 0xfffe
	s_delay_alu instid0(SALU_CYCLE_2) | instskip(SKIP_1) | instid1(SALU_CYCLE_2)
	s_mul_f32 s14, s0, 0x2f800000
	s_wait_alu 0xfffe
	s_trunc_f32 s14, s14
	s_wait_alu 0xfffe
	s_delay_alu instid0(SALU_CYCLE_2) | instskip(SKIP_2) | instid1(SALU_CYCLE_1)
	s_fmamk_f32 s0, s14, 0xcf800000, s0
	s_cvt_u32_f32 s53, s14
	s_wait_alu 0xfffe
	s_cvt_u32_f32 s52, s0
	s_wait_alu 0xfffe
	s_delay_alu instid0(SALU_CYCLE_2)
	s_mul_u64 s[56:57], s[54:55], s[52:53]
	s_wait_alu 0xfffe
	s_mul_hi_u32 s59, s52, s57
	s_mul_i32 s58, s52, s57
	s_mul_hi_u32 s14, s52, s56
	s_mul_i32 s49, s53, s56
	s_wait_alu 0xfffe
	s_add_nc_u64 s[58:59], s[14:15], s[58:59]
	s_mul_hi_u32 s0, s53, s56
	s_mul_hi_u32 s60, s53, s57
	s_wait_alu 0xfffe
	s_add_co_u32 s14, s58, s49
	s_add_co_ci_u32 s14, s59, s0
	s_mul_i32 s56, s53, s57
	s_add_co_ci_u32 s57, s60, 0
	s_wait_alu 0xfffe
	s_add_nc_u64 s[56:57], s[14:15], s[56:57]
	s_wait_alu 0xfffe
	s_add_co_u32 s52, s52, s56
	s_cselect_b32 s0, -1, 0
	s_wait_alu 0xfffe
	s_cmp_lg_u32 s0, 0
	s_add_co_ci_u32 s53, s53, s57
	s_wait_alu 0xfffe
	s_mul_u64 s[54:55], s[54:55], s[52:53]
	s_wait_alu 0xfffe
	s_mul_hi_u32 s57, s52, s55
	s_mul_i32 s56, s52, s55
	s_mul_hi_u32 s14, s52, s54
	s_mul_i32 s49, s53, s54
	s_wait_alu 0xfffe
	s_add_nc_u64 s[56:57], s[14:15], s[56:57]
	s_mul_hi_u32 s0, s53, s54
	s_mul_hi_u32 s58, s53, s55
	s_wait_alu 0xfffe
	s_add_co_u32 s14, s56, s49
	s_add_co_ci_u32 s14, s57, s0
	s_mul_i32 s54, s53, s55
	s_add_co_ci_u32 s55, s58, 0
	s_wait_alu 0xfffe
	s_add_nc_u64 s[54:55], s[14:15], s[54:55]
	s_wait_alu 0xfffe
	s_add_co_u32 s0, s52, s54
	s_cselect_b32 s14, -1, 0
	s_wait_alu 0xfffe
	v_mul_hi_u32 v22, v16, s0
	s_cmp_lg_u32 s14, 0
	v_mad_co_u64_u32 v[12:13], null, v17, s0, 0
	s_add_co_ci_u32 s14, s53, s55
	s_wait_alu 0xfffe
	v_mad_co_u64_u32 v[10:11], null, v16, s14, 0
	v_mad_co_u64_u32 v[14:15], null, v17, s14, 0
	s_delay_alu instid0(VALU_DEP_2) | instskip(SKIP_1) | instid1(VALU_DEP_3)
	v_add_co_u32 v10, vcc_lo, v22, v10
	s_wait_alu 0xfffd
	v_add_co_ci_u32_e64 v11, null, 0, v11, vcc_lo
	s_delay_alu instid0(VALU_DEP_2) | instskip(SKIP_1) | instid1(VALU_DEP_2)
	v_add_co_u32 v10, vcc_lo, v10, v12
	s_wait_alu 0xfffd
	v_add_co_ci_u32_e32 v10, vcc_lo, v11, v13, vcc_lo
	s_wait_alu 0xfffd
	v_add_co_ci_u32_e32 v11, vcc_lo, 0, v15, vcc_lo
	s_delay_alu instid0(VALU_DEP_2) | instskip(SKIP_1) | instid1(VALU_DEP_2)
	v_add_co_u32 v12, vcc_lo, v10, v14
	s_wait_alu 0xfffd
	v_add_co_ci_u32_e64 v13, null, 0, v11, vcc_lo
	s_delay_alu instid0(VALU_DEP_2) | instskip(SKIP_1) | instid1(VALU_DEP_3)
	v_mul_lo_u32 v14, s51, v12
	v_mad_co_u64_u32 v[10:11], null, s50, v12, 0
	v_mul_lo_u32 v15, s50, v13
	s_delay_alu instid0(VALU_DEP_2) | instskip(NEXT) | instid1(VALU_DEP_2)
	v_sub_co_u32 v10, vcc_lo, v16, v10
	v_add3_u32 v11, v11, v15, v14
	v_add_co_u32 v15, s0, v12, 2
	s_wait_alu 0xf1ff
	v_add_co_ci_u32_e64 v16, null, 0, v13, s0
	s_delay_alu instid0(VALU_DEP_3) | instskip(SKIP_3) | instid1(VALU_DEP_3)
	v_sub_nc_u32_e32 v14, v17, v11
	v_sub_co_u32 v22, s0, v10, s50
	s_wait_alu 0xfffd
	v_sub_co_ci_u32_e64 v11, null, v17, v11, vcc_lo
	v_subrev_co_ci_u32_e64 v14, null, s51, v14, vcc_lo
	s_delay_alu instid0(VALU_DEP_3) | instskip(SKIP_1) | instid1(VALU_DEP_2)
	v_cmp_le_u32_e32 vcc_lo, s50, v22
	s_wait_alu 0xf1ff
	v_subrev_co_ci_u32_e64 v14, null, 0, v14, s0
	s_wait_alu 0xfffd
	v_cndmask_b32_e64 v17, 0, -1, vcc_lo
	s_delay_alu instid0(VALU_DEP_2)
	v_cmp_le_u32_e32 vcc_lo, s51, v14
	s_wait_alu 0xfffd
	v_cndmask_b32_e64 v22, 0, -1, vcc_lo
	v_cmp_le_u32_e32 vcc_lo, s50, v10
	s_wait_alu 0xfffd
	v_cndmask_b32_e64 v10, 0, -1, vcc_lo
	;; [unrolled: 3-line block ×3, first 2 shown]
	v_cmp_eq_u32_e32 vcc_lo, s51, v14
	s_wait_alu 0xfffd
	v_cndmask_b32_e32 v14, v22, v17, vcc_lo
	v_add_co_u32 v17, vcc_lo, v12, 1
	s_wait_alu 0xfffd
	v_add_co_ci_u32_e64 v22, null, 0, v13, vcc_lo
	v_cmp_eq_u32_e32 vcc_lo, s51, v11
	s_wait_alu 0xfffd
	v_cndmask_b32_e32 v10, v23, v10, vcc_lo
	v_cmp_ne_u32_e32 vcc_lo, 0, v14
	s_wait_alu 0xfffd
	v_cndmask_b32_e32 v11, v22, v16, vcc_lo
	s_delay_alu instid0(VALU_DEP_3) | instskip(SKIP_2) | instid1(VALU_DEP_2)
	v_cmp_ne_u32_e64 s0, 0, v10
	v_cndmask_b32_e32 v10, v17, v15, vcc_lo
	s_wait_alu 0xf1ff
	v_cndmask_b32_e64 v11, v13, v11, s0
	s_delay_alu instid0(VALU_DEP_2) | instskip(NEXT) | instid1(VALU_DEP_2)
	v_cndmask_b32_e64 v10, v12, v10, s0
	v_xor_b32_e32 v11, v11, v3
	s_delay_alu instid0(VALU_DEP_2) | instskip(NEXT) | instid1(VALU_DEP_1)
	v_xor_b32_e32 v10, v10, v3
	v_sub_co_u32 v10, vcc_lo, v10, v3
	s_wait_alu 0xfffd
	s_delay_alu instid0(VALU_DEP_3)
	v_sub_co_ci_u32_e64 v11, null, v11, v3, vcc_lo
.LBB98_19:                              ;   in Loop: Header=BB98_17 Depth=2
	s_wait_alu 0xfffe
	s_and_not1_saveexec_b32 s0, s1
	s_cbranch_execz .LBB98_16
; %bb.20:                               ;   in Loop: Header=BB98_17 Depth=2
	v_cvt_f32_u32_e32 v3, s46
	s_sub_co_i32 s1, 0, s46
	s_delay_alu instid0(VALU_DEP_1) | instskip(NEXT) | instid1(TRANS32_DEP_1)
	v_rcp_iflag_f32_e32 v3, v3
	v_mul_f32_e32 v3, 0x4f7ffffe, v3
	s_delay_alu instid0(VALU_DEP_1) | instskip(SKIP_1) | instid1(VALU_DEP_1)
	v_cvt_u32_f32_e32 v3, v3
	s_wait_alu 0xfffe
	v_mul_lo_u32 v10, s1, v3
	s_delay_alu instid0(VALU_DEP_1) | instskip(NEXT) | instid1(VALU_DEP_1)
	v_mul_hi_u32 v10, v3, v10
	v_add_nc_u32_e32 v3, v3, v10
	s_delay_alu instid0(VALU_DEP_1) | instskip(NEXT) | instid1(VALU_DEP_1)
	v_mul_hi_u32 v3, v8, v3
	v_mul_lo_u32 v10, v3, s46
	v_add_nc_u32_e32 v11, 1, v3
	s_delay_alu instid0(VALU_DEP_2) | instskip(NEXT) | instid1(VALU_DEP_1)
	v_sub_nc_u32_e32 v10, v8, v10
	v_subrev_nc_u32_e32 v12, s46, v10
	v_cmp_le_u32_e32 vcc_lo, s46, v10
	s_wait_alu 0xfffd
	s_delay_alu instid0(VALU_DEP_2) | instskip(NEXT) | instid1(VALU_DEP_1)
	v_dual_cndmask_b32 v10, v10, v12 :: v_dual_cndmask_b32 v3, v3, v11
	v_cmp_le_u32_e32 vcc_lo, s46, v10
	s_delay_alu instid0(VALU_DEP_2) | instskip(SKIP_1) | instid1(VALU_DEP_1)
	v_add_nc_u32_e32 v11, 1, v3
	s_wait_alu 0xfffd
	v_dual_cndmask_b32 v10, v3, v11 :: v_dual_mov_b32 v11, v2
	s_branch .LBB98_16
.LBB98_21:                              ;   in Loop: Header=BB98_22 Depth=2
	s_wait_alu 0xfffe
	s_or_b32 exec_lo, exec_lo, s0
	v_mul_lo_u32 v3, v11, s44
	v_mul_lo_u32 v26, v10, s45
	v_mad_co_u64_u32 v[22:23], null, v10, s44, 0
	v_mul_lo_u32 v27, v13, s48
	v_mul_lo_u32 v28, v12, s49
	v_mad_co_u64_u32 v[24:25], null, v12, s48, 0
	s_load_b64 s[0:1], s[38:39], 0x0
	s_add_nc_u64 s[42:43], s[42:43], -4
	v_add3_u32 v3, v23, v26, v3
	v_sub_co_u32 v8, vcc_lo, v8, v22
	v_mul_lo_u32 v22, v15, s52
	v_add3_u32 v23, v25, v28, v27
	s_wait_alu 0xfffd
	v_sub_co_ci_u32_e64 v3, null, v9, v3, vcc_lo
	v_mul_lo_u32 v25, s47, v8
	v_mad_co_u64_u32 v[6:7], null, s46, v8, v[6:7]
	s_delay_alu instid0(VALU_DEP_3)
	v_mul_lo_u32 v3, s46, v3
	v_mul_lo_u32 v26, v14, s53
	v_mad_co_u64_u32 v[8:9], null, v14, s52, 0
	v_sub_co_u32 v10, vcc_lo, v10, v24
	s_wait_alu 0xfffd
	v_sub_co_ci_u32_e64 v11, null, v11, v23, vcc_lo
	v_add3_u32 v7, v25, v7, v3
	s_add_nc_u64 s[38:39], s[38:39], s[18:19]
	s_delay_alu instid0(VALU_DEP_4)
	v_add3_u32 v3, v9, v26, v22
	v_mul_lo_u32 v22, s51, v10
	v_mul_lo_u32 v11, s50, v11
	v_mad_co_u64_u32 v[6:7], null, s50, v10, v[6:7]
	v_sub_co_u32 v10, vcc_lo, v12, v8
	s_wait_alu 0xfffd
	v_sub_co_ci_u32_e64 v3, null, v13, v3, vcc_lo
	v_mul_lo_u32 v12, v17, s56
	v_mul_lo_u32 v13, v16, s57
	v_mad_co_u64_u32 v[8:9], null, v16, s56, 0
	v_add3_u32 v7, v22, v7, v11
	v_mul_lo_u32 v3, s54, v3
	s_cmp_eq_u64 s[42:43], 0
	s_add_nc_u64 s[40:41], s[40:41], s[18:19]
	s_delay_alu instid0(VALU_DEP_2) | instskip(SKIP_4) | instid1(VALU_DEP_2)
	v_mad_co_u64_u32 v[6:7], null, s54, v10, v[6:7]
	v_mul_lo_u32 v10, s55, v10
	v_add3_u32 v9, v9, v13, v12
	v_sub_co_u32 v8, vcc_lo, v14, v8
	s_wait_alu 0xfffd
	v_sub_co_ci_u32_e64 v9, null, v15, v9, vcc_lo
	s_delay_alu instid0(VALU_DEP_4) | instskip(SKIP_1) | instid1(VALU_DEP_2)
	v_add3_u32 v7, v10, v7, v3
	s_wait_kmcnt 0x0
	v_mul_lo_u32 v3, s0, v9
	v_mul_lo_u32 v9, s1, v8
	s_delay_alu instid0(VALU_DEP_3) | instskip(NEXT) | instid1(VALU_DEP_1)
	v_mad_co_u64_u32 v[6:7], null, s0, v8, v[6:7]
	v_add3_u32 v7, v9, v7, v3
	v_dual_mov_b32 v8, v16 :: v_dual_mov_b32 v9, v17
	s_cbranch_scc1 .LBB98_38
.LBB98_22:                              ;   Parent Loop BB98_3 Depth=1
                                        ; =>  This Inner Loop Header: Depth=2
	s_load_b64 s[44:45], s[40:41], 0x18
                                        ; implicit-def: $vgpr10_vgpr11
	s_mov_b32 s0, exec_lo
	s_wait_kmcnt 0x0
	v_or_b32_e32 v3, s45, v9
	s_delay_alu instid0(VALU_DEP_1)
	v_cmpx_ne_u64_e32 0, v[2:3]
	s_wait_alu 0xfffe
	s_xor_b32 s1, exec_lo, s0
	s_cbranch_execz .LBB98_24
; %bb.23:                               ;   in Loop: Header=BB98_22 Depth=2
	s_ashr_i32 s46, s45, 31
	v_ashrrev_i32_e32 v3, 31, v9
	s_wait_alu 0xfffe
	s_mov_b32 s47, s46
	s_wait_alu 0xfffe
	s_add_nc_u64 s[48:49], s[44:45], s[46:47]
	v_add_co_u32 v10, vcc_lo, v8, v3
	s_wait_alu 0xfffe
	s_xor_b64 s[48:49], s[48:49], s[46:47]
	s_wait_alu 0xfffd
	v_add_co_ci_u32_e64 v11, null, v9, v3, vcc_lo
	s_wait_alu 0xfffe
	s_cvt_f32_u32 s0, s48
	s_cvt_f32_u32 s14, s49
	s_sub_nc_u64 s[52:53], 0, s[48:49]
	v_xor_b32_e32 v16, v10, v3
	v_xor_b32_e32 v17, v11, v3
	s_wait_alu 0xfffe
	s_fmamk_f32 s0, s14, 0x4f800000, s0
	v_xor_b32_e32 v3, s46, v3
	s_wait_alu 0xfffe
	s_delay_alu instid0(SALU_CYCLE_1) | instskip(NEXT) | instid1(TRANS32_DEP_1)
	v_s_rcp_f32 s0, s0
	s_mul_f32 s0, s0, 0x5f7ffffc
	s_wait_alu 0xfffe
	s_delay_alu instid0(SALU_CYCLE_2) | instskip(SKIP_1) | instid1(SALU_CYCLE_2)
	s_mul_f32 s14, s0, 0x2f800000
	s_wait_alu 0xfffe
	s_trunc_f32 s14, s14
	s_wait_alu 0xfffe
	s_delay_alu instid0(SALU_CYCLE_2) | instskip(SKIP_2) | instid1(SALU_CYCLE_1)
	s_fmamk_f32 s0, s14, 0xcf800000, s0
	s_cvt_u32_f32 s51, s14
	s_wait_alu 0xfffe
	s_cvt_u32_f32 s50, s0
	s_wait_alu 0xfffe
	s_delay_alu instid0(SALU_CYCLE_2)
	s_mul_u64 s[54:55], s[52:53], s[50:51]
	s_wait_alu 0xfffe
	s_mul_hi_u32 s57, s50, s55
	s_mul_i32 s56, s50, s55
	s_mul_hi_u32 s14, s50, s54
	s_mul_i32 s47, s51, s54
	s_wait_alu 0xfffe
	s_add_nc_u64 s[56:57], s[14:15], s[56:57]
	s_mul_hi_u32 s0, s51, s54
	s_mul_hi_u32 s58, s51, s55
	s_wait_alu 0xfffe
	s_add_co_u32 s14, s56, s47
	s_add_co_ci_u32 s14, s57, s0
	s_mul_i32 s54, s51, s55
	s_add_co_ci_u32 s55, s58, 0
	s_wait_alu 0xfffe
	s_add_nc_u64 s[54:55], s[14:15], s[54:55]
	s_wait_alu 0xfffe
	s_add_co_u32 s50, s50, s54
	s_cselect_b32 s0, -1, 0
	s_wait_alu 0xfffe
	s_cmp_lg_u32 s0, 0
	s_add_co_ci_u32 s51, s51, s55
	s_wait_alu 0xfffe
	s_mul_u64 s[52:53], s[52:53], s[50:51]
	s_wait_alu 0xfffe
	s_mul_hi_u32 s55, s50, s53
	s_mul_i32 s54, s50, s53
	s_mul_hi_u32 s14, s50, s52
	s_mul_i32 s47, s51, s52
	s_wait_alu 0xfffe
	s_add_nc_u64 s[54:55], s[14:15], s[54:55]
	s_mul_hi_u32 s0, s51, s52
	s_mul_hi_u32 s56, s51, s53
	s_wait_alu 0xfffe
	s_add_co_u32 s14, s54, s47
	s_add_co_ci_u32 s14, s55, s0
	s_mul_i32 s52, s51, s53
	s_add_co_ci_u32 s53, s56, 0
	s_wait_alu 0xfffe
	s_add_nc_u64 s[52:53], s[14:15], s[52:53]
	s_wait_alu 0xfffe
	s_add_co_u32 s0, s50, s52
	s_cselect_b32 s14, -1, 0
	s_wait_alu 0xfffe
	v_mul_hi_u32 v22, v16, s0
	s_cmp_lg_u32 s14, 0
	v_mad_co_u64_u32 v[12:13], null, v17, s0, 0
	s_add_co_ci_u32 s14, s51, s53
	s_wait_alu 0xfffe
	v_mad_co_u64_u32 v[10:11], null, v16, s14, 0
	v_mad_co_u64_u32 v[14:15], null, v17, s14, 0
	s_delay_alu instid0(VALU_DEP_2) | instskip(SKIP_1) | instid1(VALU_DEP_3)
	v_add_co_u32 v10, vcc_lo, v22, v10
	s_wait_alu 0xfffd
	v_add_co_ci_u32_e64 v11, null, 0, v11, vcc_lo
	s_delay_alu instid0(VALU_DEP_2) | instskip(SKIP_1) | instid1(VALU_DEP_2)
	v_add_co_u32 v10, vcc_lo, v10, v12
	s_wait_alu 0xfffd
	v_add_co_ci_u32_e32 v10, vcc_lo, v11, v13, vcc_lo
	s_wait_alu 0xfffd
	v_add_co_ci_u32_e32 v11, vcc_lo, 0, v15, vcc_lo
	s_delay_alu instid0(VALU_DEP_2) | instskip(SKIP_1) | instid1(VALU_DEP_2)
	v_add_co_u32 v12, vcc_lo, v10, v14
	s_wait_alu 0xfffd
	v_add_co_ci_u32_e64 v13, null, 0, v11, vcc_lo
	s_delay_alu instid0(VALU_DEP_2) | instskip(SKIP_1) | instid1(VALU_DEP_3)
	v_mul_lo_u32 v14, s49, v12
	v_mad_co_u64_u32 v[10:11], null, s48, v12, 0
	v_mul_lo_u32 v15, s48, v13
	s_delay_alu instid0(VALU_DEP_2) | instskip(NEXT) | instid1(VALU_DEP_2)
	v_sub_co_u32 v10, vcc_lo, v16, v10
	v_add3_u32 v11, v11, v15, v14
	v_add_co_u32 v15, s0, v12, 2
	s_wait_alu 0xf1ff
	v_add_co_ci_u32_e64 v16, null, 0, v13, s0
	s_delay_alu instid0(VALU_DEP_3) | instskip(SKIP_3) | instid1(VALU_DEP_3)
	v_sub_nc_u32_e32 v14, v17, v11
	v_sub_co_u32 v22, s0, v10, s48
	s_wait_alu 0xfffd
	v_sub_co_ci_u32_e64 v11, null, v17, v11, vcc_lo
	v_subrev_co_ci_u32_e64 v14, null, s49, v14, vcc_lo
	s_delay_alu instid0(VALU_DEP_3) | instskip(SKIP_1) | instid1(VALU_DEP_2)
	v_cmp_le_u32_e32 vcc_lo, s48, v22
	s_wait_alu 0xf1ff
	v_subrev_co_ci_u32_e64 v14, null, 0, v14, s0
	s_wait_alu 0xfffd
	v_cndmask_b32_e64 v17, 0, -1, vcc_lo
	s_delay_alu instid0(VALU_DEP_2)
	v_cmp_le_u32_e32 vcc_lo, s49, v14
	s_wait_alu 0xfffd
	v_cndmask_b32_e64 v22, 0, -1, vcc_lo
	v_cmp_le_u32_e32 vcc_lo, s48, v10
	s_wait_alu 0xfffd
	v_cndmask_b32_e64 v10, 0, -1, vcc_lo
	;; [unrolled: 3-line block ×3, first 2 shown]
	v_cmp_eq_u32_e32 vcc_lo, s49, v14
	s_wait_alu 0xfffd
	v_cndmask_b32_e32 v14, v22, v17, vcc_lo
	v_add_co_u32 v17, vcc_lo, v12, 1
	s_wait_alu 0xfffd
	v_add_co_ci_u32_e64 v22, null, 0, v13, vcc_lo
	v_cmp_eq_u32_e32 vcc_lo, s49, v11
	s_wait_alu 0xfffd
	v_cndmask_b32_e32 v10, v23, v10, vcc_lo
	v_cmp_ne_u32_e32 vcc_lo, 0, v14
	s_wait_alu 0xfffd
	v_cndmask_b32_e32 v11, v22, v16, vcc_lo
	s_delay_alu instid0(VALU_DEP_3) | instskip(SKIP_2) | instid1(VALU_DEP_2)
	v_cmp_ne_u32_e64 s0, 0, v10
	v_cndmask_b32_e32 v10, v17, v15, vcc_lo
	s_wait_alu 0xf1ff
	v_cndmask_b32_e64 v11, v13, v11, s0
	s_delay_alu instid0(VALU_DEP_2) | instskip(NEXT) | instid1(VALU_DEP_2)
	v_cndmask_b32_e64 v10, v12, v10, s0
	v_xor_b32_e32 v11, v11, v3
	s_delay_alu instid0(VALU_DEP_2) | instskip(NEXT) | instid1(VALU_DEP_1)
	v_xor_b32_e32 v10, v10, v3
	v_sub_co_u32 v10, vcc_lo, v10, v3
	s_wait_alu 0xfffd
	s_delay_alu instid0(VALU_DEP_3)
	v_sub_co_ci_u32_e64 v11, null, v11, v3, vcc_lo
.LBB98_24:                              ;   in Loop: Header=BB98_22 Depth=2
	s_wait_alu 0xfffe
	s_and_not1_saveexec_b32 s0, s1
	s_cbranch_execz .LBB98_26
; %bb.25:                               ;   in Loop: Header=BB98_22 Depth=2
	v_cvt_f32_u32_e32 v3, s44
	s_sub_co_i32 s1, 0, s44
	s_delay_alu instid0(VALU_DEP_1) | instskip(NEXT) | instid1(TRANS32_DEP_1)
	v_rcp_iflag_f32_e32 v3, v3
	v_mul_f32_e32 v3, 0x4f7ffffe, v3
	s_delay_alu instid0(VALU_DEP_1) | instskip(SKIP_1) | instid1(VALU_DEP_1)
	v_cvt_u32_f32_e32 v3, v3
	s_wait_alu 0xfffe
	v_mul_lo_u32 v10, s1, v3
	s_delay_alu instid0(VALU_DEP_1) | instskip(NEXT) | instid1(VALU_DEP_1)
	v_mul_hi_u32 v10, v3, v10
	v_add_nc_u32_e32 v3, v3, v10
	s_delay_alu instid0(VALU_DEP_1) | instskip(NEXT) | instid1(VALU_DEP_1)
	v_mul_hi_u32 v3, v8, v3
	v_mul_lo_u32 v10, v3, s44
	v_add_nc_u32_e32 v11, 1, v3
	s_delay_alu instid0(VALU_DEP_2) | instskip(NEXT) | instid1(VALU_DEP_1)
	v_sub_nc_u32_e32 v10, v8, v10
	v_subrev_nc_u32_e32 v12, s44, v10
	v_cmp_le_u32_e32 vcc_lo, s44, v10
	s_wait_alu 0xfffd
	s_delay_alu instid0(VALU_DEP_2) | instskip(NEXT) | instid1(VALU_DEP_1)
	v_dual_cndmask_b32 v10, v10, v12 :: v_dual_cndmask_b32 v3, v3, v11
	v_cmp_le_u32_e32 vcc_lo, s44, v10
	s_delay_alu instid0(VALU_DEP_2) | instskip(SKIP_1) | instid1(VALU_DEP_1)
	v_add_nc_u32_e32 v11, 1, v3
	s_wait_alu 0xfffd
	v_dual_cndmask_b32 v10, v3, v11 :: v_dual_mov_b32 v11, v2
.LBB98_26:                              ;   in Loop: Header=BB98_22 Depth=2
	s_wait_alu 0xfffe
	s_or_b32 exec_lo, exec_lo, s0
	s_load_b64 s[48:49], s[40:41], 0x10
	s_load_b64 s[46:47], s[38:39], 0x18
                                        ; implicit-def: $vgpr12_vgpr13
	s_mov_b32 s0, exec_lo
	s_wait_kmcnt 0x0
	v_or_b32_e32 v3, s49, v11
	s_delay_alu instid0(VALU_DEP_1)
	v_cmpx_ne_u64_e32 0, v[2:3]
	s_wait_alu 0xfffe
	s_xor_b32 s1, exec_lo, s0
	s_cbranch_execz .LBB98_28
; %bb.27:                               ;   in Loop: Header=BB98_22 Depth=2
	s_ashr_i32 s50, s49, 31
	v_ashrrev_i32_e32 v3, 31, v11
	s_wait_alu 0xfffe
	s_mov_b32 s51, s50
	s_wait_alu 0xfffe
	s_add_nc_u64 s[52:53], s[48:49], s[50:51]
	v_add_co_u32 v12, vcc_lo, v10, v3
	s_wait_alu 0xfffe
	s_xor_b64 s[52:53], s[52:53], s[50:51]
	s_wait_alu 0xfffd
	v_add_co_ci_u32_e64 v13, null, v11, v3, vcc_lo
	s_wait_alu 0xfffe
	s_cvt_f32_u32 s0, s52
	s_cvt_f32_u32 s14, s53
	s_sub_nc_u64 s[56:57], 0, s[52:53]
	v_xor_b32_e32 v22, v12, v3
	v_xor_b32_e32 v23, v13, v3
	s_wait_alu 0xfffe
	s_fmamk_f32 s0, s14, 0x4f800000, s0
	v_xor_b32_e32 v3, s50, v3
	s_wait_alu 0xfffe
	s_delay_alu instid0(SALU_CYCLE_1) | instskip(NEXT) | instid1(TRANS32_DEP_1)
	v_s_rcp_f32 s0, s0
	s_mul_f32 s0, s0, 0x5f7ffffc
	s_wait_alu 0xfffe
	s_delay_alu instid0(SALU_CYCLE_2) | instskip(SKIP_1) | instid1(SALU_CYCLE_2)
	s_mul_f32 s14, s0, 0x2f800000
	s_wait_alu 0xfffe
	s_trunc_f32 s14, s14
	s_wait_alu 0xfffe
	s_delay_alu instid0(SALU_CYCLE_2) | instskip(SKIP_2) | instid1(SALU_CYCLE_1)
	s_fmamk_f32 s0, s14, 0xcf800000, s0
	s_cvt_u32_f32 s55, s14
	s_wait_alu 0xfffe
	s_cvt_u32_f32 s54, s0
	s_wait_alu 0xfffe
	s_delay_alu instid0(SALU_CYCLE_2)
	s_mul_u64 s[58:59], s[56:57], s[54:55]
	s_wait_alu 0xfffe
	s_mul_hi_u32 s61, s54, s59
	s_mul_i32 s60, s54, s59
	s_mul_hi_u32 s14, s54, s58
	s_mul_i32 s51, s55, s58
	s_wait_alu 0xfffe
	s_add_nc_u64 s[60:61], s[14:15], s[60:61]
	s_mul_hi_u32 s0, s55, s58
	s_mul_hi_u32 s66, s55, s59
	s_wait_alu 0xfffe
	s_add_co_u32 s14, s60, s51
	s_add_co_ci_u32 s14, s61, s0
	s_mul_i32 s58, s55, s59
	s_add_co_ci_u32 s59, s66, 0
	s_wait_alu 0xfffe
	s_add_nc_u64 s[58:59], s[14:15], s[58:59]
	s_wait_alu 0xfffe
	s_add_co_u32 s54, s54, s58
	s_cselect_b32 s0, -1, 0
	s_wait_alu 0xfffe
	s_cmp_lg_u32 s0, 0
	s_add_co_ci_u32 s55, s55, s59
	s_wait_alu 0xfffe
	s_mul_u64 s[56:57], s[56:57], s[54:55]
	s_wait_alu 0xfffe
	s_mul_hi_u32 s59, s54, s57
	s_mul_i32 s58, s54, s57
	s_mul_hi_u32 s14, s54, s56
	s_mul_i32 s51, s55, s56
	s_wait_alu 0xfffe
	s_add_nc_u64 s[58:59], s[14:15], s[58:59]
	s_mul_hi_u32 s0, s55, s56
	s_mul_hi_u32 s60, s55, s57
	s_wait_alu 0xfffe
	s_add_co_u32 s14, s58, s51
	s_add_co_ci_u32 s14, s59, s0
	s_mul_i32 s56, s55, s57
	s_add_co_ci_u32 s57, s60, 0
	s_wait_alu 0xfffe
	s_add_nc_u64 s[56:57], s[14:15], s[56:57]
	s_wait_alu 0xfffe
	s_add_co_u32 s0, s54, s56
	s_cselect_b32 s14, -1, 0
	s_wait_alu 0xfffe
	v_mul_hi_u32 v24, v22, s0
	s_cmp_lg_u32 s14, 0
	v_mad_co_u64_u32 v[14:15], null, v23, s0, 0
	s_add_co_ci_u32 s14, s55, s57
	s_wait_alu 0xfffe
	v_mad_co_u64_u32 v[12:13], null, v22, s14, 0
	v_mad_co_u64_u32 v[16:17], null, v23, s14, 0
	s_delay_alu instid0(VALU_DEP_2) | instskip(SKIP_1) | instid1(VALU_DEP_3)
	v_add_co_u32 v12, vcc_lo, v24, v12
	s_wait_alu 0xfffd
	v_add_co_ci_u32_e64 v13, null, 0, v13, vcc_lo
	s_delay_alu instid0(VALU_DEP_2) | instskip(SKIP_1) | instid1(VALU_DEP_2)
	v_add_co_u32 v12, vcc_lo, v12, v14
	s_wait_alu 0xfffd
	v_add_co_ci_u32_e32 v12, vcc_lo, v13, v15, vcc_lo
	s_wait_alu 0xfffd
	v_add_co_ci_u32_e32 v13, vcc_lo, 0, v17, vcc_lo
	s_delay_alu instid0(VALU_DEP_2) | instskip(SKIP_1) | instid1(VALU_DEP_2)
	v_add_co_u32 v14, vcc_lo, v12, v16
	s_wait_alu 0xfffd
	v_add_co_ci_u32_e64 v15, null, 0, v13, vcc_lo
	s_delay_alu instid0(VALU_DEP_2) | instskip(SKIP_1) | instid1(VALU_DEP_3)
	v_mul_lo_u32 v16, s53, v14
	v_mad_co_u64_u32 v[12:13], null, s52, v14, 0
	v_mul_lo_u32 v17, s52, v15
	s_delay_alu instid0(VALU_DEP_2) | instskip(NEXT) | instid1(VALU_DEP_2)
	v_sub_co_u32 v12, vcc_lo, v22, v12
	v_add3_u32 v13, v13, v17, v16
	v_add_co_u32 v17, s0, v14, 2
	s_wait_alu 0xf1ff
	v_add_co_ci_u32_e64 v22, null, 0, v15, s0
	s_delay_alu instid0(VALU_DEP_3) | instskip(SKIP_3) | instid1(VALU_DEP_3)
	v_sub_nc_u32_e32 v16, v23, v13
	v_sub_co_u32 v24, s0, v12, s52
	s_wait_alu 0xfffd
	v_sub_co_ci_u32_e64 v13, null, v23, v13, vcc_lo
	v_subrev_co_ci_u32_e64 v16, null, s53, v16, vcc_lo
	s_delay_alu instid0(VALU_DEP_3) | instskip(SKIP_1) | instid1(VALU_DEP_2)
	v_cmp_le_u32_e32 vcc_lo, s52, v24
	s_wait_alu 0xf1ff
	v_subrev_co_ci_u32_e64 v16, null, 0, v16, s0
	s_wait_alu 0xfffd
	v_cndmask_b32_e64 v23, 0, -1, vcc_lo
	s_delay_alu instid0(VALU_DEP_2)
	v_cmp_le_u32_e32 vcc_lo, s53, v16
	s_wait_alu 0xfffd
	v_cndmask_b32_e64 v24, 0, -1, vcc_lo
	v_cmp_le_u32_e32 vcc_lo, s52, v12
	s_wait_alu 0xfffd
	v_cndmask_b32_e64 v12, 0, -1, vcc_lo
	;; [unrolled: 3-line block ×3, first 2 shown]
	v_cmp_eq_u32_e32 vcc_lo, s53, v16
	s_wait_alu 0xfffd
	v_cndmask_b32_e32 v16, v24, v23, vcc_lo
	v_add_co_u32 v23, vcc_lo, v14, 1
	s_wait_alu 0xfffd
	v_add_co_ci_u32_e64 v24, null, 0, v15, vcc_lo
	v_cmp_eq_u32_e32 vcc_lo, s53, v13
	s_wait_alu 0xfffd
	v_cndmask_b32_e32 v12, v25, v12, vcc_lo
	v_cmp_ne_u32_e32 vcc_lo, 0, v16
	s_wait_alu 0xfffd
	v_cndmask_b32_e32 v13, v24, v22, vcc_lo
	s_delay_alu instid0(VALU_DEP_3) | instskip(SKIP_2) | instid1(VALU_DEP_2)
	v_cmp_ne_u32_e64 s0, 0, v12
	v_cndmask_b32_e32 v12, v23, v17, vcc_lo
	s_wait_alu 0xf1ff
	v_cndmask_b32_e64 v13, v15, v13, s0
	s_delay_alu instid0(VALU_DEP_2) | instskip(NEXT) | instid1(VALU_DEP_2)
	v_cndmask_b32_e64 v12, v14, v12, s0
	v_xor_b32_e32 v13, v13, v3
	s_delay_alu instid0(VALU_DEP_2) | instskip(NEXT) | instid1(VALU_DEP_1)
	v_xor_b32_e32 v12, v12, v3
	v_sub_co_u32 v12, vcc_lo, v12, v3
	s_wait_alu 0xfffd
	s_delay_alu instid0(VALU_DEP_3)
	v_sub_co_ci_u32_e64 v13, null, v13, v3, vcc_lo
.LBB98_28:                              ;   in Loop: Header=BB98_22 Depth=2
	s_wait_alu 0xfffe
	s_and_not1_saveexec_b32 s0, s1
	s_cbranch_execz .LBB98_30
; %bb.29:                               ;   in Loop: Header=BB98_22 Depth=2
	v_cvt_f32_u32_e32 v3, s48
	s_sub_co_i32 s1, 0, s48
	s_delay_alu instid0(VALU_DEP_1) | instskip(NEXT) | instid1(TRANS32_DEP_1)
	v_rcp_iflag_f32_e32 v3, v3
	v_mul_f32_e32 v3, 0x4f7ffffe, v3
	s_delay_alu instid0(VALU_DEP_1) | instskip(SKIP_1) | instid1(VALU_DEP_1)
	v_cvt_u32_f32_e32 v3, v3
	s_wait_alu 0xfffe
	v_mul_lo_u32 v12, s1, v3
	s_delay_alu instid0(VALU_DEP_1) | instskip(NEXT) | instid1(VALU_DEP_1)
	v_mul_hi_u32 v12, v3, v12
	v_add_nc_u32_e32 v3, v3, v12
	s_delay_alu instid0(VALU_DEP_1) | instskip(NEXT) | instid1(VALU_DEP_1)
	v_mul_hi_u32 v3, v10, v3
	v_mul_lo_u32 v12, v3, s48
	v_add_nc_u32_e32 v13, 1, v3
	s_delay_alu instid0(VALU_DEP_2) | instskip(NEXT) | instid1(VALU_DEP_1)
	v_sub_nc_u32_e32 v12, v10, v12
	v_subrev_nc_u32_e32 v14, s48, v12
	v_cmp_le_u32_e32 vcc_lo, s48, v12
	s_wait_alu 0xfffd
	s_delay_alu instid0(VALU_DEP_2) | instskip(NEXT) | instid1(VALU_DEP_1)
	v_dual_cndmask_b32 v12, v12, v14 :: v_dual_cndmask_b32 v3, v3, v13
	v_cmp_le_u32_e32 vcc_lo, s48, v12
	s_delay_alu instid0(VALU_DEP_2) | instskip(SKIP_1) | instid1(VALU_DEP_1)
	v_add_nc_u32_e32 v13, 1, v3
	s_wait_alu 0xfffd
	v_dual_cndmask_b32 v12, v3, v13 :: v_dual_mov_b32 v13, v2
.LBB98_30:                              ;   in Loop: Header=BB98_22 Depth=2
	s_wait_alu 0xfffe
	s_or_b32 exec_lo, exec_lo, s0
	s_load_b64 s[52:53], s[40:41], 0x8
	s_load_b64 s[50:51], s[38:39], 0x10
                                        ; implicit-def: $vgpr14_vgpr15
	s_mov_b32 s0, exec_lo
	s_wait_kmcnt 0x0
	v_or_b32_e32 v3, s53, v13
	s_delay_alu instid0(VALU_DEP_1)
	v_cmpx_ne_u64_e32 0, v[2:3]
	s_wait_alu 0xfffe
	s_xor_b32 s1, exec_lo, s0
	s_cbranch_execz .LBB98_32
; %bb.31:                               ;   in Loop: Header=BB98_22 Depth=2
	s_ashr_i32 s54, s53, 31
	v_ashrrev_i32_e32 v3, 31, v13
	s_wait_alu 0xfffe
	s_mov_b32 s55, s54
	s_wait_alu 0xfffe
	s_add_nc_u64 s[56:57], s[52:53], s[54:55]
	v_add_co_u32 v14, vcc_lo, v12, v3
	s_wait_alu 0xfffe
	s_xor_b64 s[56:57], s[56:57], s[54:55]
	s_wait_alu 0xfffd
	v_add_co_ci_u32_e64 v15, null, v13, v3, vcc_lo
	s_wait_alu 0xfffe
	s_cvt_f32_u32 s0, s56
	s_cvt_f32_u32 s14, s57
	s_sub_nc_u64 s[60:61], 0, s[56:57]
	v_xor_b32_e32 v24, v14, v3
	v_xor_b32_e32 v25, v15, v3
	s_wait_alu 0xfffe
	s_fmamk_f32 s0, s14, 0x4f800000, s0
	v_xor_b32_e32 v3, s54, v3
	s_wait_alu 0xfffe
	s_delay_alu instid0(SALU_CYCLE_1) | instskip(NEXT) | instid1(TRANS32_DEP_1)
	v_s_rcp_f32 s0, s0
	s_mul_f32 s0, s0, 0x5f7ffffc
	s_wait_alu 0xfffe
	s_delay_alu instid0(SALU_CYCLE_2) | instskip(SKIP_1) | instid1(SALU_CYCLE_2)
	s_mul_f32 s14, s0, 0x2f800000
	s_wait_alu 0xfffe
	s_trunc_f32 s14, s14
	s_wait_alu 0xfffe
	s_delay_alu instid0(SALU_CYCLE_2) | instskip(SKIP_2) | instid1(SALU_CYCLE_1)
	s_fmamk_f32 s0, s14, 0xcf800000, s0
	s_cvt_u32_f32 s59, s14
	s_wait_alu 0xfffe
	s_cvt_u32_f32 s58, s0
	s_wait_alu 0xfffe
	s_delay_alu instid0(SALU_CYCLE_2) | instskip(NEXT) | instid1(SALU_CYCLE_1)
	s_mul_u64 s[66:67], s[60:61], s[58:59]
	s_mul_hi_u32 s69, s58, s67
	s_mul_i32 s68, s58, s67
	s_mul_hi_u32 s14, s58, s66
	s_mul_i32 s55, s59, s66
	s_wait_alu 0xfffe
	s_add_nc_u64 s[68:69], s[14:15], s[68:69]
	s_mul_hi_u32 s0, s59, s66
	s_mul_hi_u32 s70, s59, s67
	s_add_co_u32 s14, s68, s55
	s_wait_alu 0xfffe
	s_add_co_ci_u32 s14, s69, s0
	s_mul_i32 s66, s59, s67
	s_add_co_ci_u32 s67, s70, 0
	s_wait_alu 0xfffe
	s_add_nc_u64 s[66:67], s[14:15], s[66:67]
	s_delay_alu instid0(SALU_CYCLE_1)
	s_add_co_u32 s58, s58, s66
	s_cselect_b32 s0, -1, 0
	s_wait_alu 0xfffe
	s_cmp_lg_u32 s0, 0
	s_add_co_ci_u32 s59, s59, s67
	s_wait_alu 0xfffe
	s_mul_u64 s[60:61], s[60:61], s[58:59]
	s_wait_alu 0xfffe
	s_mul_hi_u32 s67, s58, s61
	s_mul_i32 s66, s58, s61
	s_mul_hi_u32 s14, s58, s60
	s_mul_i32 s55, s59, s60
	s_wait_alu 0xfffe
	s_add_nc_u64 s[66:67], s[14:15], s[66:67]
	s_mul_hi_u32 s0, s59, s60
	s_mul_hi_u32 s68, s59, s61
	s_add_co_u32 s14, s66, s55
	s_wait_alu 0xfffe
	s_add_co_ci_u32 s14, s67, s0
	s_mul_i32 s60, s59, s61
	s_add_co_ci_u32 s61, s68, 0
	s_wait_alu 0xfffe
	s_add_nc_u64 s[60:61], s[14:15], s[60:61]
	s_wait_alu 0xfffe
	s_add_co_u32 s0, s58, s60
	s_cselect_b32 s14, -1, 0
	s_wait_alu 0xfffe
	v_mul_hi_u32 v26, v24, s0
	s_cmp_lg_u32 s14, 0
	v_mad_co_u64_u32 v[16:17], null, v25, s0, 0
	s_add_co_ci_u32 s14, s59, s61
	s_wait_alu 0xfffe
	v_mad_co_u64_u32 v[14:15], null, v24, s14, 0
	v_mad_co_u64_u32 v[22:23], null, v25, s14, 0
	s_delay_alu instid0(VALU_DEP_2) | instskip(SKIP_1) | instid1(VALU_DEP_3)
	v_add_co_u32 v14, vcc_lo, v26, v14
	s_wait_alu 0xfffd
	v_add_co_ci_u32_e64 v15, null, 0, v15, vcc_lo
	s_delay_alu instid0(VALU_DEP_2) | instskip(SKIP_1) | instid1(VALU_DEP_2)
	v_add_co_u32 v14, vcc_lo, v14, v16
	s_wait_alu 0xfffd
	v_add_co_ci_u32_e32 v14, vcc_lo, v15, v17, vcc_lo
	s_wait_alu 0xfffd
	v_add_co_ci_u32_e32 v15, vcc_lo, 0, v23, vcc_lo
	s_delay_alu instid0(VALU_DEP_2) | instskip(SKIP_1) | instid1(VALU_DEP_2)
	v_add_co_u32 v16, vcc_lo, v14, v22
	s_wait_alu 0xfffd
	v_add_co_ci_u32_e64 v17, null, 0, v15, vcc_lo
	s_delay_alu instid0(VALU_DEP_2) | instskip(SKIP_1) | instid1(VALU_DEP_3)
	v_mul_lo_u32 v22, s57, v16
	v_mad_co_u64_u32 v[14:15], null, s56, v16, 0
	v_mul_lo_u32 v23, s56, v17
	s_delay_alu instid0(VALU_DEP_2) | instskip(NEXT) | instid1(VALU_DEP_2)
	v_sub_co_u32 v14, vcc_lo, v24, v14
	v_add3_u32 v15, v15, v23, v22
	v_add_co_u32 v23, s0, v16, 2
	s_wait_alu 0xf1ff
	v_add_co_ci_u32_e64 v24, null, 0, v17, s0
	s_delay_alu instid0(VALU_DEP_3) | instskip(SKIP_3) | instid1(VALU_DEP_3)
	v_sub_nc_u32_e32 v22, v25, v15
	v_sub_co_u32 v26, s0, v14, s56
	s_wait_alu 0xfffd
	v_sub_co_ci_u32_e64 v15, null, v25, v15, vcc_lo
	v_subrev_co_ci_u32_e64 v22, null, s57, v22, vcc_lo
	s_delay_alu instid0(VALU_DEP_3) | instskip(SKIP_1) | instid1(VALU_DEP_2)
	v_cmp_le_u32_e32 vcc_lo, s56, v26
	s_wait_alu 0xf1ff
	v_subrev_co_ci_u32_e64 v22, null, 0, v22, s0
	s_wait_alu 0xfffd
	v_cndmask_b32_e64 v25, 0, -1, vcc_lo
	s_delay_alu instid0(VALU_DEP_2)
	v_cmp_le_u32_e32 vcc_lo, s57, v22
	s_wait_alu 0xfffd
	v_cndmask_b32_e64 v26, 0, -1, vcc_lo
	v_cmp_le_u32_e32 vcc_lo, s56, v14
	s_wait_alu 0xfffd
	v_cndmask_b32_e64 v14, 0, -1, vcc_lo
	;; [unrolled: 3-line block ×3, first 2 shown]
	v_cmp_eq_u32_e32 vcc_lo, s57, v22
	s_wait_alu 0xfffd
	v_cndmask_b32_e32 v22, v26, v25, vcc_lo
	v_add_co_u32 v25, vcc_lo, v16, 1
	s_wait_alu 0xfffd
	v_add_co_ci_u32_e64 v26, null, 0, v17, vcc_lo
	v_cmp_eq_u32_e32 vcc_lo, s57, v15
	s_wait_alu 0xfffd
	v_cndmask_b32_e32 v14, v27, v14, vcc_lo
	v_cmp_ne_u32_e32 vcc_lo, 0, v22
	s_wait_alu 0xfffd
	v_cndmask_b32_e32 v15, v26, v24, vcc_lo
	s_delay_alu instid0(VALU_DEP_3) | instskip(SKIP_2) | instid1(VALU_DEP_2)
	v_cmp_ne_u32_e64 s0, 0, v14
	v_cndmask_b32_e32 v14, v25, v23, vcc_lo
	s_wait_alu 0xf1ff
	v_cndmask_b32_e64 v15, v17, v15, s0
	s_delay_alu instid0(VALU_DEP_2) | instskip(NEXT) | instid1(VALU_DEP_2)
	v_cndmask_b32_e64 v14, v16, v14, s0
	v_xor_b32_e32 v15, v15, v3
	s_delay_alu instid0(VALU_DEP_2) | instskip(NEXT) | instid1(VALU_DEP_1)
	v_xor_b32_e32 v14, v14, v3
	v_sub_co_u32 v14, vcc_lo, v14, v3
	s_wait_alu 0xfffd
	s_delay_alu instid0(VALU_DEP_3)
	v_sub_co_ci_u32_e64 v15, null, v15, v3, vcc_lo
.LBB98_32:                              ;   in Loop: Header=BB98_22 Depth=2
	s_wait_alu 0xfffe
	s_and_not1_saveexec_b32 s0, s1
	s_cbranch_execz .LBB98_34
; %bb.33:                               ;   in Loop: Header=BB98_22 Depth=2
	v_cvt_f32_u32_e32 v3, s52
	s_sub_co_i32 s1, 0, s52
	s_delay_alu instid0(VALU_DEP_1) | instskip(NEXT) | instid1(TRANS32_DEP_1)
	v_rcp_iflag_f32_e32 v3, v3
	v_mul_f32_e32 v3, 0x4f7ffffe, v3
	s_delay_alu instid0(VALU_DEP_1) | instskip(SKIP_1) | instid1(VALU_DEP_1)
	v_cvt_u32_f32_e32 v3, v3
	s_wait_alu 0xfffe
	v_mul_lo_u32 v14, s1, v3
	s_delay_alu instid0(VALU_DEP_1) | instskip(NEXT) | instid1(VALU_DEP_1)
	v_mul_hi_u32 v14, v3, v14
	v_add_nc_u32_e32 v3, v3, v14
	s_delay_alu instid0(VALU_DEP_1) | instskip(NEXT) | instid1(VALU_DEP_1)
	v_mul_hi_u32 v3, v12, v3
	v_mul_lo_u32 v14, v3, s52
	v_add_nc_u32_e32 v15, 1, v3
	s_delay_alu instid0(VALU_DEP_2) | instskip(NEXT) | instid1(VALU_DEP_1)
	v_sub_nc_u32_e32 v14, v12, v14
	v_subrev_nc_u32_e32 v16, s52, v14
	v_cmp_le_u32_e32 vcc_lo, s52, v14
	s_wait_alu 0xfffd
	s_delay_alu instid0(VALU_DEP_2) | instskip(NEXT) | instid1(VALU_DEP_1)
	v_dual_cndmask_b32 v14, v14, v16 :: v_dual_cndmask_b32 v3, v3, v15
	v_cmp_le_u32_e32 vcc_lo, s52, v14
	s_delay_alu instid0(VALU_DEP_2) | instskip(SKIP_1) | instid1(VALU_DEP_1)
	v_add_nc_u32_e32 v15, 1, v3
	s_wait_alu 0xfffd
	v_dual_cndmask_b32 v14, v3, v15 :: v_dual_mov_b32 v15, v2
.LBB98_34:                              ;   in Loop: Header=BB98_22 Depth=2
	s_wait_alu 0xfffe
	s_or_b32 exec_lo, exec_lo, s0
	s_load_b64 s[56:57], s[40:41], 0x0
	s_load_b64 s[54:55], s[38:39], 0x8
                                        ; implicit-def: $vgpr16_vgpr17
	s_mov_b32 s0, exec_lo
	s_wait_kmcnt 0x0
	v_or_b32_e32 v3, s57, v15
	s_delay_alu instid0(VALU_DEP_1)
	v_cmpx_ne_u64_e32 0, v[2:3]
	s_wait_alu 0xfffe
	s_xor_b32 s1, exec_lo, s0
	s_cbranch_execz .LBB98_36
; %bb.35:                               ;   in Loop: Header=BB98_22 Depth=2
	s_ashr_i32 s58, s57, 31
	v_ashrrev_i32_e32 v3, 31, v15
	s_wait_alu 0xfffe
	s_mov_b32 s59, s58
	s_wait_alu 0xfffe
	s_add_nc_u64 s[60:61], s[56:57], s[58:59]
	v_add_co_u32 v16, vcc_lo, v14, v3
	s_wait_alu 0xfffe
	s_xor_b64 s[60:61], s[60:61], s[58:59]
	s_wait_alu 0xfffd
	v_add_co_ci_u32_e64 v17, null, v15, v3, vcc_lo
	s_wait_alu 0xfffe
	s_cvt_f32_u32 s0, s60
	s_cvt_f32_u32 s14, s61
	s_sub_nc_u64 s[68:69], 0, s[60:61]
	v_xor_b32_e32 v26, v16, v3
	v_xor_b32_e32 v27, v17, v3
	s_wait_alu 0xfffe
	s_fmamk_f32 s0, s14, 0x4f800000, s0
	v_xor_b32_e32 v3, s58, v3
	s_wait_alu 0xfffe
	s_delay_alu instid0(SALU_CYCLE_1) | instskip(NEXT) | instid1(TRANS32_DEP_1)
	v_s_rcp_f32 s0, s0
	s_mul_f32 s0, s0, 0x5f7ffffc
	s_wait_alu 0xfffe
	s_delay_alu instid0(SALU_CYCLE_2) | instskip(SKIP_1) | instid1(SALU_CYCLE_2)
	s_mul_f32 s14, s0, 0x2f800000
	s_wait_alu 0xfffe
	s_trunc_f32 s14, s14
	s_wait_alu 0xfffe
	s_delay_alu instid0(SALU_CYCLE_2) | instskip(SKIP_2) | instid1(SALU_CYCLE_1)
	s_fmamk_f32 s0, s14, 0xcf800000, s0
	s_cvt_u32_f32 s67, s14
	s_wait_alu 0xfffe
	s_cvt_u32_f32 s66, s0
	s_delay_alu instid0(SALU_CYCLE_3) | instskip(NEXT) | instid1(SALU_CYCLE_1)
	s_mul_u64 s[70:71], s[68:69], s[66:67]
	s_mul_hi_u32 s73, s66, s71
	s_mul_i32 s72, s66, s71
	s_mul_hi_u32 s14, s66, s70
	s_mul_i32 s59, s67, s70
	s_wait_alu 0xfffe
	s_add_nc_u64 s[72:73], s[14:15], s[72:73]
	s_mul_hi_u32 s0, s67, s70
	s_mul_hi_u32 s74, s67, s71
	s_add_co_u32 s14, s72, s59
	s_wait_alu 0xfffe
	s_add_co_ci_u32 s14, s73, s0
	s_mul_i32 s70, s67, s71
	s_add_co_ci_u32 s71, s74, 0
	s_wait_alu 0xfffe
	s_add_nc_u64 s[70:71], s[14:15], s[70:71]
	s_delay_alu instid0(SALU_CYCLE_1) | instskip(SKIP_4) | instid1(SALU_CYCLE_1)
	s_add_co_u32 s66, s66, s70
	s_cselect_b32 s0, -1, 0
	s_wait_alu 0xfffe
	s_cmp_lg_u32 s0, 0
	s_add_co_ci_u32 s67, s67, s71
	s_mul_u64 s[68:69], s[68:69], s[66:67]
	s_delay_alu instid0(SALU_CYCLE_1)
	s_mul_hi_u32 s71, s66, s69
	s_mul_i32 s70, s66, s69
	s_mul_hi_u32 s14, s66, s68
	s_mul_i32 s59, s67, s68
	s_wait_alu 0xfffe
	s_add_nc_u64 s[70:71], s[14:15], s[70:71]
	s_mul_hi_u32 s0, s67, s68
	s_mul_hi_u32 s72, s67, s69
	s_add_co_u32 s14, s70, s59
	s_wait_alu 0xfffe
	s_add_co_ci_u32 s14, s71, s0
	s_mul_i32 s68, s67, s69
	s_add_co_ci_u32 s69, s72, 0
	s_wait_alu 0xfffe
	s_add_nc_u64 s[68:69], s[14:15], s[68:69]
	s_delay_alu instid0(SALU_CYCLE_1)
	s_add_co_u32 s0, s66, s68
	s_cselect_b32 s14, -1, 0
	s_wait_alu 0xfffe
	v_mul_hi_u32 v28, v26, s0
	s_cmp_lg_u32 s14, 0
	v_mad_co_u64_u32 v[22:23], null, v27, s0, 0
	s_add_co_ci_u32 s14, s67, s69
	s_wait_alu 0xfffe
	v_mad_co_u64_u32 v[16:17], null, v26, s14, 0
	v_mad_co_u64_u32 v[24:25], null, v27, s14, 0
	s_delay_alu instid0(VALU_DEP_2) | instskip(SKIP_1) | instid1(VALU_DEP_3)
	v_add_co_u32 v16, vcc_lo, v28, v16
	s_wait_alu 0xfffd
	v_add_co_ci_u32_e64 v17, null, 0, v17, vcc_lo
	s_delay_alu instid0(VALU_DEP_2) | instskip(SKIP_1) | instid1(VALU_DEP_2)
	v_add_co_u32 v16, vcc_lo, v16, v22
	s_wait_alu 0xfffd
	v_add_co_ci_u32_e32 v16, vcc_lo, v17, v23, vcc_lo
	s_wait_alu 0xfffd
	v_add_co_ci_u32_e32 v17, vcc_lo, 0, v25, vcc_lo
	s_delay_alu instid0(VALU_DEP_2) | instskip(SKIP_1) | instid1(VALU_DEP_2)
	v_add_co_u32 v22, vcc_lo, v16, v24
	s_wait_alu 0xfffd
	v_add_co_ci_u32_e64 v23, null, 0, v17, vcc_lo
	s_delay_alu instid0(VALU_DEP_2) | instskip(SKIP_1) | instid1(VALU_DEP_3)
	v_mul_lo_u32 v24, s61, v22
	v_mad_co_u64_u32 v[16:17], null, s60, v22, 0
	v_mul_lo_u32 v25, s60, v23
	s_delay_alu instid0(VALU_DEP_2) | instskip(NEXT) | instid1(VALU_DEP_2)
	v_sub_co_u32 v16, vcc_lo, v26, v16
	v_add3_u32 v17, v17, v25, v24
	v_add_co_u32 v25, s0, v22, 2
	s_wait_alu 0xf1ff
	v_add_co_ci_u32_e64 v26, null, 0, v23, s0
	s_delay_alu instid0(VALU_DEP_3) | instskip(SKIP_3) | instid1(VALU_DEP_3)
	v_sub_nc_u32_e32 v24, v27, v17
	v_sub_co_u32 v28, s0, v16, s60
	s_wait_alu 0xfffd
	v_sub_co_ci_u32_e64 v17, null, v27, v17, vcc_lo
	v_subrev_co_ci_u32_e64 v24, null, s61, v24, vcc_lo
	s_delay_alu instid0(VALU_DEP_3) | instskip(SKIP_1) | instid1(VALU_DEP_2)
	v_cmp_le_u32_e32 vcc_lo, s60, v28
	s_wait_alu 0xf1ff
	v_subrev_co_ci_u32_e64 v24, null, 0, v24, s0
	s_wait_alu 0xfffd
	v_cndmask_b32_e64 v27, 0, -1, vcc_lo
	s_delay_alu instid0(VALU_DEP_2)
	v_cmp_le_u32_e32 vcc_lo, s61, v24
	s_wait_alu 0xfffd
	v_cndmask_b32_e64 v28, 0, -1, vcc_lo
	v_cmp_le_u32_e32 vcc_lo, s60, v16
	s_wait_alu 0xfffd
	v_cndmask_b32_e64 v16, 0, -1, vcc_lo
	v_cmp_le_u32_e32 vcc_lo, s61, v17
	s_wait_alu 0xfffd
	v_cndmask_b32_e64 v29, 0, -1, vcc_lo
	v_cmp_eq_u32_e32 vcc_lo, s61, v24
	s_wait_alu 0xfffd
	v_cndmask_b32_e32 v24, v28, v27, vcc_lo
	v_add_co_u32 v27, vcc_lo, v22, 1
	s_wait_alu 0xfffd
	v_add_co_ci_u32_e64 v28, null, 0, v23, vcc_lo
	v_cmp_eq_u32_e32 vcc_lo, s61, v17
	s_wait_alu 0xfffd
	v_cndmask_b32_e32 v16, v29, v16, vcc_lo
	v_cmp_ne_u32_e32 vcc_lo, 0, v24
	s_wait_alu 0xfffd
	v_cndmask_b32_e32 v17, v28, v26, vcc_lo
	s_delay_alu instid0(VALU_DEP_3) | instskip(SKIP_2) | instid1(VALU_DEP_2)
	v_cmp_ne_u32_e64 s0, 0, v16
	v_cndmask_b32_e32 v16, v27, v25, vcc_lo
	s_wait_alu 0xf1ff
	v_cndmask_b32_e64 v17, v23, v17, s0
	s_delay_alu instid0(VALU_DEP_2) | instskip(NEXT) | instid1(VALU_DEP_2)
	v_cndmask_b32_e64 v16, v22, v16, s0
	v_xor_b32_e32 v17, v17, v3
	s_delay_alu instid0(VALU_DEP_2) | instskip(NEXT) | instid1(VALU_DEP_1)
	v_xor_b32_e32 v16, v16, v3
	v_sub_co_u32 v16, vcc_lo, v16, v3
	s_wait_alu 0xfffd
	s_delay_alu instid0(VALU_DEP_3)
	v_sub_co_ci_u32_e64 v17, null, v17, v3, vcc_lo
.LBB98_36:                              ;   in Loop: Header=BB98_22 Depth=2
	s_wait_alu 0xfffe
	s_and_not1_saveexec_b32 s0, s1
	s_cbranch_execz .LBB98_21
; %bb.37:                               ;   in Loop: Header=BB98_22 Depth=2
	v_cvt_f32_u32_e32 v3, s56
	s_sub_co_i32 s1, 0, s56
	s_delay_alu instid0(VALU_DEP_1) | instskip(NEXT) | instid1(TRANS32_DEP_1)
	v_rcp_iflag_f32_e32 v3, v3
	v_mul_f32_e32 v3, 0x4f7ffffe, v3
	s_delay_alu instid0(VALU_DEP_1) | instskip(SKIP_1) | instid1(VALU_DEP_1)
	v_cvt_u32_f32_e32 v3, v3
	s_wait_alu 0xfffe
	v_mul_lo_u32 v16, s1, v3
	s_delay_alu instid0(VALU_DEP_1) | instskip(NEXT) | instid1(VALU_DEP_1)
	v_mul_hi_u32 v16, v3, v16
	v_add_nc_u32_e32 v3, v3, v16
	s_delay_alu instid0(VALU_DEP_1) | instskip(NEXT) | instid1(VALU_DEP_1)
	v_mul_hi_u32 v3, v14, v3
	v_mul_lo_u32 v16, v3, s56
	v_add_nc_u32_e32 v17, 1, v3
	s_delay_alu instid0(VALU_DEP_2) | instskip(NEXT) | instid1(VALU_DEP_1)
	v_sub_nc_u32_e32 v16, v14, v16
	v_subrev_nc_u32_e32 v22, s56, v16
	v_cmp_le_u32_e32 vcc_lo, s56, v16
	s_wait_alu 0xfffd
	s_delay_alu instid0(VALU_DEP_2) | instskip(NEXT) | instid1(VALU_DEP_1)
	v_dual_cndmask_b32 v16, v16, v22 :: v_dual_cndmask_b32 v3, v3, v17
	v_cmp_le_u32_e32 vcc_lo, s56, v16
	s_delay_alu instid0(VALU_DEP_2) | instskip(SKIP_1) | instid1(VALU_DEP_1)
	v_add_nc_u32_e32 v17, 1, v3
	s_wait_alu 0xfffd
	v_dual_cndmask_b32 v16, v3, v17 :: v_dual_mov_b32 v17, v2
	s_branch .LBB98_21
.LBB98_38:                              ;   in Loop: Header=BB98_3 Depth=1
	s_load_b64 s[0:1], s[24:25], 0x0
	s_wait_kmcnt 0x0
	v_cmp_gt_i64_e32 vcc_lo, s[0:1], v[4:5]
	s_and_b32 exec_lo, exec_lo, vcc_lo
	s_cbranch_execz .LBB98_2
; %bb.39:                               ;   in Loop: Header=BB98_3 Depth=1
	v_lshlrev_b64_e32 v[6:7], 1, v[6:7]
	v_add_co_u32 v8, vcc_lo, v4, 1
	s_wait_alu 0xfffd
	v_add_co_ci_u32_e64 v9, null, 0, v5, vcc_lo
	s_delay_alu instid0(VALU_DEP_3) | instskip(SKIP_2) | instid1(VALU_DEP_3)
	v_add_co_u32 v6, vcc_lo, s10, v6
	s_wait_alu 0xfffd
	v_add_co_ci_u32_e64 v7, null, s11, v7, vcc_lo
	v_cmp_gt_i64_e32 vcc_lo, s[0:1], v[8:9]
	global_store_b16 v[6:7], v2, off
	s_and_b32 exec_lo, exec_lo, vcc_lo
	s_cbranch_execz .LBB98_2
; %bb.40:                               ;   in Loop: Header=BB98_3 Depth=1
	v_sub_co_u32 v8, vcc_lo, v8, v20
	s_wait_alu 0xfffd
	v_sub_co_ci_u32_e64 v9, null, v9, v21, vcc_lo
	s_mov_b32 s14, exec_lo
	v_cmpx_gt_i64_e64 s[4:5], v[8:9]
	s_cbranch_execz .LBB98_42
; %bb.41:                               ;   in Loop: Header=BB98_3 Depth=1
	s_lshl_b64 s[38:39], s[2:3], 1
	s_wait_alu 0xfffe
	v_add_co_u32 v8, vcc_lo, v6, s38
	s_wait_alu 0xfffd
	v_add_co_ci_u32_e64 v9, null, s39, v7, vcc_lo
	global_store_b16 v[8:9], v2, off
.LBB98_42:                              ;   in Loop: Header=BB98_3 Depth=1
	s_wait_alu 0xfffe
	s_or_b32 exec_lo, exec_lo, s14
	v_add_co_u32 v8, vcc_lo, v4, 2
	s_wait_alu 0xfffd
	v_add_co_ci_u32_e64 v9, null, 0, v5, vcc_lo
	s_delay_alu instid0(VALU_DEP_1)
	v_cmp_gt_i64_e32 vcc_lo, s[0:1], v[8:9]
	s_and_b32 exec_lo, exec_lo, vcc_lo
	s_cbranch_execz .LBB98_2
; %bb.43:                               ;   in Loop: Header=BB98_3 Depth=1
	v_sub_co_u32 v8, vcc_lo, v8, v20
	s_wait_alu 0xfffd
	v_sub_co_ci_u32_e64 v9, null, v9, v21, vcc_lo
	s_mov_b32 s14, exec_lo
	v_cmpx_gt_i64_e64 s[4:5], v[8:9]
	s_cbranch_execz .LBB98_45
; %bb.44:                               ;   in Loop: Header=BB98_3 Depth=1
	s_lshl_b64 s[38:39], s[2:3], 2
	s_wait_alu 0xfffe
	v_add_co_u32 v8, vcc_lo, v6, s38
	s_wait_alu 0xfffd
	v_add_co_ci_u32_e64 v9, null, s39, v7, vcc_lo
	global_store_b16 v[8:9], v2, off
.LBB98_45:                              ;   in Loop: Header=BB98_3 Depth=1
	s_wait_alu 0xfffe
	s_or_b32 exec_lo, exec_lo, s14
	v_add_co_u32 v3, vcc_lo, v4, 3
	s_wait_alu 0xfffd
	v_add_co_ci_u32_e64 v4, null, 0, v5, vcc_lo
	s_delay_alu instid0(VALU_DEP_2) | instskip(SKIP_1) | instid1(VALU_DEP_2)
	v_sub_co_u32 v8, vcc_lo, v3, v20
	s_wait_alu 0xfffd
	v_sub_co_ci_u32_e64 v9, null, v4, v21, vcc_lo
	v_cmp_gt_i64_e32 vcc_lo, s[0:1], v[3:4]
	s_delay_alu instid0(VALU_DEP_2)
	v_cmp_gt_i64_e64 s0, s[4:5], v[8:9]
	s_and_b32 s0, vcc_lo, s0
	s_wait_alu 0xfffe
	s_and_b32 exec_lo, exec_lo, s0
	s_cbranch_execz .LBB98_2
; %bb.46:                               ;   in Loop: Header=BB98_3 Depth=1
	v_mad_co_u64_u32 v[3:4], null, s2, 6, v[6:7]
	s_delay_alu instid0(VALU_DEP_1)
	v_mad_co_u64_u32 v[4:5], null, s3, 6, v[4:5]
	global_store_b16 v[3:4], v2, off
	s_branch .LBB98_2
.LBB98_47:
	s_endpgm
	.section	.rodata,"a",@progbits
	.p2align	6, 0x0
	.amdhsa_kernel _ZN2at6native16triu_tril_kernelIN3c108BFloat16ElLb1ELi4ELb1EEEvNS_4cuda6detail10TensorInfoIT_T0_EENS6_IKS7_S8_EEllS8_
		.amdhsa_group_segment_fixed_size 0
		.amdhsa_private_segment_fixed_size 0
		.amdhsa_kernarg_size 1112
		.amdhsa_user_sgpr_count 2
		.amdhsa_user_sgpr_dispatch_ptr 0
		.amdhsa_user_sgpr_queue_ptr 0
		.amdhsa_user_sgpr_kernarg_segment_ptr 1
		.amdhsa_user_sgpr_dispatch_id 0
		.amdhsa_user_sgpr_private_segment_size 0
		.amdhsa_wavefront_size32 1
		.amdhsa_uses_dynamic_stack 0
		.amdhsa_enable_private_segment 0
		.amdhsa_system_sgpr_workgroup_id_x 1
		.amdhsa_system_sgpr_workgroup_id_y 0
		.amdhsa_system_sgpr_workgroup_id_z 0
		.amdhsa_system_sgpr_workgroup_info 0
		.amdhsa_system_vgpr_workitem_id 0
		.amdhsa_next_free_vgpr 30
		.amdhsa_next_free_sgpr 75
		.amdhsa_reserve_vcc 1
		.amdhsa_float_round_mode_32 0
		.amdhsa_float_round_mode_16_64 0
		.amdhsa_float_denorm_mode_32 3
		.amdhsa_float_denorm_mode_16_64 3
		.amdhsa_fp16_overflow 0
		.amdhsa_workgroup_processor_mode 1
		.amdhsa_memory_ordered 1
		.amdhsa_forward_progress 1
		.amdhsa_inst_pref_size 67
		.amdhsa_round_robin_scheduling 0
		.amdhsa_exception_fp_ieee_invalid_op 0
		.amdhsa_exception_fp_denorm_src 0
		.amdhsa_exception_fp_ieee_div_zero 0
		.amdhsa_exception_fp_ieee_overflow 0
		.amdhsa_exception_fp_ieee_underflow 0
		.amdhsa_exception_fp_ieee_inexact 0
		.amdhsa_exception_int_div_zero 0
	.end_amdhsa_kernel
	.section	.text._ZN2at6native16triu_tril_kernelIN3c108BFloat16ElLb1ELi4ELb1EEEvNS_4cuda6detail10TensorInfoIT_T0_EENS6_IKS7_S8_EEllS8_,"axG",@progbits,_ZN2at6native16triu_tril_kernelIN3c108BFloat16ElLb1ELi4ELb1EEEvNS_4cuda6detail10TensorInfoIT_T0_EENS6_IKS7_S8_EEllS8_,comdat
.Lfunc_end98:
	.size	_ZN2at6native16triu_tril_kernelIN3c108BFloat16ElLb1ELi4ELb1EEEvNS_4cuda6detail10TensorInfoIT_T0_EENS6_IKS7_S8_EEllS8_, .Lfunc_end98-_ZN2at6native16triu_tril_kernelIN3c108BFloat16ElLb1ELi4ELb1EEEvNS_4cuda6detail10TensorInfoIT_T0_EENS6_IKS7_S8_EEllS8_
                                        ; -- End function
	.set _ZN2at6native16triu_tril_kernelIN3c108BFloat16ElLb1ELi4ELb1EEEvNS_4cuda6detail10TensorInfoIT_T0_EENS6_IKS7_S8_EEllS8_.num_vgpr, 30
	.set _ZN2at6native16triu_tril_kernelIN3c108BFloat16ElLb1ELi4ELb1EEEvNS_4cuda6detail10TensorInfoIT_T0_EENS6_IKS7_S8_EEllS8_.num_agpr, 0
	.set _ZN2at6native16triu_tril_kernelIN3c108BFloat16ElLb1ELi4ELb1EEEvNS_4cuda6detail10TensorInfoIT_T0_EENS6_IKS7_S8_EEllS8_.numbered_sgpr, 75
	.set _ZN2at6native16triu_tril_kernelIN3c108BFloat16ElLb1ELi4ELb1EEEvNS_4cuda6detail10TensorInfoIT_T0_EENS6_IKS7_S8_EEllS8_.num_named_barrier, 0
	.set _ZN2at6native16triu_tril_kernelIN3c108BFloat16ElLb1ELi4ELb1EEEvNS_4cuda6detail10TensorInfoIT_T0_EENS6_IKS7_S8_EEllS8_.private_seg_size, 0
	.set _ZN2at6native16triu_tril_kernelIN3c108BFloat16ElLb1ELi4ELb1EEEvNS_4cuda6detail10TensorInfoIT_T0_EENS6_IKS7_S8_EEllS8_.uses_vcc, 1
	.set _ZN2at6native16triu_tril_kernelIN3c108BFloat16ElLb1ELi4ELb1EEEvNS_4cuda6detail10TensorInfoIT_T0_EENS6_IKS7_S8_EEllS8_.uses_flat_scratch, 0
	.set _ZN2at6native16triu_tril_kernelIN3c108BFloat16ElLb1ELi4ELb1EEEvNS_4cuda6detail10TensorInfoIT_T0_EENS6_IKS7_S8_EEllS8_.has_dyn_sized_stack, 0
	.set _ZN2at6native16triu_tril_kernelIN3c108BFloat16ElLb1ELi4ELb1EEEvNS_4cuda6detail10TensorInfoIT_T0_EENS6_IKS7_S8_EEllS8_.has_recursion, 0
	.set _ZN2at6native16triu_tril_kernelIN3c108BFloat16ElLb1ELi4ELb1EEEvNS_4cuda6detail10TensorInfoIT_T0_EENS6_IKS7_S8_EEllS8_.has_indirect_call, 0
	.section	.AMDGPU.csdata,"",@progbits
; Kernel info:
; codeLenInByte = 8544
; TotalNumSgprs: 77
; NumVgprs: 30
; ScratchSize: 0
; MemoryBound: 0
; FloatMode: 240
; IeeeMode: 1
; LDSByteSize: 0 bytes/workgroup (compile time only)
; SGPRBlocks: 0
; VGPRBlocks: 3
; NumSGPRsForWavesPerEU: 77
; NumVGPRsForWavesPerEU: 30
; Occupancy: 16
; WaveLimiterHint : 0
; COMPUTE_PGM_RSRC2:SCRATCH_EN: 0
; COMPUTE_PGM_RSRC2:USER_SGPR: 2
; COMPUTE_PGM_RSRC2:TRAP_HANDLER: 0
; COMPUTE_PGM_RSRC2:TGID_X_EN: 1
; COMPUTE_PGM_RSRC2:TGID_Y_EN: 0
; COMPUTE_PGM_RSRC2:TGID_Z_EN: 0
; COMPUTE_PGM_RSRC2:TIDIG_COMP_CNT: 0
	.section	.text._ZN2at6native16triu_tril_kernelIN3c108BFloat16ElLb1ELi4ELb0EEEvNS_4cuda6detail10TensorInfoIT_T0_EENS6_IKS7_S8_EEllS8_,"axG",@progbits,_ZN2at6native16triu_tril_kernelIN3c108BFloat16ElLb1ELi4ELb0EEEvNS_4cuda6detail10TensorInfoIT_T0_EENS6_IKS7_S8_EEllS8_,comdat
	.protected	_ZN2at6native16triu_tril_kernelIN3c108BFloat16ElLb1ELi4ELb0EEEvNS_4cuda6detail10TensorInfoIT_T0_EENS6_IKS7_S8_EEllS8_ ; -- Begin function _ZN2at6native16triu_tril_kernelIN3c108BFloat16ElLb1ELi4ELb0EEEvNS_4cuda6detail10TensorInfoIT_T0_EENS6_IKS7_S8_EEllS8_
	.globl	_ZN2at6native16triu_tril_kernelIN3c108BFloat16ElLb1ELi4ELb0EEEvNS_4cuda6detail10TensorInfoIT_T0_EENS6_IKS7_S8_EEllS8_
	.p2align	8
	.type	_ZN2at6native16triu_tril_kernelIN3c108BFloat16ElLb1ELi4ELb0EEEvNS_4cuda6detail10TensorInfoIT_T0_EENS6_IKS7_S8_EEllS8_,@function
_ZN2at6native16triu_tril_kernelIN3c108BFloat16ElLb1ELi4ELb0EEEvNS_4cuda6detail10TensorInfoIT_T0_EENS6_IKS7_S8_EEllS8_: ; @_ZN2at6native16triu_tril_kernelIN3c108BFloat16ElLb1ELi4ELb0EEEvNS_4cuda6detail10TensorInfoIT_T0_EENS6_IKS7_S8_EEllS8_
; %bb.0:
	s_clause 0x1
	s_load_b32 s2, s[0:1], 0x364
	s_load_b128 s[4:7], s[0:1], 0x340
	v_mov_b32_e32 v2, 0
	s_delay_alu instid0(VALU_DEP_1) | instskip(SKIP_3) | instid1(VALU_DEP_1)
	v_mov_b32_e32 v1, v2
	s_wait_kmcnt 0x0
	s_and_b32 s26, s2, 0xffff
	s_mov_b32 s2, exec_lo
	v_mad_co_u64_u32 v[0:1], null, s26, ttmp9, v[0:1]
	s_delay_alu instid0(VALU_DEP_1) | instskip(NEXT) | instid1(VALU_DEP_1)
	v_lshlrev_b64_e32 v[0:1], 2, v[0:1]
	v_cmpx_gt_i64_e64 s[6:7], v[0:1]
	s_cbranch_execz .LBB99_44
; %bb.1:
	s_clause 0x2
	s_load_b32 s46, s[0:1], 0x338
	s_load_b64 s[2:3], s[0:1], 0x350
	s_load_b64 s[20:21], s[0:1], 0x1a0
	s_add_nc_u64 s[22:23], s[0:1], 0x1a0
	s_add_nc_u64 s[14:15], s[0:1], 0x358
	s_load_b64 s[24:25], s[0:1], 0x0
	s_mov_b32 s27, 0
	s_mov_b32 s71, 0
	s_wait_kmcnt 0x0
	s_ashr_i32 s47, s46, 31
	v_cvt_f32_u32_e32 v3, s2
	s_lshl_b64 s[12:13], s[46:47], 3
	s_add_co_i32 s28, s46, -3
	s_add_nc_u64 s[16:17], s[22:23], s[12:13]
	s_add_nc_u64 s[12:13], s[0:1], s[12:13]
	s_add_nc_u64 s[8:9], s[16:17], -8
	v_rcp_iflag_f32_e32 v3, v3
	s_load_b128 s[8:11], s[8:9], 0x0
	s_load_b32 s29, s[14:15], 0x0
	s_clause 0x1
	s_load_b128 s[12:15], s[12:13], 0xc0
	s_load_b128 s[16:19], s[16:17], 0xc0
	v_cmp_gt_i64_e64 s70, s[46:47], 2
	s_add_nc_u64 s[46:47], s[0:1], 0xc8
	s_delay_alu instid0(TRANS32_DEP_1) | instskip(NEXT) | instid1(VALU_DEP_1)
	v_mul_f32_e32 v3, 0x4f7ffffe, v3
	v_cvt_u32_f32_e32 v16, v3
	s_wait_kmcnt 0x0
	v_cvt_f32_u32_e32 v4, s8
	s_mul_i32 s26, s29, s26
	s_ashr_i32 s29, s28, 31
	s_wait_alu 0xfffe
	s_lshl_b32 s33, s26, 2
	s_lshl_b64 s[34:35], s[14:15], 2
	v_rcp_iflag_f32_e32 v4, v4
	s_lshl_b64 s[38:39], s[18:19], 2
	s_bitcmp0_b32 s28, 0
	s_add_nc_u64 s[30:31], s[28:29], -1
	s_cselect_b32 s68, -1, 0
	s_lshl_b64 s[44:45], s[28:29], 3
	s_cmp_lg_u32 s28, 0
	s_mul_u64 s[36:37], s[14:15], 6
	s_mul_u64 s[40:41], s[18:19], 6
	s_add_nc_u64 s[42:43], s[22:23], s[44:45]
	v_mul_f32_e32 v3, 0x4f7ffffe, v4
	s_add_nc_u64 s[44:45], s[0:1], s[44:45]
	s_cselect_b32 s69, -1, 0
	s_ashr_i32 s48, s3, 31
	s_delay_alu instid0(VALU_DEP_1)
	v_cvt_u32_f32_e32 v17, v3
	s_branch .LBB99_3
.LBB99_2:                               ;   in Loop: Header=BB99_3 Depth=1
	s_wait_alu 0xfffe
	s_or_b32 exec_lo, exec_lo, s0
	v_add_co_u32 v0, vcc_lo, v0, s33
	s_wait_alu 0xfffd
	v_add_co_ci_u32_e64 v1, null, 0, v1, vcc_lo
	s_delay_alu instid0(VALU_DEP_1) | instskip(SKIP_1) | instid1(SALU_CYCLE_1)
	v_cmp_le_i64_e32 vcc_lo, s[6:7], v[0:1]
	s_or_b32 s71, vcc_lo, s71
	s_and_not1_b32 exec_lo, exec_lo, s71
	s_cbranch_execz .LBB99_44
.LBB99_3:                               ; =>This Loop Header: Depth=1
                                        ;     Child Loop BB99_21 Depth 2
	v_or_b32_e32 v3, s3, v1
                                        ; implicit-def: $vgpr6_vgpr7
	s_mov_b32 s0, exec_lo
	s_delay_alu instid0(VALU_DEP_1)
	v_cmpx_ne_u64_e32 0, v[2:3]
	s_wait_alu 0xfffe
	s_xor_b32 s1, exec_lo, s0
	s_cbranch_execz .LBB99_5
; %bb.4:                                ;   in Loop: Header=BB99_3 Depth=1
	s_mov_b32 s49, s48
	v_ashrrev_i32_e32 v9, 31, v1
	s_wait_alu 0xfffe
	s_add_nc_u64 s[50:51], s[2:3], s[48:49]
	s_wait_alu 0xfffe
	s_xor_b64 s[50:51], s[50:51], s[48:49]
	v_add_co_u32 v3, vcc_lo, v0, v9
	s_wait_alu 0xfffe
	s_cvt_f32_u32 s0, s50
	s_cvt_f32_u32 s26, s51
	s_sub_nc_u64 s[54:55], 0, s[50:51]
	s_wait_alu 0xfffd
	v_add_co_ci_u32_e64 v4, null, v1, v9, vcc_lo
	s_wait_alu 0xfffe
	s_fmamk_f32 s0, s26, 0x4f800000, s0
	v_xor_b32_e32 v10, v3, v9
	s_delay_alu instid0(VALU_DEP_2) | instskip(SKIP_2) | instid1(TRANS32_DEP_1)
	v_xor_b32_e32 v11, v4, v9
	s_wait_alu 0xfffe
	v_s_rcp_f32 s0, s0
	s_mul_f32 s0, s0, 0x5f7ffffc
	s_wait_alu 0xfffe
	s_delay_alu instid0(SALU_CYCLE_2) | instskip(SKIP_1) | instid1(SALU_CYCLE_2)
	s_mul_f32 s26, s0, 0x2f800000
	s_wait_alu 0xfffe
	s_trunc_f32 s26, s26
	s_wait_alu 0xfffe
	s_delay_alu instid0(SALU_CYCLE_2) | instskip(SKIP_2) | instid1(SALU_CYCLE_1)
	s_fmamk_f32 s0, s26, 0xcf800000, s0
	s_cvt_u32_f32 s53, s26
	s_wait_alu 0xfffe
	s_cvt_u32_f32 s52, s0
	s_wait_alu 0xfffe
	s_delay_alu instid0(SALU_CYCLE_2)
	s_mul_u64 s[56:57], s[54:55], s[52:53]
	s_wait_alu 0xfffe
	s_mul_hi_u32 s59, s52, s57
	s_mul_i32 s58, s52, s57
	s_mul_hi_u32 s26, s52, s56
	s_mul_i32 s49, s53, s56
	s_wait_alu 0xfffe
	s_add_nc_u64 s[58:59], s[26:27], s[58:59]
	s_mul_hi_u32 s0, s53, s56
	s_mul_hi_u32 s60, s53, s57
	s_wait_alu 0xfffe
	s_add_co_u32 s26, s58, s49
	s_add_co_ci_u32 s26, s59, s0
	s_mul_i32 s56, s53, s57
	s_add_co_ci_u32 s57, s60, 0
	s_wait_alu 0xfffe
	s_add_nc_u64 s[56:57], s[26:27], s[56:57]
	s_wait_alu 0xfffe
	s_add_co_u32 s52, s52, s56
	s_cselect_b32 s0, -1, 0
	s_wait_alu 0xfffe
	s_cmp_lg_u32 s0, 0
	s_add_co_ci_u32 s53, s53, s57
	s_wait_alu 0xfffe
	s_mul_u64 s[54:55], s[54:55], s[52:53]
	s_wait_alu 0xfffe
	s_mul_hi_u32 s57, s52, s55
	s_mul_i32 s56, s52, s55
	s_mul_hi_u32 s26, s52, s54
	s_mul_i32 s49, s53, s54
	s_wait_alu 0xfffe
	s_add_nc_u64 s[56:57], s[26:27], s[56:57]
	s_mul_hi_u32 s0, s53, s54
	s_mul_hi_u32 s58, s53, s55
	s_wait_alu 0xfffe
	s_add_co_u32 s26, s56, s49
	s_add_co_ci_u32 s26, s57, s0
	s_mul_i32 s54, s53, s55
	s_add_co_ci_u32 s55, s58, 0
	s_wait_alu 0xfffe
	s_add_nc_u64 s[54:55], s[26:27], s[54:55]
	s_wait_alu 0xfffe
	s_add_co_u32 s0, s52, s54
	s_cselect_b32 s26, -1, 0
	s_wait_alu 0xfffe
	v_mul_hi_u32 v12, v10, s0
	s_cmp_lg_u32 s26, 0
	v_mad_co_u64_u32 v[5:6], null, v11, s0, 0
	s_add_co_ci_u32 s26, s53, s55
	s_wait_alu 0xfffe
	v_mad_co_u64_u32 v[3:4], null, v10, s26, 0
	v_mad_co_u64_u32 v[7:8], null, v11, s26, 0
	s_delay_alu instid0(VALU_DEP_2) | instskip(SKIP_1) | instid1(VALU_DEP_3)
	v_add_co_u32 v3, vcc_lo, v12, v3
	s_wait_alu 0xfffd
	v_add_co_ci_u32_e64 v4, null, 0, v4, vcc_lo
	s_delay_alu instid0(VALU_DEP_2) | instskip(SKIP_1) | instid1(VALU_DEP_2)
	v_add_co_u32 v3, vcc_lo, v3, v5
	s_wait_alu 0xfffd
	v_add_co_ci_u32_e32 v3, vcc_lo, v4, v6, vcc_lo
	s_wait_alu 0xfffd
	v_add_co_ci_u32_e32 v4, vcc_lo, 0, v8, vcc_lo
	s_delay_alu instid0(VALU_DEP_2) | instskip(SKIP_1) | instid1(VALU_DEP_2)
	v_add_co_u32 v5, vcc_lo, v3, v7
	s_wait_alu 0xfffd
	v_add_co_ci_u32_e64 v6, null, 0, v4, vcc_lo
	s_delay_alu instid0(VALU_DEP_2) | instskip(SKIP_1) | instid1(VALU_DEP_3)
	v_mul_lo_u32 v7, s51, v5
	v_mad_co_u64_u32 v[3:4], null, s50, v5, 0
	v_mul_lo_u32 v8, s50, v6
	s_delay_alu instid0(VALU_DEP_2) | instskip(NEXT) | instid1(VALU_DEP_2)
	v_sub_co_u32 v3, vcc_lo, v10, v3
	v_add3_u32 v4, v4, v8, v7
	v_add_co_u32 v8, s0, v5, 2
	s_wait_alu 0xf1ff
	v_add_co_ci_u32_e64 v10, null, 0, v6, s0
	s_delay_alu instid0(VALU_DEP_3) | instskip(SKIP_3) | instid1(VALU_DEP_3)
	v_sub_nc_u32_e32 v7, v11, v4
	v_sub_co_u32 v12, s0, v3, s50
	s_wait_alu 0xfffd
	v_sub_co_ci_u32_e64 v4, null, v11, v4, vcc_lo
	v_subrev_co_ci_u32_e64 v7, null, s51, v7, vcc_lo
	s_delay_alu instid0(VALU_DEP_3) | instskip(SKIP_1) | instid1(VALU_DEP_2)
	v_cmp_le_u32_e32 vcc_lo, s50, v12
	s_wait_alu 0xf1ff
	v_subrev_co_ci_u32_e64 v7, null, 0, v7, s0
	s_wait_alu 0xfffd
	v_cndmask_b32_e64 v11, 0, -1, vcc_lo
	s_delay_alu instid0(VALU_DEP_2)
	v_cmp_le_u32_e32 vcc_lo, s51, v7
	s_wait_alu 0xfffd
	v_cndmask_b32_e64 v12, 0, -1, vcc_lo
	v_cmp_le_u32_e32 vcc_lo, s50, v3
	s_wait_alu 0xfffd
	v_cndmask_b32_e64 v3, 0, -1, vcc_lo
	;; [unrolled: 3-line block ×3, first 2 shown]
	v_cmp_eq_u32_e32 vcc_lo, s51, v7
	s_wait_alu 0xfffd
	v_cndmask_b32_e32 v7, v12, v11, vcc_lo
	v_add_co_u32 v11, vcc_lo, v5, 1
	s_wait_alu 0xfffd
	v_add_co_ci_u32_e64 v12, null, 0, v6, vcc_lo
	v_cmp_eq_u32_e32 vcc_lo, s51, v4
	s_wait_alu 0xfffd
	v_cndmask_b32_e32 v3, v13, v3, vcc_lo
	v_cmp_ne_u32_e32 vcc_lo, 0, v7
	v_xor_b32_e32 v7, s48, v9
	s_wait_alu 0xfffd
	v_cndmask_b32_e32 v4, v12, v10, vcc_lo
	v_cmp_ne_u32_e64 s0, 0, v3
	v_cndmask_b32_e32 v3, v11, v8, vcc_lo
	s_wait_alu 0xf1ff
	s_delay_alu instid0(VALU_DEP_2) | instskip(NEXT) | instid1(VALU_DEP_2)
	v_cndmask_b32_e64 v4, v6, v4, s0
	v_cndmask_b32_e64 v3, v5, v3, s0
	s_delay_alu instid0(VALU_DEP_2) | instskip(NEXT) | instid1(VALU_DEP_2)
	v_xor_b32_e32 v4, v4, v7
	v_xor_b32_e32 v3, v3, v7
	s_delay_alu instid0(VALU_DEP_1) | instskip(SKIP_1) | instid1(VALU_DEP_3)
	v_sub_co_u32 v6, vcc_lo, v3, v7
	s_wait_alu 0xfffd
	v_sub_co_ci_u32_e64 v7, null, v4, v7, vcc_lo
.LBB99_5:                               ;   in Loop: Header=BB99_3 Depth=1
	s_wait_alu 0xfffe
	s_and_not1_saveexec_b32 s0, s1
	s_cbranch_execz .LBB99_7
; %bb.6:                                ;   in Loop: Header=BB99_3 Depth=1
	s_sub_co_i32 s1, 0, s2
	v_mov_b32_e32 v7, v2
	s_wait_alu 0xfffe
	v_mul_lo_u32 v3, s1, v16
	s_delay_alu instid0(VALU_DEP_1) | instskip(NEXT) | instid1(VALU_DEP_1)
	v_mul_hi_u32 v3, v16, v3
	v_add_nc_u32_e32 v3, v16, v3
	s_delay_alu instid0(VALU_DEP_1) | instskip(NEXT) | instid1(VALU_DEP_1)
	v_mul_hi_u32 v3, v0, v3
	v_mul_lo_u32 v4, v3, s2
	s_delay_alu instid0(VALU_DEP_1) | instskip(NEXT) | instid1(VALU_DEP_1)
	v_sub_nc_u32_e32 v4, v0, v4
	v_subrev_nc_u32_e32 v6, s2, v4
	v_cmp_le_u32_e32 vcc_lo, s2, v4
	s_wait_alu 0xfffd
	s_delay_alu instid0(VALU_DEP_2) | instskip(NEXT) | instid1(VALU_DEP_1)
	v_dual_cndmask_b32 v4, v4, v6 :: v_dual_add_nc_u32 v5, 1, v3
	v_cndmask_b32_e32 v3, v3, v5, vcc_lo
	s_delay_alu instid0(VALU_DEP_2) | instskip(NEXT) | instid1(VALU_DEP_2)
	v_cmp_le_u32_e32 vcc_lo, s2, v4
	v_add_nc_u32_e32 v5, 1, v3
	s_wait_alu 0xfffd
	s_delay_alu instid0(VALU_DEP_1)
	v_cndmask_b32_e32 v6, v3, v5, vcc_lo
.LBB99_7:                               ;   in Loop: Header=BB99_3 Depth=1
	s_wait_alu 0xfffe
	s_or_b32 exec_lo, exec_lo, s0
	v_or_b32_e32 v3, s9, v7
                                        ; implicit-def: $vgpr10_vgpr11
	s_mov_b32 s0, exec_lo
	s_delay_alu instid0(VALU_DEP_1)
	v_cmpx_ne_u64_e32 0, v[2:3]
	s_wait_alu 0xfffe
	s_xor_b32 s1, exec_lo, s0
	s_cbranch_execz .LBB99_9
; %bb.8:                                ;   in Loop: Header=BB99_3 Depth=1
	s_ashr_i32 s50, s9, 31
	v_ashrrev_i32_e32 v5, 31, v7
	s_wait_alu 0xfffe
	s_mov_b32 s51, s50
	s_wait_alu 0xfffe
	s_add_nc_u64 s[52:53], s[8:9], s[50:51]
	v_add_co_u32 v3, vcc_lo, v6, v5
	s_wait_alu 0xfffe
	s_xor_b64 s[52:53], s[52:53], s[50:51]
	s_wait_alu 0xfffd
	v_add_co_ci_u32_e64 v4, null, v7, v5, vcc_lo
	s_wait_alu 0xfffe
	s_cvt_f32_u32 s0, s52
	s_cvt_f32_u32 s26, s53
	s_sub_nc_u64 s[56:57], 0, s[52:53]
	v_xor_b32_e32 v12, v3, v5
	v_xor_b32_e32 v13, v4, v5
	s_wait_alu 0xfffe
	s_fmamk_f32 s0, s26, 0x4f800000, s0
	v_xor_b32_e32 v5, s50, v5
	s_wait_alu 0xfffe
	s_delay_alu instid0(SALU_CYCLE_1) | instskip(NEXT) | instid1(TRANS32_DEP_1)
	v_s_rcp_f32 s0, s0
	s_mul_f32 s0, s0, 0x5f7ffffc
	s_wait_alu 0xfffe
	s_delay_alu instid0(SALU_CYCLE_2) | instskip(SKIP_1) | instid1(SALU_CYCLE_2)
	s_mul_f32 s26, s0, 0x2f800000
	s_wait_alu 0xfffe
	s_trunc_f32 s26, s26
	s_wait_alu 0xfffe
	s_delay_alu instid0(SALU_CYCLE_2) | instskip(SKIP_2) | instid1(SALU_CYCLE_1)
	s_fmamk_f32 s0, s26, 0xcf800000, s0
	s_cvt_u32_f32 s55, s26
	s_wait_alu 0xfffe
	s_cvt_u32_f32 s54, s0
	s_wait_alu 0xfffe
	s_delay_alu instid0(SALU_CYCLE_2)
	s_mul_u64 s[58:59], s[56:57], s[54:55]
	s_wait_alu 0xfffe
	s_mul_hi_u32 s61, s54, s59
	s_mul_i32 s60, s54, s59
	s_mul_hi_u32 s26, s54, s58
	s_mul_i32 s49, s55, s58
	s_wait_alu 0xfffe
	s_add_nc_u64 s[60:61], s[26:27], s[60:61]
	s_mul_hi_u32 s0, s55, s58
	s_mul_hi_u32 s51, s55, s59
	s_wait_alu 0xfffe
	s_add_co_u32 s26, s60, s49
	s_add_co_ci_u32 s26, s61, s0
	s_mul_i32 s58, s55, s59
	s_add_co_ci_u32 s59, s51, 0
	s_wait_alu 0xfffe
	s_add_nc_u64 s[58:59], s[26:27], s[58:59]
	s_wait_alu 0xfffe
	s_add_co_u32 s54, s54, s58
	s_cselect_b32 s0, -1, 0
	s_wait_alu 0xfffe
	s_cmp_lg_u32 s0, 0
	s_add_co_ci_u32 s55, s55, s59
	s_wait_alu 0xfffe
	s_mul_u64 s[56:57], s[56:57], s[54:55]
	s_wait_alu 0xfffe
	s_mul_hi_u32 s59, s54, s57
	s_mul_i32 s58, s54, s57
	s_mul_hi_u32 s26, s54, s56
	s_mul_i32 s49, s55, s56
	s_wait_alu 0xfffe
	s_add_nc_u64 s[58:59], s[26:27], s[58:59]
	s_mul_hi_u32 s0, s55, s56
	s_mul_hi_u32 s51, s55, s57
	s_wait_alu 0xfffe
	s_add_co_u32 s26, s58, s49
	s_add_co_ci_u32 s26, s59, s0
	s_mul_i32 s56, s55, s57
	s_add_co_ci_u32 s57, s51, 0
	s_wait_alu 0xfffe
	s_add_nc_u64 s[56:57], s[26:27], s[56:57]
	s_wait_alu 0xfffe
	s_add_co_u32 s0, s54, s56
	s_cselect_b32 s26, -1, 0
	s_wait_alu 0xfffe
	v_mul_hi_u32 v14, v12, s0
	s_cmp_lg_u32 s26, 0
	v_mad_co_u64_u32 v[8:9], null, v13, s0, 0
	s_add_co_ci_u32 s26, s55, s57
	s_wait_alu 0xfffe
	v_mad_co_u64_u32 v[3:4], null, v12, s26, 0
	v_mad_co_u64_u32 v[10:11], null, v13, s26, 0
	s_delay_alu instid0(VALU_DEP_2) | instskip(SKIP_1) | instid1(VALU_DEP_3)
	v_add_co_u32 v3, vcc_lo, v14, v3
	s_wait_alu 0xfffd
	v_add_co_ci_u32_e64 v4, null, 0, v4, vcc_lo
	s_delay_alu instid0(VALU_DEP_2) | instskip(SKIP_1) | instid1(VALU_DEP_2)
	v_add_co_u32 v3, vcc_lo, v3, v8
	s_wait_alu 0xfffd
	v_add_co_ci_u32_e32 v3, vcc_lo, v4, v9, vcc_lo
	s_wait_alu 0xfffd
	v_add_co_ci_u32_e32 v4, vcc_lo, 0, v11, vcc_lo
	s_delay_alu instid0(VALU_DEP_2) | instskip(SKIP_1) | instid1(VALU_DEP_2)
	v_add_co_u32 v8, vcc_lo, v3, v10
	s_wait_alu 0xfffd
	v_add_co_ci_u32_e64 v9, null, 0, v4, vcc_lo
	s_delay_alu instid0(VALU_DEP_2) | instskip(SKIP_1) | instid1(VALU_DEP_3)
	v_mul_lo_u32 v10, s53, v8
	v_mad_co_u64_u32 v[3:4], null, s52, v8, 0
	v_mul_lo_u32 v11, s52, v9
	s_delay_alu instid0(VALU_DEP_2) | instskip(NEXT) | instid1(VALU_DEP_2)
	v_sub_co_u32 v3, vcc_lo, v12, v3
	v_add3_u32 v4, v4, v11, v10
	v_add_co_u32 v11, s0, v8, 2
	s_wait_alu 0xf1ff
	v_add_co_ci_u32_e64 v12, null, 0, v9, s0
	s_delay_alu instid0(VALU_DEP_3) | instskip(SKIP_3) | instid1(VALU_DEP_3)
	v_sub_nc_u32_e32 v10, v13, v4
	v_sub_co_u32 v14, s0, v3, s52
	s_wait_alu 0xfffd
	v_sub_co_ci_u32_e64 v4, null, v13, v4, vcc_lo
	v_subrev_co_ci_u32_e64 v10, null, s53, v10, vcc_lo
	s_delay_alu instid0(VALU_DEP_3) | instskip(SKIP_1) | instid1(VALU_DEP_2)
	v_cmp_le_u32_e32 vcc_lo, s52, v14
	s_wait_alu 0xf1ff
	v_subrev_co_ci_u32_e64 v10, null, 0, v10, s0
	s_wait_alu 0xfffd
	v_cndmask_b32_e64 v13, 0, -1, vcc_lo
	s_delay_alu instid0(VALU_DEP_2)
	v_cmp_le_u32_e32 vcc_lo, s53, v10
	s_wait_alu 0xfffd
	v_cndmask_b32_e64 v14, 0, -1, vcc_lo
	v_cmp_le_u32_e32 vcc_lo, s52, v3
	s_wait_alu 0xfffd
	v_cndmask_b32_e64 v3, 0, -1, vcc_lo
	;; [unrolled: 3-line block ×3, first 2 shown]
	v_cmp_eq_u32_e32 vcc_lo, s53, v10
	s_wait_alu 0xfffd
	v_cndmask_b32_e32 v10, v14, v13, vcc_lo
	v_add_co_u32 v13, vcc_lo, v8, 1
	s_wait_alu 0xfffd
	v_add_co_ci_u32_e64 v14, null, 0, v9, vcc_lo
	v_cmp_eq_u32_e32 vcc_lo, s53, v4
	s_wait_alu 0xfffd
	v_cndmask_b32_e32 v3, v15, v3, vcc_lo
	v_cmp_ne_u32_e32 vcc_lo, 0, v10
	s_delay_alu instid0(VALU_DEP_2) | instskip(SKIP_3) | instid1(VALU_DEP_1)
	v_cmp_ne_u32_e64 s0, 0, v3
	s_wait_alu 0xfffd
	v_dual_cndmask_b32 v4, v14, v12 :: v_dual_cndmask_b32 v3, v13, v11
	s_wait_alu 0xf1ff
	v_cndmask_b32_e64 v4, v9, v4, s0
	s_delay_alu instid0(VALU_DEP_2) | instskip(NEXT) | instid1(VALU_DEP_2)
	v_cndmask_b32_e64 v3, v8, v3, s0
	v_xor_b32_e32 v4, v4, v5
	s_delay_alu instid0(VALU_DEP_2) | instskip(NEXT) | instid1(VALU_DEP_1)
	v_xor_b32_e32 v3, v3, v5
	v_sub_co_u32 v10, vcc_lo, v3, v5
	s_wait_alu 0xfffd
	s_delay_alu instid0(VALU_DEP_3)
	v_sub_co_ci_u32_e64 v11, null, v4, v5, vcc_lo
.LBB99_9:                               ;   in Loop: Header=BB99_3 Depth=1
	s_wait_alu 0xfffe
	s_and_not1_saveexec_b32 s0, s1
	s_cbranch_execz .LBB99_11
; %bb.10:                               ;   in Loop: Header=BB99_3 Depth=1
	s_sub_co_i32 s1, 0, s8
	v_mov_b32_e32 v11, v2
	s_wait_alu 0xfffe
	v_mul_lo_u32 v3, s1, v17
	s_delay_alu instid0(VALU_DEP_1) | instskip(NEXT) | instid1(VALU_DEP_1)
	v_mul_hi_u32 v3, v17, v3
	v_add_nc_u32_e32 v3, v17, v3
	s_delay_alu instid0(VALU_DEP_1) | instskip(NEXT) | instid1(VALU_DEP_1)
	v_mul_hi_u32 v3, v6, v3
	v_mul_lo_u32 v4, v3, s8
	v_add_nc_u32_e32 v5, 1, v3
	s_delay_alu instid0(VALU_DEP_2) | instskip(NEXT) | instid1(VALU_DEP_1)
	v_sub_nc_u32_e32 v4, v6, v4
	v_subrev_nc_u32_e32 v8, s8, v4
	v_cmp_le_u32_e32 vcc_lo, s8, v4
	s_wait_alu 0xfffd
	s_delay_alu instid0(VALU_DEP_2) | instskip(NEXT) | instid1(VALU_DEP_1)
	v_dual_cndmask_b32 v4, v4, v8 :: v_dual_cndmask_b32 v3, v3, v5
	v_cmp_le_u32_e32 vcc_lo, s8, v4
	s_delay_alu instid0(VALU_DEP_2) | instskip(SKIP_1) | instid1(VALU_DEP_1)
	v_add_nc_u32_e32 v5, 1, v3
	s_wait_alu 0xfffd
	v_cndmask_b32_e32 v10, v3, v5, vcc_lo
.LBB99_11:                              ;   in Loop: Header=BB99_3 Depth=1
	s_wait_alu 0xfffe
	s_or_b32 exec_lo, exec_lo, s0
	v_mul_lo_u32 v5, v7, s2
	v_mul_lo_u32 v12, v6, s3
	v_mad_co_u64_u32 v[3:4], null, v6, s2, 0
	v_mul_lo_u32 v13, v11, s8
	v_mul_lo_u32 v14, v10, s9
	v_mad_co_u64_u32 v[8:9], null, v10, s8, 0
	s_delay_alu instid0(VALU_DEP_4) | instskip(SKIP_1) | instid1(VALU_DEP_3)
	v_add3_u32 v5, v4, v12, v5
	v_sub_co_u32 v4, vcc_lo, v0, v3
	v_add3_u32 v3, v9, v14, v13
	s_wait_alu 0xfffd
	s_delay_alu instid0(VALU_DEP_3) | instskip(NEXT) | instid1(VALU_DEP_3)
	v_sub_co_ci_u32_e64 v5, null, v1, v5, vcc_lo
	v_mul_lo_u32 v9, s19, v4
	v_mad_co_u64_u32 v[12:13], null, s18, v4, 0
	v_mul_lo_u32 v20, s15, v4
	s_delay_alu instid0(VALU_DEP_4)
	v_mul_lo_u32 v21, s18, v5
	v_mul_lo_u32 v22, s14, v5
	v_mad_co_u64_u32 v[14:15], null, s14, v4, 0
	v_sub_co_u32 v18, vcc_lo, v6, v8
	s_wait_alu 0xfffd
	v_sub_co_ci_u32_e64 v19, null, v7, v3, vcc_lo
	v_add3_u32 v13, v13, v21, v9
	s_delay_alu instid0(VALU_DEP_3) | instskip(SKIP_1) | instid1(VALU_DEP_4)
	v_mul_lo_u32 v3, s17, v18
	v_add3_u32 v15, v15, v22, v20
	v_mul_lo_u32 v21, s16, v19
	s_and_not1_b32 vcc_lo, exec_lo, s70
	v_mad_co_u64_u32 v[8:9], null, s16, v18, v[12:13]
	v_mul_lo_u32 v12, s12, v19
	v_mul_lo_u32 v13, s13, v18
	v_mad_co_u64_u32 v[6:7], null, s12, v18, v[14:15]
	s_delay_alu instid0(VALU_DEP_4) | instskip(NEXT) | instid1(VALU_DEP_2)
	v_add3_u32 v9, v3, v9, v21
	v_add3_u32 v7, v13, v7, v12
	s_wait_alu 0xfffe
	s_cbranch_vccnz .LBB99_29
; %bb.12:                               ;   in Loop: Header=BB99_3 Depth=1
	s_and_not1_b32 vcc_lo, exec_lo, s68
	s_wait_alu 0xfffe
	s_cbranch_vccnz .LBB99_18
; %bb.13:                               ;   in Loop: Header=BB99_3 Depth=1
	s_load_b64 s[50:51], s[42:43], 0x8
                                        ; implicit-def: $vgpr12_vgpr13
	s_mov_b32 s0, exec_lo
	s_wait_kmcnt 0x0
	v_or_b32_e32 v3, s51, v11
	s_delay_alu instid0(VALU_DEP_1)
	v_cmpx_ne_u64_e32 0, v[2:3]
	s_wait_alu 0xfffe
	s_xor_b32 s1, exec_lo, s0
	s_cbranch_execz .LBB99_15
; %bb.14:                               ;   in Loop: Header=BB99_3 Depth=1
	s_ashr_i32 s52, s51, 31
	v_ashrrev_i32_e32 v3, 31, v11
	s_wait_alu 0xfffe
	s_mov_b32 s53, s52
	s_wait_alu 0xfffe
	s_add_nc_u64 s[54:55], s[50:51], s[52:53]
	v_add_co_u32 v12, vcc_lo, v10, v3
	s_wait_alu 0xfffe
	s_xor_b64 s[54:55], s[54:55], s[52:53]
	s_wait_alu 0xfffd
	v_add_co_ci_u32_e64 v13, null, v11, v3, vcc_lo
	s_wait_alu 0xfffe
	s_cvt_f32_u32 s0, s54
	s_cvt_f32_u32 s26, s55
	s_sub_nc_u64 s[58:59], 0, s[54:55]
	v_xor_b32_e32 v22, v12, v3
	v_xor_b32_e32 v23, v13, v3
	s_wait_alu 0xfffe
	s_fmamk_f32 s0, s26, 0x4f800000, s0
	v_xor_b32_e32 v3, s52, v3
	s_wait_alu 0xfffe
	s_delay_alu instid0(SALU_CYCLE_1) | instskip(NEXT) | instid1(TRANS32_DEP_1)
	v_s_rcp_f32 s0, s0
	s_mul_f32 s0, s0, 0x5f7ffffc
	s_wait_alu 0xfffe
	s_delay_alu instid0(SALU_CYCLE_2) | instskip(SKIP_1) | instid1(SALU_CYCLE_2)
	s_mul_f32 s26, s0, 0x2f800000
	s_wait_alu 0xfffe
	s_trunc_f32 s26, s26
	s_wait_alu 0xfffe
	s_delay_alu instid0(SALU_CYCLE_2) | instskip(SKIP_2) | instid1(SALU_CYCLE_1)
	s_fmamk_f32 s0, s26, 0xcf800000, s0
	s_cvt_u32_f32 s57, s26
	s_wait_alu 0xfffe
	s_cvt_u32_f32 s56, s0
	s_wait_alu 0xfffe
	s_delay_alu instid0(SALU_CYCLE_2)
	s_mul_u64 s[60:61], s[58:59], s[56:57]
	s_wait_alu 0xfffe
	s_mul_hi_u32 s63, s56, s61
	s_mul_i32 s62, s56, s61
	s_mul_hi_u32 s26, s56, s60
	s_mul_i32 s49, s57, s60
	s_wait_alu 0xfffe
	s_add_nc_u64 s[62:63], s[26:27], s[62:63]
	s_mul_hi_u32 s0, s57, s60
	s_mul_hi_u32 s53, s57, s61
	s_wait_alu 0xfffe
	s_add_co_u32 s26, s62, s49
	s_add_co_ci_u32 s26, s63, s0
	s_mul_i32 s60, s57, s61
	s_add_co_ci_u32 s61, s53, 0
	s_wait_alu 0xfffe
	s_add_nc_u64 s[60:61], s[26:27], s[60:61]
	s_wait_alu 0xfffe
	s_add_co_u32 s56, s56, s60
	s_cselect_b32 s0, -1, 0
	s_wait_alu 0xfffe
	s_cmp_lg_u32 s0, 0
	s_add_co_ci_u32 s57, s57, s61
	s_wait_alu 0xfffe
	s_mul_u64 s[58:59], s[58:59], s[56:57]
	s_wait_alu 0xfffe
	s_mul_hi_u32 s61, s56, s59
	s_mul_i32 s60, s56, s59
	s_mul_hi_u32 s26, s56, s58
	s_mul_i32 s49, s57, s58
	s_wait_alu 0xfffe
	s_add_nc_u64 s[60:61], s[26:27], s[60:61]
	s_mul_hi_u32 s0, s57, s58
	s_mul_hi_u32 s53, s57, s59
	s_wait_alu 0xfffe
	s_add_co_u32 s26, s60, s49
	s_add_co_ci_u32 s26, s61, s0
	s_mul_i32 s58, s57, s59
	s_add_co_ci_u32 s59, s53, 0
	s_wait_alu 0xfffe
	s_add_nc_u64 s[58:59], s[26:27], s[58:59]
	s_wait_alu 0xfffe
	s_add_co_u32 s0, s56, s58
	s_cselect_b32 s26, -1, 0
	s_wait_alu 0xfffe
	v_mul_hi_u32 v24, v22, s0
	s_cmp_lg_u32 s26, 0
	v_mad_co_u64_u32 v[14:15], null, v23, s0, 0
	s_add_co_ci_u32 s26, s57, s59
	s_wait_alu 0xfffe
	v_mad_co_u64_u32 v[12:13], null, v22, s26, 0
	v_mad_co_u64_u32 v[20:21], null, v23, s26, 0
	s_delay_alu instid0(VALU_DEP_2) | instskip(SKIP_1) | instid1(VALU_DEP_3)
	v_add_co_u32 v12, vcc_lo, v24, v12
	s_wait_alu 0xfffd
	v_add_co_ci_u32_e64 v13, null, 0, v13, vcc_lo
	s_delay_alu instid0(VALU_DEP_2) | instskip(SKIP_1) | instid1(VALU_DEP_2)
	v_add_co_u32 v12, vcc_lo, v12, v14
	s_wait_alu 0xfffd
	v_add_co_ci_u32_e32 v12, vcc_lo, v13, v15, vcc_lo
	s_wait_alu 0xfffd
	v_add_co_ci_u32_e32 v13, vcc_lo, 0, v21, vcc_lo
	s_delay_alu instid0(VALU_DEP_2) | instskip(SKIP_1) | instid1(VALU_DEP_2)
	v_add_co_u32 v14, vcc_lo, v12, v20
	s_wait_alu 0xfffd
	v_add_co_ci_u32_e64 v15, null, 0, v13, vcc_lo
	s_delay_alu instid0(VALU_DEP_2) | instskip(SKIP_1) | instid1(VALU_DEP_3)
	v_mul_lo_u32 v20, s55, v14
	v_mad_co_u64_u32 v[12:13], null, s54, v14, 0
	v_mul_lo_u32 v21, s54, v15
	s_delay_alu instid0(VALU_DEP_2) | instskip(NEXT) | instid1(VALU_DEP_2)
	v_sub_co_u32 v12, vcc_lo, v22, v12
	v_add3_u32 v13, v13, v21, v20
	v_add_co_u32 v21, s0, v14, 2
	s_wait_alu 0xf1ff
	v_add_co_ci_u32_e64 v22, null, 0, v15, s0
	s_delay_alu instid0(VALU_DEP_3) | instskip(SKIP_3) | instid1(VALU_DEP_3)
	v_sub_nc_u32_e32 v20, v23, v13
	v_sub_co_u32 v24, s0, v12, s54
	s_wait_alu 0xfffd
	v_sub_co_ci_u32_e64 v13, null, v23, v13, vcc_lo
	v_subrev_co_ci_u32_e64 v20, null, s55, v20, vcc_lo
	s_delay_alu instid0(VALU_DEP_3) | instskip(SKIP_1) | instid1(VALU_DEP_2)
	v_cmp_le_u32_e32 vcc_lo, s54, v24
	s_wait_alu 0xf1ff
	v_subrev_co_ci_u32_e64 v20, null, 0, v20, s0
	s_wait_alu 0xfffd
	v_cndmask_b32_e64 v23, 0, -1, vcc_lo
	s_delay_alu instid0(VALU_DEP_2)
	v_cmp_le_u32_e32 vcc_lo, s55, v20
	s_wait_alu 0xfffd
	v_cndmask_b32_e64 v24, 0, -1, vcc_lo
	v_cmp_le_u32_e32 vcc_lo, s54, v12
	s_wait_alu 0xfffd
	v_cndmask_b32_e64 v12, 0, -1, vcc_lo
	v_cmp_le_u32_e32 vcc_lo, s55, v13
	s_wait_alu 0xfffd
	v_cndmask_b32_e64 v25, 0, -1, vcc_lo
	v_cmp_eq_u32_e32 vcc_lo, s55, v20
	s_wait_alu 0xfffd
	v_cndmask_b32_e32 v20, v24, v23, vcc_lo
	v_add_co_u32 v23, vcc_lo, v14, 1
	s_wait_alu 0xfffd
	v_add_co_ci_u32_e64 v24, null, 0, v15, vcc_lo
	v_cmp_eq_u32_e32 vcc_lo, s55, v13
	s_wait_alu 0xfffd
	v_cndmask_b32_e32 v12, v25, v12, vcc_lo
	v_cmp_ne_u32_e32 vcc_lo, 0, v20
	s_wait_alu 0xfffd
	v_cndmask_b32_e32 v13, v24, v22, vcc_lo
	s_delay_alu instid0(VALU_DEP_3) | instskip(SKIP_2) | instid1(VALU_DEP_2)
	v_cmp_ne_u32_e64 s0, 0, v12
	v_cndmask_b32_e32 v12, v23, v21, vcc_lo
	s_wait_alu 0xf1ff
	v_cndmask_b32_e64 v13, v15, v13, s0
	s_delay_alu instid0(VALU_DEP_2) | instskip(NEXT) | instid1(VALU_DEP_2)
	v_cndmask_b32_e64 v12, v14, v12, s0
	v_xor_b32_e32 v13, v13, v3
	s_delay_alu instid0(VALU_DEP_2) | instskip(NEXT) | instid1(VALU_DEP_1)
	v_xor_b32_e32 v12, v12, v3
	v_sub_co_u32 v12, vcc_lo, v12, v3
	s_wait_alu 0xfffd
	s_delay_alu instid0(VALU_DEP_3)
	v_sub_co_ci_u32_e64 v13, null, v13, v3, vcc_lo
.LBB99_15:                              ;   in Loop: Header=BB99_3 Depth=1
	s_wait_alu 0xfffe
	s_and_not1_saveexec_b32 s0, s1
	s_cbranch_execz .LBB99_17
; %bb.16:                               ;   in Loop: Header=BB99_3 Depth=1
	v_cvt_f32_u32_e32 v3, s50
	s_sub_co_i32 s1, 0, s50
	s_delay_alu instid0(VALU_DEP_1) | instskip(NEXT) | instid1(TRANS32_DEP_1)
	v_rcp_iflag_f32_e32 v3, v3
	v_mul_f32_e32 v3, 0x4f7ffffe, v3
	s_delay_alu instid0(VALU_DEP_1) | instskip(SKIP_1) | instid1(VALU_DEP_1)
	v_cvt_u32_f32_e32 v3, v3
	s_wait_alu 0xfffe
	v_mul_lo_u32 v12, s1, v3
	s_delay_alu instid0(VALU_DEP_1) | instskip(NEXT) | instid1(VALU_DEP_1)
	v_mul_hi_u32 v12, v3, v12
	v_add_nc_u32_e32 v3, v3, v12
	s_delay_alu instid0(VALU_DEP_1) | instskip(NEXT) | instid1(VALU_DEP_1)
	v_mul_hi_u32 v3, v10, v3
	v_mul_lo_u32 v12, v3, s50
	v_add_nc_u32_e32 v13, 1, v3
	s_delay_alu instid0(VALU_DEP_2) | instskip(NEXT) | instid1(VALU_DEP_1)
	v_sub_nc_u32_e32 v12, v10, v12
	v_subrev_nc_u32_e32 v14, s50, v12
	v_cmp_le_u32_e32 vcc_lo, s50, v12
	s_wait_alu 0xfffd
	s_delay_alu instid0(VALU_DEP_2) | instskip(NEXT) | instid1(VALU_DEP_1)
	v_dual_cndmask_b32 v12, v12, v14 :: v_dual_cndmask_b32 v3, v3, v13
	v_cmp_le_u32_e32 vcc_lo, s50, v12
	s_delay_alu instid0(VALU_DEP_2) | instskip(SKIP_1) | instid1(VALU_DEP_1)
	v_add_nc_u32_e32 v13, 1, v3
	s_wait_alu 0xfffd
	v_dual_cndmask_b32 v12, v3, v13 :: v_dual_mov_b32 v13, v2
.LBB99_17:                              ;   in Loop: Header=BB99_3 Depth=1
	s_wait_alu 0xfffe
	s_or_b32 exec_lo, exec_lo, s0
	s_delay_alu instid0(VALU_DEP_1) | instskip(NEXT) | instid1(VALU_DEP_2)
	v_mul_lo_u32 v3, v13, s50
	v_mul_lo_u32 v20, v12, s51
	s_load_b64 s[0:1], s[42:43], 0xd0
	v_mad_co_u64_u32 v[14:15], null, v12, s50, 0
	s_load_b64 s[50:51], s[44:45], 0xd0
	v_add3_u32 v3, v15, v20, v3
	v_sub_co_u32 v10, vcc_lo, v10, v14
	s_wait_alu 0xfffd
	s_delay_alu instid0(VALU_DEP_2) | instskip(SKIP_1) | instid1(VALU_DEP_1)
	v_sub_co_ci_u32_e64 v3, null, v11, v3, vcc_lo
	s_wait_kmcnt 0x0
	v_mul_lo_u32 v11, s0, v3
	v_mul_lo_u32 v14, s1, v10
	v_mad_co_u64_u32 v[8:9], null, s0, v10, v[8:9]
	v_mul_lo_u32 v3, s50, v3
	v_mul_lo_u32 v15, s51, v10
	v_mad_co_u64_u32 v[6:7], null, s50, v10, v[6:7]
	s_mov_b64 s[0:1], s[30:31]
	v_add3_u32 v9, v14, v9, v11
	v_dual_mov_b32 v10, v12 :: v_dual_mov_b32 v11, v13
	v_add3_u32 v7, v15, v7, v3
	s_and_not1_b32 vcc_lo, exec_lo, s69
	s_wait_alu 0xfffe
	s_cbranch_vccz .LBB99_19
	s_branch .LBB99_29
.LBB99_18:                              ;   in Loop: Header=BB99_3 Depth=1
	s_mov_b64 s[0:1], s[28:29]
	s_and_not1_b32 vcc_lo, exec_lo, s69
	s_wait_alu 0xfffe
	s_cbranch_vccnz .LBB99_29
.LBB99_19:                              ;   in Loop: Header=BB99_3 Depth=1
	s_lshl_b64 s[52:53], s[0:1], 3
	s_add_nc_u64 s[54:55], s[0:1], 1
	s_wait_alu 0xfffe
	s_add_nc_u64 s[50:51], s[46:47], s[52:53]
	s_add_nc_u64 s[52:53], s[22:23], s[52:53]
	s_branch .LBB99_21
.LBB99_20:                              ;   in Loop: Header=BB99_21 Depth=2
	s_wait_alu 0xfffe
	s_or_b32 exec_lo, exec_lo, s0
	v_mul_lo_u32 v3, v13, s56
	v_mul_lo_u32 v24, v12, s57
	v_mad_co_u64_u32 v[20:21], null, v12, s56, 0
	s_load_b64 s[0:1], s[52:53], 0xc8
	s_load_b64 s[56:57], s[50:51], 0x0
	v_mul_lo_u32 v25, v15, s62
	v_mul_lo_u32 v26, v14, s63
	v_mad_co_u64_u32 v[22:23], null, v14, s62, 0
	v_add3_u32 v3, v21, v24, v3
	v_sub_co_u32 v10, vcc_lo, v10, v20
	s_add_nc_u64 s[54:55], s[54:55], -2
	s_add_nc_u64 s[50:51], s[50:51], -16
	s_wait_alu 0xfffd
	v_sub_co_ci_u32_e64 v3, null, v11, v3, vcc_lo
	v_mul_lo_u32 v11, s61, v10
	v_mad_co_u64_u32 v[8:9], null, s60, v10, v[8:9]
	s_delay_alu instid0(VALU_DEP_3)
	v_mul_lo_u32 v20, s60, v3
	v_mul_lo_u32 v21, s59, v10
	v_mad_co_u64_u32 v[6:7], null, s58, v10, v[6:7]
	v_mul_lo_u32 v3, s58, v3
	v_add3_u32 v10, v23, v26, v25
	s_wait_alu 0xfffe
	s_cmp_eq_u64 s[54:55], 0
	s_add_nc_u64 s[52:53], s[52:53], -16
	v_add3_u32 v9, v11, v9, v20
	v_sub_co_u32 v11, vcc_lo, v12, v22
	s_wait_alu 0xfffd
	v_sub_co_ci_u32_e64 v10, null, v13, v10, vcc_lo
	v_add3_u32 v7, v21, v7, v3
	s_wait_kmcnt 0x0
	v_mad_co_u64_u32 v[8:9], null, s0, v11, v[8:9]
	s_delay_alu instid0(VALU_DEP_3) | instskip(SKIP_4) | instid1(VALU_DEP_4)
	v_mul_lo_u32 v3, s0, v10
	v_mul_lo_u32 v12, s1, v11
	;; [unrolled: 1-line block ×4, first 2 shown]
	v_mad_co_u64_u32 v[6:7], null, s56, v11, v[6:7]
	v_add3_u32 v9, v12, v9, v3
	s_delay_alu instid0(VALU_DEP_2)
	v_add3_u32 v7, v13, v7, v10
	v_dual_mov_b32 v10, v14 :: v_dual_mov_b32 v11, v15
	s_cbranch_scc1 .LBB99_29
.LBB99_21:                              ;   Parent Loop BB99_3 Depth=1
                                        ; =>  This Inner Loop Header: Depth=2
	s_load_b64 s[56:57], s[52:53], 0x8
                                        ; implicit-def: $vgpr12_vgpr13
	s_mov_b32 s0, exec_lo
	s_wait_kmcnt 0x0
	v_or_b32_e32 v3, s57, v11
	s_delay_alu instid0(VALU_DEP_1)
	v_cmpx_ne_u64_e32 0, v[2:3]
	s_wait_alu 0xfffe
	s_xor_b32 s1, exec_lo, s0
	s_cbranch_execz .LBB99_23
; %bb.22:                               ;   in Loop: Header=BB99_21 Depth=2
	s_ashr_i32 s58, s57, 31
	v_ashrrev_i32_e32 v3, 31, v11
	s_wait_alu 0xfffe
	s_mov_b32 s59, s58
	s_wait_alu 0xfffe
	s_add_nc_u64 s[60:61], s[56:57], s[58:59]
	v_add_co_u32 v12, vcc_lo, v10, v3
	s_wait_alu 0xfffe
	s_xor_b64 s[60:61], s[60:61], s[58:59]
	s_wait_alu 0xfffd
	v_add_co_ci_u32_e64 v13, null, v11, v3, vcc_lo
	s_wait_alu 0xfffe
	s_cvt_f32_u32 s0, s60
	s_cvt_f32_u32 s26, s61
	s_sub_nc_u64 s[64:65], 0, s[60:61]
	v_xor_b32_e32 v22, v12, v3
	v_xor_b32_e32 v23, v13, v3
	s_wait_alu 0xfffe
	s_fmamk_f32 s0, s26, 0x4f800000, s0
	v_xor_b32_e32 v3, s58, v3
	s_wait_alu 0xfffe
	s_delay_alu instid0(SALU_CYCLE_1) | instskip(NEXT) | instid1(TRANS32_DEP_1)
	v_s_rcp_f32 s0, s0
	s_mul_f32 s0, s0, 0x5f7ffffc
	s_wait_alu 0xfffe
	s_delay_alu instid0(SALU_CYCLE_2) | instskip(SKIP_1) | instid1(SALU_CYCLE_2)
	s_mul_f32 s26, s0, 0x2f800000
	s_wait_alu 0xfffe
	s_trunc_f32 s26, s26
	s_wait_alu 0xfffe
	s_delay_alu instid0(SALU_CYCLE_2) | instskip(SKIP_2) | instid1(SALU_CYCLE_1)
	s_fmamk_f32 s0, s26, 0xcf800000, s0
	s_cvt_u32_f32 s63, s26
	s_wait_alu 0xfffe
	s_cvt_u32_f32 s62, s0
	s_wait_alu 0xfffe
	s_delay_alu instid0(SALU_CYCLE_2)
	s_mul_u64 s[66:67], s[64:65], s[62:63]
	s_wait_alu 0xfffe
	s_mul_hi_u32 s73, s62, s67
	s_mul_i32 s72, s62, s67
	s_mul_hi_u32 s26, s62, s66
	s_mul_i32 s49, s63, s66
	s_wait_alu 0xfffe
	s_add_nc_u64 s[72:73], s[26:27], s[72:73]
	s_mul_hi_u32 s0, s63, s66
	s_mul_hi_u32 s59, s63, s67
	s_add_co_u32 s26, s72, s49
	s_wait_alu 0xfffe
	s_add_co_ci_u32 s26, s73, s0
	s_mul_i32 s66, s63, s67
	s_add_co_ci_u32 s67, s59, 0
	s_wait_alu 0xfffe
	s_add_nc_u64 s[66:67], s[26:27], s[66:67]
	s_wait_alu 0xfffe
	s_add_co_u32 s62, s62, s66
	s_cselect_b32 s0, -1, 0
	s_wait_alu 0xfffe
	s_cmp_lg_u32 s0, 0
	s_add_co_ci_u32 s63, s63, s67
	s_wait_alu 0xfffe
	s_mul_u64 s[64:65], s[64:65], s[62:63]
	s_wait_alu 0xfffe
	s_mul_hi_u32 s67, s62, s65
	s_mul_i32 s66, s62, s65
	s_mul_hi_u32 s26, s62, s64
	s_mul_i32 s49, s63, s64
	s_wait_alu 0xfffe
	s_add_nc_u64 s[66:67], s[26:27], s[66:67]
	s_mul_hi_u32 s0, s63, s64
	s_mul_hi_u32 s59, s63, s65
	s_wait_alu 0xfffe
	s_add_co_u32 s26, s66, s49
	s_add_co_ci_u32 s26, s67, s0
	s_mul_i32 s64, s63, s65
	s_add_co_ci_u32 s65, s59, 0
	s_wait_alu 0xfffe
	s_add_nc_u64 s[64:65], s[26:27], s[64:65]
	s_wait_alu 0xfffe
	s_add_co_u32 s0, s62, s64
	s_cselect_b32 s26, -1, 0
	s_wait_alu 0xfffe
	v_mul_hi_u32 v24, v22, s0
	s_cmp_lg_u32 s26, 0
	v_mad_co_u64_u32 v[14:15], null, v23, s0, 0
	s_add_co_ci_u32 s26, s63, s65
	s_wait_alu 0xfffe
	v_mad_co_u64_u32 v[12:13], null, v22, s26, 0
	v_mad_co_u64_u32 v[20:21], null, v23, s26, 0
	s_delay_alu instid0(VALU_DEP_2) | instskip(SKIP_1) | instid1(VALU_DEP_3)
	v_add_co_u32 v12, vcc_lo, v24, v12
	s_wait_alu 0xfffd
	v_add_co_ci_u32_e64 v13, null, 0, v13, vcc_lo
	s_delay_alu instid0(VALU_DEP_2) | instskip(SKIP_1) | instid1(VALU_DEP_2)
	v_add_co_u32 v12, vcc_lo, v12, v14
	s_wait_alu 0xfffd
	v_add_co_ci_u32_e32 v12, vcc_lo, v13, v15, vcc_lo
	s_wait_alu 0xfffd
	v_add_co_ci_u32_e32 v13, vcc_lo, 0, v21, vcc_lo
	s_delay_alu instid0(VALU_DEP_2) | instskip(SKIP_1) | instid1(VALU_DEP_2)
	v_add_co_u32 v14, vcc_lo, v12, v20
	s_wait_alu 0xfffd
	v_add_co_ci_u32_e64 v15, null, 0, v13, vcc_lo
	s_delay_alu instid0(VALU_DEP_2) | instskip(SKIP_1) | instid1(VALU_DEP_3)
	v_mul_lo_u32 v20, s61, v14
	v_mad_co_u64_u32 v[12:13], null, s60, v14, 0
	v_mul_lo_u32 v21, s60, v15
	s_delay_alu instid0(VALU_DEP_2) | instskip(NEXT) | instid1(VALU_DEP_2)
	v_sub_co_u32 v12, vcc_lo, v22, v12
	v_add3_u32 v13, v13, v21, v20
	v_add_co_u32 v21, s0, v14, 2
	s_wait_alu 0xf1ff
	v_add_co_ci_u32_e64 v22, null, 0, v15, s0
	s_delay_alu instid0(VALU_DEP_3) | instskip(SKIP_3) | instid1(VALU_DEP_3)
	v_sub_nc_u32_e32 v20, v23, v13
	v_sub_co_u32 v24, s0, v12, s60
	s_wait_alu 0xfffd
	v_sub_co_ci_u32_e64 v13, null, v23, v13, vcc_lo
	v_subrev_co_ci_u32_e64 v20, null, s61, v20, vcc_lo
	s_delay_alu instid0(VALU_DEP_3) | instskip(SKIP_1) | instid1(VALU_DEP_2)
	v_cmp_le_u32_e32 vcc_lo, s60, v24
	s_wait_alu 0xf1ff
	v_subrev_co_ci_u32_e64 v20, null, 0, v20, s0
	s_wait_alu 0xfffd
	v_cndmask_b32_e64 v23, 0, -1, vcc_lo
	s_delay_alu instid0(VALU_DEP_2)
	v_cmp_le_u32_e32 vcc_lo, s61, v20
	s_wait_alu 0xfffd
	v_cndmask_b32_e64 v24, 0, -1, vcc_lo
	v_cmp_le_u32_e32 vcc_lo, s60, v12
	s_wait_alu 0xfffd
	v_cndmask_b32_e64 v12, 0, -1, vcc_lo
	;; [unrolled: 3-line block ×3, first 2 shown]
	v_cmp_eq_u32_e32 vcc_lo, s61, v20
	s_wait_alu 0xfffd
	v_cndmask_b32_e32 v20, v24, v23, vcc_lo
	v_add_co_u32 v23, vcc_lo, v14, 1
	s_wait_alu 0xfffd
	v_add_co_ci_u32_e64 v24, null, 0, v15, vcc_lo
	v_cmp_eq_u32_e32 vcc_lo, s61, v13
	s_wait_alu 0xfffd
	v_cndmask_b32_e32 v12, v25, v12, vcc_lo
	v_cmp_ne_u32_e32 vcc_lo, 0, v20
	s_wait_alu 0xfffd
	v_cndmask_b32_e32 v13, v24, v22, vcc_lo
	s_delay_alu instid0(VALU_DEP_3) | instskip(SKIP_2) | instid1(VALU_DEP_2)
	v_cmp_ne_u32_e64 s0, 0, v12
	v_cndmask_b32_e32 v12, v23, v21, vcc_lo
	s_wait_alu 0xf1ff
	v_cndmask_b32_e64 v13, v15, v13, s0
	s_delay_alu instid0(VALU_DEP_2) | instskip(NEXT) | instid1(VALU_DEP_2)
	v_cndmask_b32_e64 v12, v14, v12, s0
	v_xor_b32_e32 v13, v13, v3
	s_delay_alu instid0(VALU_DEP_2) | instskip(NEXT) | instid1(VALU_DEP_1)
	v_xor_b32_e32 v12, v12, v3
	v_sub_co_u32 v12, vcc_lo, v12, v3
	s_wait_alu 0xfffd
	s_delay_alu instid0(VALU_DEP_3)
	v_sub_co_ci_u32_e64 v13, null, v13, v3, vcc_lo
.LBB99_23:                              ;   in Loop: Header=BB99_21 Depth=2
	s_wait_alu 0xfffe
	s_and_not1_saveexec_b32 s0, s1
	s_cbranch_execz .LBB99_25
; %bb.24:                               ;   in Loop: Header=BB99_21 Depth=2
	v_cvt_f32_u32_e32 v3, s56
	s_sub_co_i32 s1, 0, s56
	s_delay_alu instid0(VALU_DEP_1) | instskip(NEXT) | instid1(TRANS32_DEP_1)
	v_rcp_iflag_f32_e32 v3, v3
	v_mul_f32_e32 v3, 0x4f7ffffe, v3
	s_delay_alu instid0(VALU_DEP_1) | instskip(SKIP_1) | instid1(VALU_DEP_1)
	v_cvt_u32_f32_e32 v3, v3
	s_wait_alu 0xfffe
	v_mul_lo_u32 v12, s1, v3
	s_delay_alu instid0(VALU_DEP_1) | instskip(NEXT) | instid1(VALU_DEP_1)
	v_mul_hi_u32 v12, v3, v12
	v_add_nc_u32_e32 v3, v3, v12
	s_delay_alu instid0(VALU_DEP_1) | instskip(NEXT) | instid1(VALU_DEP_1)
	v_mul_hi_u32 v3, v10, v3
	v_mul_lo_u32 v12, v3, s56
	v_add_nc_u32_e32 v13, 1, v3
	s_delay_alu instid0(VALU_DEP_2) | instskip(NEXT) | instid1(VALU_DEP_1)
	v_sub_nc_u32_e32 v12, v10, v12
	v_subrev_nc_u32_e32 v14, s56, v12
	v_cmp_le_u32_e32 vcc_lo, s56, v12
	s_wait_alu 0xfffd
	s_delay_alu instid0(VALU_DEP_2) | instskip(NEXT) | instid1(VALU_DEP_1)
	v_dual_cndmask_b32 v12, v12, v14 :: v_dual_cndmask_b32 v3, v3, v13
	v_cmp_le_u32_e32 vcc_lo, s56, v12
	s_delay_alu instid0(VALU_DEP_2) | instskip(SKIP_1) | instid1(VALU_DEP_1)
	v_add_nc_u32_e32 v13, 1, v3
	s_wait_alu 0xfffd
	v_dual_cndmask_b32 v12, v3, v13 :: v_dual_mov_b32 v13, v2
.LBB99_25:                              ;   in Loop: Header=BB99_21 Depth=2
	s_wait_alu 0xfffe
	s_or_b32 exec_lo, exec_lo, s0
	s_clause 0x1
	s_load_b64 s[62:63], s[52:53], 0x0
	s_load_b64 s[60:61], s[52:53], 0xd0
	;; [unrolled: 1-line block ×3, first 2 shown]
                                        ; implicit-def: $vgpr14_vgpr15
	s_mov_b32 s0, exec_lo
	s_wait_kmcnt 0x0
	v_or_b32_e32 v3, s63, v13
	s_delay_alu instid0(VALU_DEP_1)
	v_cmpx_ne_u64_e32 0, v[2:3]
	s_wait_alu 0xfffe
	s_xor_b32 s1, exec_lo, s0
	s_cbranch_execz .LBB99_27
; %bb.26:                               ;   in Loop: Header=BB99_21 Depth=2
	s_ashr_i32 s64, s63, 31
	v_ashrrev_i32_e32 v3, 31, v13
	s_wait_alu 0xfffe
	s_mov_b32 s65, s64
	s_wait_alu 0xfffe
	s_add_nc_u64 s[66:67], s[62:63], s[64:65]
	v_add_co_u32 v14, vcc_lo, v12, v3
	s_wait_alu 0xfffe
	s_xor_b64 s[66:67], s[66:67], s[64:65]
	s_wait_alu 0xfffd
	v_add_co_ci_u32_e64 v15, null, v13, v3, vcc_lo
	s_wait_alu 0xfffe
	s_cvt_f32_u32 s0, s66
	s_cvt_f32_u32 s26, s67
	s_sub_nc_u64 s[74:75], 0, s[66:67]
	v_xor_b32_e32 v24, v14, v3
	v_xor_b32_e32 v25, v15, v3
	s_wait_alu 0xfffe
	s_fmamk_f32 s0, s26, 0x4f800000, s0
	v_xor_b32_e32 v3, s64, v3
	s_wait_alu 0xfffe
	s_delay_alu instid0(SALU_CYCLE_1) | instskip(NEXT) | instid1(TRANS32_DEP_1)
	v_s_rcp_f32 s0, s0
	s_mul_f32 s0, s0, 0x5f7ffffc
	s_wait_alu 0xfffe
	s_delay_alu instid0(SALU_CYCLE_2) | instskip(SKIP_1) | instid1(SALU_CYCLE_2)
	s_mul_f32 s26, s0, 0x2f800000
	s_wait_alu 0xfffe
	s_trunc_f32 s26, s26
	s_wait_alu 0xfffe
	s_delay_alu instid0(SALU_CYCLE_2) | instskip(SKIP_2) | instid1(SALU_CYCLE_1)
	s_fmamk_f32 s0, s26, 0xcf800000, s0
	s_cvt_u32_f32 s73, s26
	s_wait_alu 0xfffe
	s_cvt_u32_f32 s72, s0
	s_delay_alu instid0(SALU_CYCLE_3) | instskip(NEXT) | instid1(SALU_CYCLE_1)
	s_mul_u64 s[76:77], s[74:75], s[72:73]
	s_mul_hi_u32 s79, s72, s77
	s_mul_i32 s78, s72, s77
	s_mul_hi_u32 s26, s72, s76
	s_mul_i32 s49, s73, s76
	s_wait_alu 0xfffe
	s_add_nc_u64 s[78:79], s[26:27], s[78:79]
	s_mul_hi_u32 s0, s73, s76
	s_mul_hi_u32 s65, s73, s77
	s_add_co_u32 s26, s78, s49
	s_wait_alu 0xfffe
	s_add_co_ci_u32 s26, s79, s0
	s_mul_i32 s76, s73, s77
	s_add_co_ci_u32 s77, s65, 0
	s_wait_alu 0xfffe
	s_add_nc_u64 s[76:77], s[26:27], s[76:77]
	s_delay_alu instid0(SALU_CYCLE_1) | instskip(SKIP_4) | instid1(SALU_CYCLE_1)
	s_add_co_u32 s72, s72, s76
	s_cselect_b32 s0, -1, 0
	s_wait_alu 0xfffe
	s_cmp_lg_u32 s0, 0
	s_add_co_ci_u32 s73, s73, s77
	s_mul_u64 s[74:75], s[74:75], s[72:73]
	s_delay_alu instid0(SALU_CYCLE_1)
	s_mul_hi_u32 s77, s72, s75
	s_mul_i32 s76, s72, s75
	s_mul_hi_u32 s26, s72, s74
	s_mul_i32 s49, s73, s74
	s_wait_alu 0xfffe
	s_add_nc_u64 s[76:77], s[26:27], s[76:77]
	s_mul_hi_u32 s0, s73, s74
	s_mul_hi_u32 s65, s73, s75
	s_add_co_u32 s26, s76, s49
	s_wait_alu 0xfffe
	s_add_co_ci_u32 s26, s77, s0
	s_mul_i32 s74, s73, s75
	s_add_co_ci_u32 s75, s65, 0
	s_wait_alu 0xfffe
	s_add_nc_u64 s[74:75], s[26:27], s[74:75]
	s_delay_alu instid0(SALU_CYCLE_1)
	s_add_co_u32 s0, s72, s74
	s_cselect_b32 s26, -1, 0
	s_wait_alu 0xfffe
	v_mul_hi_u32 v26, v24, s0
	s_cmp_lg_u32 s26, 0
	v_mad_co_u64_u32 v[20:21], null, v25, s0, 0
	s_add_co_ci_u32 s26, s73, s75
	s_wait_alu 0xfffe
	v_mad_co_u64_u32 v[14:15], null, v24, s26, 0
	v_mad_co_u64_u32 v[22:23], null, v25, s26, 0
	s_delay_alu instid0(VALU_DEP_2) | instskip(SKIP_1) | instid1(VALU_DEP_3)
	v_add_co_u32 v14, vcc_lo, v26, v14
	s_wait_alu 0xfffd
	v_add_co_ci_u32_e64 v15, null, 0, v15, vcc_lo
	s_delay_alu instid0(VALU_DEP_2) | instskip(SKIP_1) | instid1(VALU_DEP_2)
	v_add_co_u32 v14, vcc_lo, v14, v20
	s_wait_alu 0xfffd
	v_add_co_ci_u32_e32 v14, vcc_lo, v15, v21, vcc_lo
	s_wait_alu 0xfffd
	v_add_co_ci_u32_e32 v15, vcc_lo, 0, v23, vcc_lo
	s_delay_alu instid0(VALU_DEP_2) | instskip(SKIP_1) | instid1(VALU_DEP_2)
	v_add_co_u32 v20, vcc_lo, v14, v22
	s_wait_alu 0xfffd
	v_add_co_ci_u32_e64 v21, null, 0, v15, vcc_lo
	s_delay_alu instid0(VALU_DEP_2) | instskip(SKIP_1) | instid1(VALU_DEP_3)
	v_mul_lo_u32 v22, s67, v20
	v_mad_co_u64_u32 v[14:15], null, s66, v20, 0
	v_mul_lo_u32 v23, s66, v21
	s_delay_alu instid0(VALU_DEP_2) | instskip(NEXT) | instid1(VALU_DEP_2)
	v_sub_co_u32 v14, vcc_lo, v24, v14
	v_add3_u32 v15, v15, v23, v22
	v_add_co_u32 v23, s0, v20, 2
	s_wait_alu 0xf1ff
	v_add_co_ci_u32_e64 v24, null, 0, v21, s0
	s_delay_alu instid0(VALU_DEP_3) | instskip(SKIP_3) | instid1(VALU_DEP_3)
	v_sub_nc_u32_e32 v22, v25, v15
	v_sub_co_u32 v26, s0, v14, s66
	s_wait_alu 0xfffd
	v_sub_co_ci_u32_e64 v15, null, v25, v15, vcc_lo
	v_subrev_co_ci_u32_e64 v22, null, s67, v22, vcc_lo
	s_delay_alu instid0(VALU_DEP_3) | instskip(SKIP_1) | instid1(VALU_DEP_2)
	v_cmp_le_u32_e32 vcc_lo, s66, v26
	s_wait_alu 0xf1ff
	v_subrev_co_ci_u32_e64 v22, null, 0, v22, s0
	s_wait_alu 0xfffd
	v_cndmask_b32_e64 v25, 0, -1, vcc_lo
	s_delay_alu instid0(VALU_DEP_2)
	v_cmp_le_u32_e32 vcc_lo, s67, v22
	s_wait_alu 0xfffd
	v_cndmask_b32_e64 v26, 0, -1, vcc_lo
	v_cmp_le_u32_e32 vcc_lo, s66, v14
	s_wait_alu 0xfffd
	v_cndmask_b32_e64 v14, 0, -1, vcc_lo
	;; [unrolled: 3-line block ×3, first 2 shown]
	v_cmp_eq_u32_e32 vcc_lo, s67, v22
	s_wait_alu 0xfffd
	v_cndmask_b32_e32 v22, v26, v25, vcc_lo
	v_add_co_u32 v25, vcc_lo, v20, 1
	s_wait_alu 0xfffd
	v_add_co_ci_u32_e64 v26, null, 0, v21, vcc_lo
	v_cmp_eq_u32_e32 vcc_lo, s67, v15
	s_wait_alu 0xfffd
	v_cndmask_b32_e32 v14, v27, v14, vcc_lo
	v_cmp_ne_u32_e32 vcc_lo, 0, v22
	s_wait_alu 0xfffd
	v_cndmask_b32_e32 v15, v26, v24, vcc_lo
	s_delay_alu instid0(VALU_DEP_3) | instskip(SKIP_2) | instid1(VALU_DEP_2)
	v_cmp_ne_u32_e64 s0, 0, v14
	v_cndmask_b32_e32 v14, v25, v23, vcc_lo
	s_wait_alu 0xf1ff
	v_cndmask_b32_e64 v15, v21, v15, s0
	s_delay_alu instid0(VALU_DEP_2) | instskip(NEXT) | instid1(VALU_DEP_2)
	v_cndmask_b32_e64 v14, v20, v14, s0
	v_xor_b32_e32 v15, v15, v3
	s_delay_alu instid0(VALU_DEP_2) | instskip(NEXT) | instid1(VALU_DEP_1)
	v_xor_b32_e32 v14, v14, v3
	v_sub_co_u32 v14, vcc_lo, v14, v3
	s_wait_alu 0xfffd
	s_delay_alu instid0(VALU_DEP_3)
	v_sub_co_ci_u32_e64 v15, null, v15, v3, vcc_lo
.LBB99_27:                              ;   in Loop: Header=BB99_21 Depth=2
	s_wait_alu 0xfffe
	s_and_not1_saveexec_b32 s0, s1
	s_cbranch_execz .LBB99_20
; %bb.28:                               ;   in Loop: Header=BB99_21 Depth=2
	v_cvt_f32_u32_e32 v3, s62
	s_sub_co_i32 s1, 0, s62
	s_delay_alu instid0(VALU_DEP_1) | instskip(NEXT) | instid1(TRANS32_DEP_1)
	v_rcp_iflag_f32_e32 v3, v3
	v_mul_f32_e32 v3, 0x4f7ffffe, v3
	s_delay_alu instid0(VALU_DEP_1) | instskip(SKIP_1) | instid1(VALU_DEP_1)
	v_cvt_u32_f32_e32 v3, v3
	s_wait_alu 0xfffe
	v_mul_lo_u32 v14, s1, v3
	s_delay_alu instid0(VALU_DEP_1) | instskip(NEXT) | instid1(VALU_DEP_1)
	v_mul_hi_u32 v14, v3, v14
	v_add_nc_u32_e32 v3, v3, v14
	s_delay_alu instid0(VALU_DEP_1) | instskip(NEXT) | instid1(VALU_DEP_1)
	v_mul_hi_u32 v3, v12, v3
	v_mul_lo_u32 v14, v3, s62
	v_add_nc_u32_e32 v15, 1, v3
	s_delay_alu instid0(VALU_DEP_2) | instskip(NEXT) | instid1(VALU_DEP_1)
	v_sub_nc_u32_e32 v14, v12, v14
	v_subrev_nc_u32_e32 v20, s62, v14
	v_cmp_le_u32_e32 vcc_lo, s62, v14
	s_wait_alu 0xfffd
	s_delay_alu instid0(VALU_DEP_2) | instskip(NEXT) | instid1(VALU_DEP_1)
	v_dual_cndmask_b32 v14, v14, v20 :: v_dual_cndmask_b32 v3, v3, v15
	v_cmp_le_u32_e32 vcc_lo, s62, v14
	s_delay_alu instid0(VALU_DEP_2) | instskip(SKIP_1) | instid1(VALU_DEP_1)
	v_add_nc_u32_e32 v15, 1, v3
	s_wait_alu 0xfffd
	v_dual_cndmask_b32 v14, v3, v15 :: v_dual_mov_b32 v15, v2
	s_branch .LBB99_20
.LBB99_29:                              ;   in Loop: Header=BB99_3 Depth=1
	v_sub_co_u32 v10, vcc_lo, v4, v18
	s_wait_alu 0xfffd
	v_sub_co_ci_u32_e64 v11, null, v5, v19, vcc_lo
	v_dual_mov_b32 v18, 0 :: v_dual_mov_b32 v15, 0
	s_delay_alu instid0(VALU_DEP_3) | instskip(SKIP_1) | instid1(VALU_DEP_3)
	v_add_co_u32 v12, vcc_lo, v10, 4
	s_wait_alu 0xfffd
	v_add_co_ci_u32_e64 v13, null, 0, v11, vcc_lo
	v_mov_b32_e32 v3, 0
	s_delay_alu instid0(VALU_DEP_2)
	v_cmp_le_i64_e32 vcc_lo, s[4:5], v[12:13]
	v_mov_b32_e32 v12, 0
	s_and_saveexec_b32 s0, vcc_lo
	s_cbranch_execz .LBB99_39
; %bb.30:                               ;   in Loop: Header=BB99_3 Depth=1
	v_dual_mov_b32 v14, 0 :: v_dual_mov_b32 v13, 0
	v_dual_mov_b32 v3, 0 :: v_dual_mov_b32 v12, 0
	s_mov_b32 s1, exec_lo
	v_cmpx_gt_i64_e64 s[10:11], v[4:5]
	s_cbranch_execz .LBB99_38
; %bb.31:                               ;   in Loop: Header=BB99_3 Depth=1
	v_lshlrev_b64_e32 v[8:9], 1, v[8:9]
	v_mov_b32_e32 v3, 0
	s_delay_alu instid0(VALU_DEP_2) | instskip(SKIP_1) | instid1(VALU_DEP_3)
	v_add_co_u32 v8, vcc_lo, s20, v8
	s_wait_alu 0xfffd
	v_add_co_ci_u32_e64 v9, null, s21, v9, vcc_lo
	v_add_co_u32 v13, vcc_lo, v4, 1
	s_wait_alu 0xfffd
	v_add_co_ci_u32_e64 v14, null, 0, v5, vcc_lo
	global_load_u16 v12, v[8:9], off
	v_cmp_gt_i64_e32 vcc_lo, s[10:11], v[13:14]
	v_dual_mov_b32 v13, 0 :: v_dual_mov_b32 v14, 0
	s_and_saveexec_b32 s26, vcc_lo
	s_wait_alu 0xfffe
	s_xor_b32 s26, exec_lo, s26
	s_cbranch_execz .LBB99_37
; %bb.32:                               ;   in Loop: Header=BB99_3 Depth=1
	s_lshl_b64 s[50:51], s[18:19], 1
	s_wait_alu 0xfffe
	v_add_co_u32 v13, vcc_lo, v8, s50
	s_wait_alu 0xfffd
	v_add_co_ci_u32_e64 v14, null, s51, v9, vcc_lo
	global_load_u16 v3, v[13:14], off
	v_add_co_u32 v13, vcc_lo, v4, 2
	s_wait_alu 0xfffd
	v_add_co_ci_u32_e64 v14, null, 0, v5, vcc_lo
	s_delay_alu instid0(VALU_DEP_1)
	v_cmp_gt_i64_e32 vcc_lo, s[10:11], v[13:14]
	v_dual_mov_b32 v13, 0 :: v_dual_mov_b32 v14, 0
	s_and_saveexec_b32 s49, vcc_lo
	s_wait_alu 0xfffe
	s_xor_b32 s49, exec_lo, s49
	s_cbranch_execz .LBB99_36
; %bb.33:                               ;   in Loop: Header=BB99_3 Depth=1
	v_add_co_u32 v13, vcc_lo, v8, s38
	s_wait_alu 0xfffd
	v_add_co_ci_u32_e64 v14, null, s39, v9, vcc_lo
	global_load_u16 v13, v[13:14], off
	v_add_co_u32 v14, vcc_lo, v4, 3
	s_wait_alu 0xfffd
	v_add_co_ci_u32_e64 v15, null, 0, v5, vcc_lo
	s_delay_alu instid0(VALU_DEP_1)
	v_cmp_gt_i64_e32 vcc_lo, s[10:11], v[14:15]
	v_mov_b32_e32 v14, 0
	s_and_saveexec_b32 s50, vcc_lo
	s_wait_alu 0xfffe
	s_xor_b32 s50, exec_lo, s50
	s_cbranch_execz .LBB99_35
; %bb.34:                               ;   in Loop: Header=BB99_3 Depth=1
	v_add_co_u32 v8, vcc_lo, v8, s40
	s_wait_alu 0xfffd
	v_add_co_ci_u32_e64 v9, null, s41, v9, vcc_lo
	global_load_u16 v14, v[8:9], off
.LBB99_35:                              ;   in Loop: Header=BB99_3 Depth=1
	s_wait_alu 0xfffe
	s_or_b32 exec_lo, exec_lo, s50
.LBB99_36:                              ;   in Loop: Header=BB99_3 Depth=1
	s_wait_alu 0xfffe
	s_or_b32 exec_lo, exec_lo, s49
.LBB99_37:                              ;   in Loop: Header=BB99_3 Depth=1
	s_wait_alu 0xfffe
	s_or_b32 exec_lo, exec_lo, s26
.LBB99_38:                              ;   in Loop: Header=BB99_3 Depth=1
	s_wait_alu 0xfffe
	s_or_b32 exec_lo, exec_lo, s1
	v_cmp_le_i64_e32 vcc_lo, s[4:5], v[10:11]
	s_wait_loadcnt 0x0
	s_wait_alu 0xfffd
	v_cndmask_b32_e32 v18, 0, v12, vcc_lo
	v_add_co_u32 v8, vcc_lo, v10, 1
	s_wait_alu 0xfffd
	v_add_co_ci_u32_e64 v9, null, 0, v11, vcc_lo
	v_add_co_u32 v19, vcc_lo, v10, 2
	s_wait_alu 0xfffd
	v_add_co_ci_u32_e64 v20, null, 0, v11, vcc_lo
	;; [unrolled: 3-line block ×3, first 2 shown]
	v_cmp_le_i64_e32 vcc_lo, s[4:5], v[8:9]
	s_wait_alu 0xfffd
	v_cndmask_b32_e32 v15, 0, v3, vcc_lo
	v_cmp_le_i64_e32 vcc_lo, s[4:5], v[19:20]
	s_wait_alu 0xfffd
	v_cndmask_b32_e32 v12, 0, v13, vcc_lo
	v_cmp_le_i64_e32 vcc_lo, s[4:5], v[10:11]
	s_wait_alu 0xfffd
	v_cndmask_b32_e32 v3, 0, v14, vcc_lo
.LBB99_39:                              ;   in Loop: Header=BB99_3 Depth=1
	s_wait_alu 0xfffe
	s_or_b32 exec_lo, exec_lo, s0
	s_delay_alu instid0(SALU_CYCLE_1)
	s_mov_b32 s0, exec_lo
	v_cmpx_gt_i64_e64 s[10:11], v[4:5]
	s_cbranch_execz .LBB99_2
; %bb.40:                               ;   in Loop: Header=BB99_3 Depth=1
	v_lshlrev_b64_e32 v[6:7], 1, v[6:7]
	v_add_co_u32 v8, vcc_lo, v4, 1
	s_wait_alu 0xfffd
	v_add_co_ci_u32_e64 v9, null, 0, v5, vcc_lo
	s_mov_b32 s1, exec_lo
	v_add_co_u32 v6, vcc_lo, s24, v6
	s_wait_alu 0xfffd
	v_add_co_ci_u32_e64 v7, null, s25, v7, vcc_lo
	global_store_b16 v[6:7], v18, off
	v_cmpx_gt_i64_e64 s[10:11], v[8:9]
	s_wait_alu 0xfffe
	s_xor_b32 s1, exec_lo, s1
	s_cbranch_execz .LBB99_2
; %bb.41:                               ;   in Loop: Header=BB99_3 Depth=1
	s_lshl_b64 s[50:51], s[14:15], 1
	v_add_co_u32 v8, vcc_lo, v4, 2
	s_wait_alu 0xfffd
	v_add_co_ci_u32_e64 v9, null, 0, v5, vcc_lo
	s_wait_alu 0xfffe
	v_add_co_u32 v10, vcc_lo, v6, s50
	s_wait_alu 0xfffd
	v_add_co_ci_u32_e64 v11, null, s51, v7, vcc_lo
	s_mov_b32 s1, exec_lo
	global_store_b16 v[10:11], v15, off
	v_cmpx_gt_i64_e64 s[10:11], v[8:9]
	s_wait_alu 0xfffe
	s_xor_b32 s1, exec_lo, s1
	s_cbranch_execz .LBB99_2
; %bb.42:                               ;   in Loop: Header=BB99_3 Depth=1
	v_add_co_u32 v4, vcc_lo, v4, 3
	s_wait_alu 0xfffd
	v_add_co_ci_u32_e64 v5, null, 0, v5, vcc_lo
	v_add_co_u32 v8, vcc_lo, v6, s34
	s_wait_alu 0xfffd
	v_add_co_ci_u32_e64 v9, null, s35, v7, vcc_lo
	s_mov_b32 s1, exec_lo
	global_store_b16 v[8:9], v12, off
	v_cmpx_gt_i64_e64 s[10:11], v[4:5]
	s_wait_alu 0xfffe
	s_xor_b32 s1, exec_lo, s1
	s_cbranch_execz .LBB99_2
; %bb.43:                               ;   in Loop: Header=BB99_3 Depth=1
	v_add_co_u32 v4, vcc_lo, v6, s36
	s_wait_alu 0xfffd
	v_add_co_ci_u32_e64 v5, null, s37, v7, vcc_lo
	global_store_b16 v[4:5], v3, off
	s_branch .LBB99_2
.LBB99_44:
	s_endpgm
	.section	.rodata,"a",@progbits
	.p2align	6, 0x0
	.amdhsa_kernel _ZN2at6native16triu_tril_kernelIN3c108BFloat16ElLb1ELi4ELb0EEEvNS_4cuda6detail10TensorInfoIT_T0_EENS6_IKS7_S8_EEllS8_
		.amdhsa_group_segment_fixed_size 0
		.amdhsa_private_segment_fixed_size 0
		.amdhsa_kernarg_size 1112
		.amdhsa_user_sgpr_count 2
		.amdhsa_user_sgpr_dispatch_ptr 0
		.amdhsa_user_sgpr_queue_ptr 0
		.amdhsa_user_sgpr_kernarg_segment_ptr 1
		.amdhsa_user_sgpr_dispatch_id 0
		.amdhsa_user_sgpr_private_segment_size 0
		.amdhsa_wavefront_size32 1
		.amdhsa_uses_dynamic_stack 0
		.amdhsa_enable_private_segment 0
		.amdhsa_system_sgpr_workgroup_id_x 1
		.amdhsa_system_sgpr_workgroup_id_y 0
		.amdhsa_system_sgpr_workgroup_id_z 0
		.amdhsa_system_sgpr_workgroup_info 0
		.amdhsa_system_vgpr_workitem_id 0
		.amdhsa_next_free_vgpr 28
		.amdhsa_next_free_sgpr 80
		.amdhsa_reserve_vcc 1
		.amdhsa_float_round_mode_32 0
		.amdhsa_float_round_mode_16_64 0
		.amdhsa_float_denorm_mode_32 3
		.amdhsa_float_denorm_mode_16_64 3
		.amdhsa_fp16_overflow 0
		.amdhsa_workgroup_processor_mode 1
		.amdhsa_memory_ordered 1
		.amdhsa_forward_progress 1
		.amdhsa_inst_pref_size 55
		.amdhsa_round_robin_scheduling 0
		.amdhsa_exception_fp_ieee_invalid_op 0
		.amdhsa_exception_fp_denorm_src 0
		.amdhsa_exception_fp_ieee_div_zero 0
		.amdhsa_exception_fp_ieee_overflow 0
		.amdhsa_exception_fp_ieee_underflow 0
		.amdhsa_exception_fp_ieee_inexact 0
		.amdhsa_exception_int_div_zero 0
	.end_amdhsa_kernel
	.section	.text._ZN2at6native16triu_tril_kernelIN3c108BFloat16ElLb1ELi4ELb0EEEvNS_4cuda6detail10TensorInfoIT_T0_EENS6_IKS7_S8_EEllS8_,"axG",@progbits,_ZN2at6native16triu_tril_kernelIN3c108BFloat16ElLb1ELi4ELb0EEEvNS_4cuda6detail10TensorInfoIT_T0_EENS6_IKS7_S8_EEllS8_,comdat
.Lfunc_end99:
	.size	_ZN2at6native16triu_tril_kernelIN3c108BFloat16ElLb1ELi4ELb0EEEvNS_4cuda6detail10TensorInfoIT_T0_EENS6_IKS7_S8_EEllS8_, .Lfunc_end99-_ZN2at6native16triu_tril_kernelIN3c108BFloat16ElLb1ELi4ELb0EEEvNS_4cuda6detail10TensorInfoIT_T0_EENS6_IKS7_S8_EEllS8_
                                        ; -- End function
	.set _ZN2at6native16triu_tril_kernelIN3c108BFloat16ElLb1ELi4ELb0EEEvNS_4cuda6detail10TensorInfoIT_T0_EENS6_IKS7_S8_EEllS8_.num_vgpr, 28
	.set _ZN2at6native16triu_tril_kernelIN3c108BFloat16ElLb1ELi4ELb0EEEvNS_4cuda6detail10TensorInfoIT_T0_EENS6_IKS7_S8_EEllS8_.num_agpr, 0
	.set _ZN2at6native16triu_tril_kernelIN3c108BFloat16ElLb1ELi4ELb0EEEvNS_4cuda6detail10TensorInfoIT_T0_EENS6_IKS7_S8_EEllS8_.numbered_sgpr, 80
	.set _ZN2at6native16triu_tril_kernelIN3c108BFloat16ElLb1ELi4ELb0EEEvNS_4cuda6detail10TensorInfoIT_T0_EENS6_IKS7_S8_EEllS8_.num_named_barrier, 0
	.set _ZN2at6native16triu_tril_kernelIN3c108BFloat16ElLb1ELi4ELb0EEEvNS_4cuda6detail10TensorInfoIT_T0_EENS6_IKS7_S8_EEllS8_.private_seg_size, 0
	.set _ZN2at6native16triu_tril_kernelIN3c108BFloat16ElLb1ELi4ELb0EEEvNS_4cuda6detail10TensorInfoIT_T0_EENS6_IKS7_S8_EEllS8_.uses_vcc, 1
	.set _ZN2at6native16triu_tril_kernelIN3c108BFloat16ElLb1ELi4ELb0EEEvNS_4cuda6detail10TensorInfoIT_T0_EENS6_IKS7_S8_EEllS8_.uses_flat_scratch, 0
	.set _ZN2at6native16triu_tril_kernelIN3c108BFloat16ElLb1ELi4ELb0EEEvNS_4cuda6detail10TensorInfoIT_T0_EENS6_IKS7_S8_EEllS8_.has_dyn_sized_stack, 0
	.set _ZN2at6native16triu_tril_kernelIN3c108BFloat16ElLb1ELi4ELb0EEEvNS_4cuda6detail10TensorInfoIT_T0_EENS6_IKS7_S8_EEllS8_.has_recursion, 0
	.set _ZN2at6native16triu_tril_kernelIN3c108BFloat16ElLb1ELi4ELb0EEEvNS_4cuda6detail10TensorInfoIT_T0_EENS6_IKS7_S8_EEllS8_.has_indirect_call, 0
	.section	.AMDGPU.csdata,"",@progbits
; Kernel info:
; codeLenInByte = 6932
; TotalNumSgprs: 82
; NumVgprs: 28
; ScratchSize: 0
; MemoryBound: 0
; FloatMode: 240
; IeeeMode: 1
; LDSByteSize: 0 bytes/workgroup (compile time only)
; SGPRBlocks: 0
; VGPRBlocks: 3
; NumSGPRsForWavesPerEU: 82
; NumVGPRsForWavesPerEU: 28
; Occupancy: 16
; WaveLimiterHint : 0
; COMPUTE_PGM_RSRC2:SCRATCH_EN: 0
; COMPUTE_PGM_RSRC2:USER_SGPR: 2
; COMPUTE_PGM_RSRC2:TRAP_HANDLER: 0
; COMPUTE_PGM_RSRC2:TGID_X_EN: 1
; COMPUTE_PGM_RSRC2:TGID_Y_EN: 0
; COMPUTE_PGM_RSRC2:TGID_Z_EN: 0
; COMPUTE_PGM_RSRC2:TIDIG_COMP_CNT: 0
	.section	.text._ZN2at6native16triu_tril_kernelIbiLb1ELi4ELb1EEEvNS_4cuda6detail10TensorInfoIT_T0_EENS4_IKS5_S6_EEllS6_,"axG",@progbits,_ZN2at6native16triu_tril_kernelIbiLb1ELi4ELb1EEEvNS_4cuda6detail10TensorInfoIT_T0_EENS4_IKS5_S6_EEllS6_,comdat
	.protected	_ZN2at6native16triu_tril_kernelIbiLb1ELi4ELb1EEEvNS_4cuda6detail10TensorInfoIT_T0_EENS4_IKS5_S6_EEllS6_ ; -- Begin function _ZN2at6native16triu_tril_kernelIbiLb1ELi4ELb1EEEvNS_4cuda6detail10TensorInfoIT_T0_EENS4_IKS5_S6_EEllS6_
	.globl	_ZN2at6native16triu_tril_kernelIbiLb1ELi4ELb1EEEvNS_4cuda6detail10TensorInfoIT_T0_EENS4_IKS5_S6_EEllS6_
	.p2align	8
	.type	_ZN2at6native16triu_tril_kernelIbiLb1ELi4ELb1EEEvNS_4cuda6detail10TensorInfoIT_T0_EENS4_IKS5_S6_EEllS6_,@function
_ZN2at6native16triu_tril_kernelIbiLb1ELi4ELb1EEEvNS_4cuda6detail10TensorInfoIT_T0_EENS4_IKS5_S6_EEllS6_: ; @_ZN2at6native16triu_tril_kernelIbiLb1ELi4ELb1EEEvNS_4cuda6detail10TensorInfoIT_T0_EENS4_IKS5_S6_EEllS6_
; %bb.0:
	s_clause 0x1
	s_load_b32 s2, s[0:1], 0x1d4
	s_load_b128 s[4:7], s[0:1], 0x1b0
	v_mov_b32_e32 v2, 0
	s_mov_b32 s3, exec_lo
	s_delay_alu instid0(VALU_DEP_1)
	v_mov_b32_e32 v1, v2
	s_wait_kmcnt 0x0
	s_and_b32 s2, s2, 0xffff
	s_delay_alu instid0(VALU_DEP_1) | instid1(SALU_CYCLE_1)
	v_mad_co_u64_u32 v[0:1], null, s2, ttmp9, v[0:1]
	s_delay_alu instid0(VALU_DEP_1) | instskip(NEXT) | instid1(VALU_DEP_1)
	v_lshlrev_b64_e32 v[0:1], 2, v[0:1]
	v_cmpx_gt_i64_e64 s[6:7], v[0:1]
	s_cbranch_execz .LBB100_66
; %bb.1:
	s_clause 0x1
	s_load_b32 s20, s[0:1], 0x1a8
	s_load_b32 s8, s[0:1], 0x1c0
	s_add_nc_u64 s[12:13], s[0:1], 0x1c8
	s_add_nc_u64 s[10:11], s[0:1], 0xd8
	s_load_b32 s3, s[12:13], 0x0
	s_mov_b32 s19, 0
	s_mov_b32 s57, 0
	s_wait_kmcnt 0x0
	s_ashr_i32 s21, s20, 31
	v_cvt_f32_u32_e32 v3, s8
	s_lshl_b64 s[22:23], s[20:21], 2
	s_add_co_i32 s9, s20, 6
	s_add_nc_u64 s[12:13], s[10:11], s[22:23]
	s_mul_i32 s3, s3, s2
	s_clause 0x1
	s_load_b32 s14, s[12:13], 0x0
	s_load_b64 s[16:17], s[0:1], 0x0
	v_rcp_iflag_f32_e32 v3, v3
	s_and_b32 s18, s20, 7
	s_add_co_i32 s33, s20, -3
	s_and_b32 s52, s9, 7
	s_lshl_b32 s53, s3, 2
	s_ashr_i32 s9, s8, 31
	v_cmp_gt_i64_e64 s56, s[20:21], 2
	s_add_nc_u64 s[20:21], s[0:1], s[22:23]
	s_wait_kmcnt 0x0
	v_cvt_f32_u32_e32 v4, s14
	s_ashr_i32 s15, s14, 31
	s_cmp_lg_u32 s18, 2
	s_cselect_b32 s54, -1, 0
	s_delay_alu instid0(VALU_DEP_1)
	v_rcp_iflag_f32_e32 v4, v4
	v_mul_f32_e32 v3, 0x4f7ffffe, v3
	s_cmp_gt_u32 s33, 6
	s_cselect_b32 s55, -1, 0
	s_sub_co_i32 s2, 0, s8
	s_wait_alu 0xfffe
	s_ashr_i32 s22, s9, 31
	s_ashr_i32 s24, s15, 31
	s_delay_alu instid0(TRANS32_DEP_1) | instskip(SKIP_1) | instid1(VALU_DEP_2)
	v_mul_f32_e32 v4, 0x4f7ffffe, v4
	v_cvt_u32_f32_e32 v3, v3
	v_cvt_u32_f32_e32 v24, v4
	s_delay_alu instid0(VALU_DEP_2) | instskip(NEXT) | instid1(VALU_DEP_1)
	v_mul_lo_u32 v5, s2, v3
	v_mul_hi_u32 v5, v3, v5
	s_delay_alu instid0(VALU_DEP_1)
	v_add_nc_u32_e32 v25, v3, v5
	s_branch .LBB100_3
.LBB100_2:                              ;   in Loop: Header=BB100_3 Depth=1
	s_wait_alu 0xfffe
	s_or_b32 exec_lo, exec_lo, s23
	v_add_co_u32 v0, vcc_lo, v0, s53
	s_wait_alu 0xfffd
	v_add_co_ci_u32_e64 v1, null, 0, v1, vcc_lo
	s_delay_alu instid0(VALU_DEP_1) | instskip(SKIP_1) | instid1(SALU_CYCLE_1)
	v_cmp_le_i64_e32 vcc_lo, s[6:7], v[0:1]
	s_or_b32 s57, vcc_lo, s57
	s_and_not1_b32 exec_lo, exec_lo, s57
	s_cbranch_execz .LBB100_66
.LBB100_3:                              ; =>This Loop Header: Depth=1
                                        ;     Child Loop BB100_16 Depth 2
                                        ;     Child Loop BB100_22 Depth 2
	v_or_b32_e32 v3, s9, v1
                                        ; implicit-def: $vgpr4_vgpr5
	s_mov_b32 s2, exec_lo
	s_delay_alu instid0(VALU_DEP_1)
	v_cmpx_ne_u64_e32 0, v[2:3]
	s_wait_alu 0xfffe
	s_xor_b32 s3, exec_lo, s2
	s_cbranch_execz .LBB100_5
; %bb.4:                                ;   in Loop: Header=BB100_3 Depth=1
	s_mov_b32 s23, s22
	v_ashrrev_i32_e32 v9, 31, v1
	s_wait_alu 0xfffe
	s_add_nc_u64 s[26:27], s[8:9], s[22:23]
	s_wait_alu 0xfffe
	s_xor_b64 s[26:27], s[26:27], s[22:23]
	v_add_co_u32 v3, vcc_lo, v0, v9
	s_wait_alu 0xfffe
	s_cvt_f32_u32 s2, s26
	s_cvt_f32_u32 s18, s27
	s_sub_nc_u64 s[30:31], 0, s[26:27]
	s_wait_alu 0xfffd
	v_add_co_ci_u32_e64 v4, null, v1, v9, vcc_lo
	s_wait_alu 0xfffe
	s_fmamk_f32 s2, s18, 0x4f800000, s2
	v_xor_b32_e32 v10, v3, v9
	s_delay_alu instid0(VALU_DEP_2) | instskip(SKIP_2) | instid1(TRANS32_DEP_1)
	v_xor_b32_e32 v11, v4, v9
	s_wait_alu 0xfffe
	v_s_rcp_f32 s2, s2
	s_mul_f32 s2, s2, 0x5f7ffffc
	s_wait_alu 0xfffe
	s_delay_alu instid0(SALU_CYCLE_2) | instskip(SKIP_1) | instid1(SALU_CYCLE_2)
	s_mul_f32 s18, s2, 0x2f800000
	s_wait_alu 0xfffe
	s_trunc_f32 s18, s18
	s_wait_alu 0xfffe
	s_delay_alu instid0(SALU_CYCLE_2) | instskip(SKIP_2) | instid1(SALU_CYCLE_1)
	s_fmamk_f32 s2, s18, 0xcf800000, s2
	s_cvt_u32_f32 s29, s18
	s_wait_alu 0xfffe
	s_cvt_u32_f32 s28, s2
	s_wait_alu 0xfffe
	s_delay_alu instid0(SALU_CYCLE_2)
	s_mul_u64 s[34:35], s[30:31], s[28:29]
	s_wait_alu 0xfffe
	s_mul_hi_u32 s37, s28, s35
	s_mul_i32 s36, s28, s35
	s_mul_hi_u32 s18, s28, s34
	s_mul_i32 s23, s29, s34
	s_wait_alu 0xfffe
	s_add_nc_u64 s[36:37], s[18:19], s[36:37]
	s_mul_hi_u32 s2, s29, s34
	s_mul_hi_u32 s25, s29, s35
	s_wait_alu 0xfffe
	s_add_co_u32 s18, s36, s23
	s_add_co_ci_u32 s18, s37, s2
	s_mul_i32 s34, s29, s35
	s_add_co_ci_u32 s35, s25, 0
	s_wait_alu 0xfffe
	s_add_nc_u64 s[34:35], s[18:19], s[34:35]
	s_wait_alu 0xfffe
	s_add_co_u32 s28, s28, s34
	s_cselect_b32 s2, -1, 0
	s_wait_alu 0xfffe
	s_cmp_lg_u32 s2, 0
	s_add_co_ci_u32 s29, s29, s35
	s_wait_alu 0xfffe
	s_mul_u64 s[30:31], s[30:31], s[28:29]
	s_wait_alu 0xfffe
	s_mul_hi_u32 s35, s28, s31
	s_mul_i32 s34, s28, s31
	s_mul_hi_u32 s18, s28, s30
	s_mul_i32 s23, s29, s30
	s_wait_alu 0xfffe
	s_add_nc_u64 s[34:35], s[18:19], s[34:35]
	s_mul_hi_u32 s2, s29, s30
	s_mul_hi_u32 s25, s29, s31
	s_wait_alu 0xfffe
	s_add_co_u32 s18, s34, s23
	s_add_co_ci_u32 s18, s35, s2
	s_mul_i32 s30, s29, s31
	s_add_co_ci_u32 s31, s25, 0
	s_wait_alu 0xfffe
	s_add_nc_u64 s[30:31], s[18:19], s[30:31]
	s_wait_alu 0xfffe
	s_add_co_u32 s2, s28, s30
	s_cselect_b32 s18, -1, 0
	s_wait_alu 0xfffe
	v_mul_hi_u32 v12, v10, s2
	s_cmp_lg_u32 s18, 0
	v_mad_co_u64_u32 v[5:6], null, v11, s2, 0
	s_add_co_ci_u32 s18, s29, s31
	s_wait_alu 0xfffe
	v_mad_co_u64_u32 v[3:4], null, v10, s18, 0
	v_mad_co_u64_u32 v[7:8], null, v11, s18, 0
	s_delay_alu instid0(VALU_DEP_2) | instskip(SKIP_1) | instid1(VALU_DEP_3)
	v_add_co_u32 v3, vcc_lo, v12, v3
	s_wait_alu 0xfffd
	v_add_co_ci_u32_e64 v4, null, 0, v4, vcc_lo
	s_delay_alu instid0(VALU_DEP_2) | instskip(SKIP_1) | instid1(VALU_DEP_2)
	v_add_co_u32 v3, vcc_lo, v3, v5
	s_wait_alu 0xfffd
	v_add_co_ci_u32_e32 v3, vcc_lo, v4, v6, vcc_lo
	s_wait_alu 0xfffd
	v_add_co_ci_u32_e32 v4, vcc_lo, 0, v8, vcc_lo
	s_delay_alu instid0(VALU_DEP_2) | instskip(SKIP_1) | instid1(VALU_DEP_2)
	v_add_co_u32 v5, vcc_lo, v3, v7
	s_wait_alu 0xfffd
	v_add_co_ci_u32_e64 v6, null, 0, v4, vcc_lo
	s_delay_alu instid0(VALU_DEP_2) | instskip(SKIP_1) | instid1(VALU_DEP_3)
	v_mul_lo_u32 v7, s27, v5
	v_mad_co_u64_u32 v[3:4], null, s26, v5, 0
	v_mul_lo_u32 v8, s26, v6
	s_delay_alu instid0(VALU_DEP_2) | instskip(NEXT) | instid1(VALU_DEP_2)
	v_sub_co_u32 v3, vcc_lo, v10, v3
	v_add3_u32 v4, v4, v8, v7
	v_add_co_u32 v8, s2, v5, 2
	s_wait_alu 0xf1ff
	v_add_co_ci_u32_e64 v10, null, 0, v6, s2
	s_delay_alu instid0(VALU_DEP_3) | instskip(SKIP_3) | instid1(VALU_DEP_3)
	v_sub_nc_u32_e32 v7, v11, v4
	v_sub_co_u32 v12, s2, v3, s26
	s_wait_alu 0xfffd
	v_sub_co_ci_u32_e64 v4, null, v11, v4, vcc_lo
	v_subrev_co_ci_u32_e64 v7, null, s27, v7, vcc_lo
	s_delay_alu instid0(VALU_DEP_3) | instskip(SKIP_1) | instid1(VALU_DEP_2)
	v_cmp_le_u32_e32 vcc_lo, s26, v12
	s_wait_alu 0xf1ff
	v_subrev_co_ci_u32_e64 v7, null, 0, v7, s2
	s_wait_alu 0xfffd
	v_cndmask_b32_e64 v11, 0, -1, vcc_lo
	s_delay_alu instid0(VALU_DEP_2)
	v_cmp_le_u32_e32 vcc_lo, s27, v7
	s_wait_alu 0xfffd
	v_cndmask_b32_e64 v12, 0, -1, vcc_lo
	v_cmp_le_u32_e32 vcc_lo, s26, v3
	s_wait_alu 0xfffd
	v_cndmask_b32_e64 v3, 0, -1, vcc_lo
	;; [unrolled: 3-line block ×3, first 2 shown]
	v_cmp_eq_u32_e32 vcc_lo, s27, v7
	s_wait_alu 0xfffd
	v_cndmask_b32_e32 v7, v12, v11, vcc_lo
	v_add_co_u32 v11, vcc_lo, v5, 1
	s_wait_alu 0xfffd
	v_add_co_ci_u32_e64 v12, null, 0, v6, vcc_lo
	v_cmp_eq_u32_e32 vcc_lo, s27, v4
	s_wait_alu 0xfffd
	v_cndmask_b32_e32 v3, v13, v3, vcc_lo
	v_cmp_ne_u32_e32 vcc_lo, 0, v7
	v_xor_b32_e32 v7, s22, v9
	s_wait_alu 0xfffd
	v_cndmask_b32_e32 v4, v12, v10, vcc_lo
	v_cmp_ne_u32_e64 s2, 0, v3
	v_cndmask_b32_e32 v3, v11, v8, vcc_lo
	s_wait_alu 0xf1ff
	s_delay_alu instid0(VALU_DEP_2) | instskip(NEXT) | instid1(VALU_DEP_2)
	v_cndmask_b32_e64 v4, v6, v4, s2
	v_cndmask_b32_e64 v3, v5, v3, s2
	s_delay_alu instid0(VALU_DEP_2) | instskip(NEXT) | instid1(VALU_DEP_2)
	v_xor_b32_e32 v5, v4, v7
	v_xor_b32_e32 v3, v3, v7
	s_delay_alu instid0(VALU_DEP_1) | instskip(SKIP_1) | instid1(VALU_DEP_3)
	v_sub_co_u32 v4, vcc_lo, v3, v7
	s_wait_alu 0xfffd
	v_sub_co_ci_u32_e64 v5, null, v5, v7, vcc_lo
.LBB100_5:                              ;   in Loop: Header=BB100_3 Depth=1
	s_wait_alu 0xfffe
	s_and_not1_saveexec_b32 s2, s3
	s_cbranch_execz .LBB100_7
; %bb.6:                                ;   in Loop: Header=BB100_3 Depth=1
	v_mul_hi_u32 v3, v0, v25
	s_delay_alu instid0(VALU_DEP_1) | instskip(NEXT) | instid1(VALU_DEP_1)
	v_mul_lo_u32 v4, v3, s8
	v_sub_nc_u32_e32 v4, v0, v4
	s_delay_alu instid0(VALU_DEP_1) | instskip(SKIP_2) | instid1(VALU_DEP_2)
	v_subrev_nc_u32_e32 v6, s8, v4
	v_cmp_le_u32_e32 vcc_lo, s8, v4
	s_wait_alu 0xfffd
	v_dual_cndmask_b32 v4, v4, v6 :: v_dual_add_nc_u32 v5, 1, v3
	s_delay_alu instid0(VALU_DEP_1) | instskip(NEXT) | instid1(VALU_DEP_2)
	v_cndmask_b32_e32 v3, v3, v5, vcc_lo
	v_cmp_le_u32_e32 vcc_lo, s8, v4
	s_delay_alu instid0(VALU_DEP_2) | instskip(SKIP_1) | instid1(VALU_DEP_1)
	v_add_nc_u32_e32 v5, 1, v3
	s_wait_alu 0xfffd
	v_dual_cndmask_b32 v4, v3, v5 :: v_dual_mov_b32 v5, v2
.LBB100_7:                              ;   in Loop: Header=BB100_3 Depth=1
	s_wait_alu 0xfffe
	s_or_b32 exec_lo, exec_lo, s2
	s_delay_alu instid0(VALU_DEP_1) | instskip(SKIP_1) | instid1(VALU_DEP_1)
	v_or_b32_e32 v3, s15, v5
                                        ; implicit-def: $vgpr6_vgpr7
	s_mov_b32 s2, exec_lo
	v_cmpx_ne_u64_e32 0, v[2:3]
	s_wait_alu 0xfffe
	s_xor_b32 s3, exec_lo, s2
	s_cbranch_execz .LBB100_9
; %bb.8:                                ;   in Loop: Header=BB100_3 Depth=1
	s_mov_b32 s25, s24
	v_ashrrev_i32_e32 v3, 31, v5
	s_wait_alu 0xfffe
	s_add_nc_u64 s[26:27], s[14:15], s[24:25]
	s_wait_alu 0xfffe
	s_xor_b64 s[26:27], s[26:27], s[24:25]
	v_add_co_u32 v6, vcc_lo, v4, v3
	s_wait_alu 0xfffe
	s_cvt_f32_u32 s2, s26
	s_cvt_f32_u32 s18, s27
	s_sub_nc_u64 s[30:31], 0, s[26:27]
	s_wait_alu 0xfffd
	v_add_co_ci_u32_e64 v5, null, v5, v3, vcc_lo
	s_wait_alu 0xfffe
	s_fmamk_f32 s2, s18, 0x4f800000, s2
	v_xor_b32_e32 v11, v6, v3
	s_delay_alu instid0(VALU_DEP_2) | instskip(SKIP_3) | instid1(TRANS32_DEP_1)
	v_xor_b32_e32 v12, v5, v3
	s_wait_alu 0xfffe
	v_s_rcp_f32 s2, s2
	v_xor_b32_e32 v3, s24, v3
	s_mul_f32 s2, s2, 0x5f7ffffc
	s_wait_alu 0xfffe
	s_delay_alu instid0(SALU_CYCLE_2) | instskip(SKIP_1) | instid1(SALU_CYCLE_2)
	s_mul_f32 s18, s2, 0x2f800000
	s_wait_alu 0xfffe
	s_trunc_f32 s18, s18
	s_wait_alu 0xfffe
	s_delay_alu instid0(SALU_CYCLE_2) | instskip(SKIP_2) | instid1(SALU_CYCLE_1)
	s_fmamk_f32 s2, s18, 0xcf800000, s2
	s_cvt_u32_f32 s29, s18
	s_wait_alu 0xfffe
	s_cvt_u32_f32 s28, s2
	s_wait_alu 0xfffe
	s_delay_alu instid0(SALU_CYCLE_2)
	s_mul_u64 s[34:35], s[30:31], s[28:29]
	s_wait_alu 0xfffe
	s_mul_hi_u32 s37, s28, s35
	s_mul_i32 s36, s28, s35
	s_mul_hi_u32 s18, s28, s34
	s_mul_i32 s23, s29, s34
	s_wait_alu 0xfffe
	s_add_nc_u64 s[36:37], s[18:19], s[36:37]
	s_mul_hi_u32 s2, s29, s34
	s_mul_hi_u32 s25, s29, s35
	s_wait_alu 0xfffe
	s_add_co_u32 s18, s36, s23
	s_add_co_ci_u32 s18, s37, s2
	s_mul_i32 s34, s29, s35
	s_add_co_ci_u32 s35, s25, 0
	s_wait_alu 0xfffe
	s_add_nc_u64 s[34:35], s[18:19], s[34:35]
	s_wait_alu 0xfffe
	s_add_co_u32 s28, s28, s34
	s_cselect_b32 s2, -1, 0
	s_wait_alu 0xfffe
	s_cmp_lg_u32 s2, 0
	s_add_co_ci_u32 s29, s29, s35
	s_wait_alu 0xfffe
	s_mul_u64 s[30:31], s[30:31], s[28:29]
	s_wait_alu 0xfffe
	s_mul_hi_u32 s35, s28, s31
	s_mul_i32 s34, s28, s31
	s_mul_hi_u32 s18, s28, s30
	s_mul_i32 s23, s29, s30
	s_wait_alu 0xfffe
	s_add_nc_u64 s[34:35], s[18:19], s[34:35]
	s_mul_hi_u32 s2, s29, s30
	s_mul_hi_u32 s25, s29, s31
	s_wait_alu 0xfffe
	s_add_co_u32 s18, s34, s23
	s_add_co_ci_u32 s18, s35, s2
	s_mul_i32 s30, s29, s31
	s_add_co_ci_u32 s31, s25, 0
	s_wait_alu 0xfffe
	s_add_nc_u64 s[30:31], s[18:19], s[30:31]
	s_wait_alu 0xfffe
	s_add_co_u32 s2, s28, s30
	s_cselect_b32 s18, -1, 0
	s_wait_alu 0xfffe
	v_mul_hi_u32 v13, v11, s2
	s_cmp_lg_u32 s18, 0
	v_mad_co_u64_u32 v[7:8], null, v12, s2, 0
	s_add_co_ci_u32 s18, s29, s31
	s_wait_alu 0xfffe
	v_mad_co_u64_u32 v[5:6], null, v11, s18, 0
	v_mad_co_u64_u32 v[9:10], null, v12, s18, 0
	s_delay_alu instid0(VALU_DEP_2) | instskip(SKIP_1) | instid1(VALU_DEP_3)
	v_add_co_u32 v5, vcc_lo, v13, v5
	s_wait_alu 0xfffd
	v_add_co_ci_u32_e64 v6, null, 0, v6, vcc_lo
	s_delay_alu instid0(VALU_DEP_2) | instskip(SKIP_1) | instid1(VALU_DEP_2)
	v_add_co_u32 v5, vcc_lo, v5, v7
	s_wait_alu 0xfffd
	v_add_co_ci_u32_e32 v5, vcc_lo, v6, v8, vcc_lo
	s_wait_alu 0xfffd
	v_add_co_ci_u32_e32 v6, vcc_lo, 0, v10, vcc_lo
	s_delay_alu instid0(VALU_DEP_2) | instskip(SKIP_1) | instid1(VALU_DEP_2)
	v_add_co_u32 v7, vcc_lo, v5, v9
	s_wait_alu 0xfffd
	v_add_co_ci_u32_e64 v8, null, 0, v6, vcc_lo
	s_delay_alu instid0(VALU_DEP_2) | instskip(SKIP_1) | instid1(VALU_DEP_3)
	v_mul_lo_u32 v9, s27, v7
	v_mad_co_u64_u32 v[5:6], null, s26, v7, 0
	v_mul_lo_u32 v10, s26, v8
	s_delay_alu instid0(VALU_DEP_2) | instskip(NEXT) | instid1(VALU_DEP_2)
	v_sub_co_u32 v5, vcc_lo, v11, v5
	v_add3_u32 v6, v6, v10, v9
	v_add_co_u32 v10, s2, v7, 2
	s_wait_alu 0xf1ff
	v_add_co_ci_u32_e64 v11, null, 0, v8, s2
	s_delay_alu instid0(VALU_DEP_3) | instskip(SKIP_3) | instid1(VALU_DEP_3)
	v_sub_nc_u32_e32 v9, v12, v6
	v_sub_co_u32 v13, s2, v5, s26
	s_wait_alu 0xfffd
	v_sub_co_ci_u32_e64 v6, null, v12, v6, vcc_lo
	v_subrev_co_ci_u32_e64 v9, null, s27, v9, vcc_lo
	s_delay_alu instid0(VALU_DEP_3) | instskip(SKIP_1) | instid1(VALU_DEP_2)
	v_cmp_le_u32_e32 vcc_lo, s26, v13
	s_wait_alu 0xf1ff
	v_subrev_co_ci_u32_e64 v9, null, 0, v9, s2
	s_wait_alu 0xfffd
	v_cndmask_b32_e64 v12, 0, -1, vcc_lo
	s_delay_alu instid0(VALU_DEP_2)
	v_cmp_le_u32_e32 vcc_lo, s27, v9
	s_wait_alu 0xfffd
	v_cndmask_b32_e64 v13, 0, -1, vcc_lo
	v_cmp_le_u32_e32 vcc_lo, s26, v5
	s_wait_alu 0xfffd
	v_cndmask_b32_e64 v5, 0, -1, vcc_lo
	;; [unrolled: 3-line block ×3, first 2 shown]
	v_cmp_eq_u32_e32 vcc_lo, s27, v9
	s_wait_alu 0xfffd
	v_cndmask_b32_e32 v9, v13, v12, vcc_lo
	v_add_co_u32 v12, vcc_lo, v7, 1
	s_wait_alu 0xfffd
	v_add_co_ci_u32_e64 v13, null, 0, v8, vcc_lo
	v_cmp_eq_u32_e32 vcc_lo, s27, v6
	s_wait_alu 0xfffd
	v_cndmask_b32_e32 v5, v14, v5, vcc_lo
	v_cmp_ne_u32_e32 vcc_lo, 0, v9
	s_wait_alu 0xfffd
	v_cndmask_b32_e32 v6, v13, v11, vcc_lo
	s_delay_alu instid0(VALU_DEP_3) | instskip(SKIP_2) | instid1(VALU_DEP_2)
	v_cmp_ne_u32_e64 s2, 0, v5
	v_cndmask_b32_e32 v5, v12, v10, vcc_lo
	s_wait_alu 0xf1ff
	v_cndmask_b32_e64 v6, v8, v6, s2
	s_delay_alu instid0(VALU_DEP_2) | instskip(NEXT) | instid1(VALU_DEP_2)
	v_cndmask_b32_e64 v5, v7, v5, s2
	v_xor_b32_e32 v7, v6, v3
	s_delay_alu instid0(VALU_DEP_2) | instskip(NEXT) | instid1(VALU_DEP_1)
	v_xor_b32_e32 v5, v5, v3
	v_sub_co_u32 v6, vcc_lo, v5, v3
	s_wait_alu 0xfffd
	s_delay_alu instid0(VALU_DEP_3)
	v_sub_co_ci_u32_e64 v7, null, v7, v3, vcc_lo
.LBB100_9:                              ;   in Loop: Header=BB100_3 Depth=1
	s_wait_alu 0xfffe
	s_and_not1_saveexec_b32 s2, s3
	s_cbranch_execz .LBB100_11
; %bb.10:                               ;   in Loop: Header=BB100_3 Depth=1
	s_sub_co_i32 s3, 0, s14
	s_wait_alu 0xfffe
	v_mul_lo_u32 v3, s3, v24
	s_delay_alu instid0(VALU_DEP_1) | instskip(NEXT) | instid1(VALU_DEP_1)
	v_mul_hi_u32 v3, v24, v3
	v_add_nc_u32_e32 v3, v24, v3
	s_delay_alu instid0(VALU_DEP_1) | instskip(NEXT) | instid1(VALU_DEP_1)
	v_mul_hi_u32 v3, v4, v3
	v_mul_lo_u32 v5, v3, s14
	v_add_nc_u32_e32 v6, 1, v3
	s_delay_alu instid0(VALU_DEP_2) | instskip(NEXT) | instid1(VALU_DEP_1)
	v_sub_nc_u32_e32 v5, v4, v5
	v_subrev_nc_u32_e32 v7, s14, v5
	v_cmp_le_u32_e32 vcc_lo, s14, v5
	s_wait_alu 0xfffd
	s_delay_alu instid0(VALU_DEP_2) | instskip(SKIP_2) | instid1(VALU_DEP_3)
	v_cndmask_b32_e32 v5, v5, v7, vcc_lo
	v_mov_b32_e32 v7, v2
	v_cndmask_b32_e32 v3, v3, v6, vcc_lo
	v_cmp_le_u32_e32 vcc_lo, s14, v5
	s_delay_alu instid0(VALU_DEP_2) | instskip(SKIP_1) | instid1(VALU_DEP_1)
	v_add_nc_u32_e32 v6, 1, v3
	s_wait_alu 0xfffd
	v_cndmask_b32_e32 v6, v3, v6, vcc_lo
.LBB100_11:                             ;   in Loop: Header=BB100_3 Depth=1
	s_wait_alu 0xfffe
	s_or_b32 exec_lo, exec_lo, s2
	v_mad_co_u64_u32 v[8:9], null, v4, s8, 0
	s_delay_alu instid0(VALU_DEP_2) | instskip(SKIP_3) | instid1(VALU_DEP_1)
	v_mad_co_u64_u32 v[9:10], null, v6, s14, 0
	s_mov_b32 s23, exec_lo
	v_sub_co_u32 v27, null, v0, v8
	v_sub_co_u32 v26, null, v4, v9
	v_sub_nc_u32_e32 v3, v27, v26
	s_delay_alu instid0(VALU_DEP_1) | instskip(NEXT) | instid1(VALU_DEP_1)
	v_ashrrev_i32_e32 v4, 31, v3
	v_cmpx_gt_i64_e64 s[4:5], v[3:4]
	s_cbranch_execz .LBB100_2
; %bb.12:                               ;   in Loop: Header=BB100_3 Depth=1
	s_load_b64 s[2:3], s[20:21], 0x64
	s_and_not1_b32 vcc_lo, exec_lo, s56
	s_wait_kmcnt 0x0
	v_mul_lo_u32 v3, s3, v27
	s_delay_alu instid0(VALU_DEP_1)
	v_mad_co_u64_u32 v[4:5], null, s2, v26, v[3:4]
	s_wait_alu 0xfffe
	s_cbranch_vccnz .LBB100_56
; %bb.13:                               ;   in Loop: Header=BB100_3 Depth=1
	s_mov_b32 s25, s52
	s_and_not1_b32 vcc_lo, exec_lo, s54
	s_mov_b32 s18, s33
	s_mov_b32 s2, s33
	s_wait_alu 0xfffe
	s_cbranch_vccz .LBB100_16
; %bb.14:                               ;   in Loop: Header=BB100_3 Depth=1
	s_and_not1_b32 vcc_lo, exec_lo, s55
	s_wait_alu 0xfffe
	s_cbranch_vccz .LBB100_21
	s_branch .LBB100_56
.LBB100_15:                             ;   in Loop: Header=BB100_16 Depth=2
	s_wait_alu 0xfffe
	s_or_b32 exec_lo, exec_lo, s2
	s_add_nc_u64 s[26:27], s[0:1], s[26:27]
	v_mul_lo_u32 v3, v8, s28
	s_load_b32 s2, s[26:27], 0x6c
	s_add_co_i32 s25, s25, -1
	s_add_co_i32 s18, s18, -1
	s_wait_alu 0xfffe
	s_cmp_lg_u32 s25, 0
	s_delay_alu instid0(VALU_DEP_1) | instskip(SKIP_2) | instid1(VALU_DEP_2)
	v_sub_nc_u32_e32 v3, v6, v3
	v_dual_mov_b32 v6, v8 :: v_dual_mov_b32 v7, v9
	s_wait_kmcnt 0x0
	v_mad_co_u64_u32 v[4:5], null, s2, v3, v[4:5]
	s_cbranch_scc0 .LBB100_20
.LBB100_16:                             ;   Parent Loop BB100_3 Depth=1
                                        ; =>  This Inner Loop Header: Depth=2
	s_lshl_b64 s[26:27], s[18:19], 2
                                        ; implicit-def: $vgpr8_vgpr9
	s_mov_b32 s2, exec_lo
	s_wait_alu 0xfffe
	s_add_nc_u64 s[28:29], s[10:11], s[26:27]
	s_load_b32 s28, s[28:29], 0x8
	s_wait_kmcnt 0x0
	s_ashr_i32 s29, s28, 31
	s_wait_alu 0xfffe
	v_or_b32_e32 v3, s29, v7
	s_delay_alu instid0(VALU_DEP_1)
	v_cmpx_ne_u64_e32 0, v[2:3]
	s_xor_b32 s36, exec_lo, s2
	s_cbranch_execz .LBB100_18
; %bb.17:                               ;   in Loop: Header=BB100_16 Depth=2
	s_ashr_i32 s30, s29, 31
	s_mov_b32 s43, s19
	s_wait_alu 0xfffe
	s_mov_b32 s31, s30
	s_mov_b32 s47, s19
	s_wait_alu 0xfffe
	s_add_nc_u64 s[34:35], s[28:29], s[30:31]
	v_ashrrev_i32_e32 v3, 31, v7
	s_wait_alu 0xfffe
	s_xor_b64 s[34:35], s[34:35], s[30:31]
	s_wait_alu 0xfffe
	s_cvt_f32_u32 s2, s34
	s_cvt_f32_u32 s29, s35
	s_sub_nc_u64 s[40:41], 0, s[34:35]
	v_add_co_u32 v5, vcc_lo, v6, v3
	s_wait_alu 0xfffe
	s_fmamk_f32 s2, s29, 0x4f800000, s2
	s_wait_alu 0xfffd
	v_add_co_ci_u32_e64 v7, null, v7, v3, vcc_lo
	v_xor_b32_e32 v5, v5, v3
	s_wait_alu 0xfffe
	v_s_rcp_f32 s2, s2
	s_delay_alu instid0(VALU_DEP_2) | instskip(SKIP_1) | instid1(TRANS32_DEP_1)
	v_xor_b32_e32 v13, v7, v3
	v_xor_b32_e32 v3, s30, v3
	s_mul_f32 s2, s2, 0x5f7ffffc
	s_wait_alu 0xfffe
	s_delay_alu instid0(SALU_CYCLE_2) | instskip(SKIP_1) | instid1(SALU_CYCLE_2)
	s_mul_f32 s29, s2, 0x2f800000
	s_wait_alu 0xfffe
	s_trunc_f32 s29, s29
	s_wait_alu 0xfffe
	s_delay_alu instid0(SALU_CYCLE_2) | instskip(SKIP_2) | instid1(SALU_CYCLE_1)
	s_fmamk_f32 s2, s29, 0xcf800000, s2
	s_cvt_u32_f32 s39, s29
	s_wait_alu 0xfffe
	s_cvt_u32_f32 s38, s2
	s_wait_alu 0xfffe
	s_delay_alu instid0(SALU_CYCLE_2)
	s_mul_u64 s[44:45], s[40:41], s[38:39]
	s_wait_alu 0xfffe
	s_mul_hi_u32 s49, s38, s45
	s_mul_i32 s48, s38, s45
	s_mul_hi_u32 s42, s38, s44
	s_mul_i32 s29, s39, s44
	s_wait_alu 0xfffe
	s_add_nc_u64 s[42:43], s[42:43], s[48:49]
	s_mul_hi_u32 s2, s39, s44
	s_mul_hi_u32 s31, s39, s45
	s_wait_alu 0xfffe
	s_add_co_u32 s29, s42, s29
	s_add_co_ci_u32 s46, s43, s2
	s_mul_i32 s44, s39, s45
	s_add_co_ci_u32 s45, s31, 0
	s_wait_alu 0xfffe
	s_add_nc_u64 s[42:43], s[46:47], s[44:45]
	s_mov_b32 s45, s19
	s_wait_alu 0xfffe
	s_add_co_u32 s38, s38, s42
	s_cselect_b32 s2, -1, 0
	s_wait_alu 0xfffe
	s_cmp_lg_u32 s2, 0
	s_add_co_ci_u32 s39, s39, s43
	s_mov_b32 s43, s19
	s_wait_alu 0xfffe
	s_mul_u64 s[40:41], s[40:41], s[38:39]
	s_wait_alu 0xfffe
	s_mul_hi_u32 s47, s38, s41
	s_mul_i32 s46, s38, s41
	s_mul_hi_u32 s44, s38, s40
	s_mul_i32 s29, s39, s40
	s_wait_alu 0xfffe
	s_add_nc_u64 s[44:45], s[44:45], s[46:47]
	s_mul_hi_u32 s2, s39, s40
	s_mul_hi_u32 s31, s39, s41
	s_wait_alu 0xfffe
	s_add_co_u32 s29, s44, s29
	s_add_co_ci_u32 s42, s45, s2
	s_mul_i32 s40, s39, s41
	s_add_co_ci_u32 s41, s31, 0
	s_wait_alu 0xfffe
	s_add_nc_u64 s[40:41], s[42:43], s[40:41]
	s_wait_alu 0xfffe
	s_add_co_u32 s2, s38, s40
	s_cselect_b32 s29, -1, 0
	s_wait_alu 0xfffe
	v_mul_hi_u32 v14, v5, s2
	s_cmp_lg_u32 s29, 0
	v_mad_co_u64_u32 v[9:10], null, v13, s2, 0
	s_add_co_ci_u32 s29, s39, s41
	s_wait_alu 0xfffe
	v_mad_co_u64_u32 v[7:8], null, v5, s29, 0
	v_mad_co_u64_u32 v[11:12], null, v13, s29, 0
	s_delay_alu instid0(VALU_DEP_2) | instskip(SKIP_1) | instid1(VALU_DEP_3)
	v_add_co_u32 v7, vcc_lo, v14, v7
	s_wait_alu 0xfffd
	v_add_co_ci_u32_e64 v8, null, 0, v8, vcc_lo
	s_delay_alu instid0(VALU_DEP_2) | instskip(SKIP_1) | instid1(VALU_DEP_2)
	v_add_co_u32 v7, vcc_lo, v7, v9
	s_wait_alu 0xfffd
	v_add_co_ci_u32_e32 v7, vcc_lo, v8, v10, vcc_lo
	s_wait_alu 0xfffd
	v_add_co_ci_u32_e32 v8, vcc_lo, 0, v12, vcc_lo
	s_delay_alu instid0(VALU_DEP_2) | instskip(SKIP_1) | instid1(VALU_DEP_2)
	v_add_co_u32 v9, vcc_lo, v7, v11
	s_wait_alu 0xfffd
	v_add_co_ci_u32_e64 v10, null, 0, v8, vcc_lo
	s_delay_alu instid0(VALU_DEP_2) | instskip(SKIP_1) | instid1(VALU_DEP_3)
	v_mul_lo_u32 v11, s35, v9
	v_mad_co_u64_u32 v[7:8], null, s34, v9, 0
	v_mul_lo_u32 v12, s34, v10
	s_delay_alu instid0(VALU_DEP_2) | instskip(NEXT) | instid1(VALU_DEP_2)
	v_sub_co_u32 v5, vcc_lo, v5, v7
	v_add3_u32 v8, v8, v12, v11
	s_delay_alu instid0(VALU_DEP_1) | instskip(SKIP_2) | instid1(VALU_DEP_2)
	v_sub_nc_u32_e32 v11, v13, v8
	s_wait_alu 0xfffd
	v_sub_co_ci_u32_e64 v8, null, v13, v8, vcc_lo
	v_subrev_co_ci_u32_e64 v7, null, s35, v11, vcc_lo
	v_add_co_u32 v11, s2, v9, 2
	s_wait_alu 0xf1ff
	v_add_co_ci_u32_e64 v12, null, 0, v10, s2
	v_sub_co_u32 v14, s2, v5, s34
	s_wait_alu 0xf1ff
	v_subrev_co_ci_u32_e64 v7, null, 0, v7, s2
	s_delay_alu instid0(VALU_DEP_2) | instskip(SKIP_2) | instid1(VALU_DEP_3)
	v_cmp_le_u32_e32 vcc_lo, s34, v14
	s_wait_alu 0xfffd
	v_cndmask_b32_e64 v13, 0, -1, vcc_lo
	v_cmp_le_u32_e32 vcc_lo, s35, v7
	s_wait_alu 0xfffd
	v_cndmask_b32_e64 v14, 0, -1, vcc_lo
	;; [unrolled: 3-line block ×4, first 2 shown]
	v_cmp_eq_u32_e32 vcc_lo, s35, v7
	s_wait_alu 0xfffd
	v_cndmask_b32_e32 v7, v14, v13, vcc_lo
	v_add_co_u32 v13, vcc_lo, v9, 1
	s_wait_alu 0xfffd
	v_add_co_ci_u32_e64 v14, null, 0, v10, vcc_lo
	v_cmp_eq_u32_e32 vcc_lo, s35, v8
	s_wait_alu 0xfffd
	v_cndmask_b32_e32 v5, v15, v5, vcc_lo
	v_cmp_ne_u32_e32 vcc_lo, 0, v7
	s_delay_alu instid0(VALU_DEP_2) | instskip(SKIP_4) | instid1(VALU_DEP_2)
	v_cmp_ne_u32_e64 s2, 0, v5
	s_wait_alu 0xfffd
	v_cndmask_b32_e32 v5, v13, v11, vcc_lo
	v_cndmask_b32_e32 v7, v14, v12, vcc_lo
	s_wait_alu 0xf1ff
	v_cndmask_b32_e64 v5, v9, v5, s2
	s_delay_alu instid0(VALU_DEP_2) | instskip(NEXT) | instid1(VALU_DEP_2)
	v_cndmask_b32_e64 v7, v10, v7, s2
	v_xor_b32_e32 v5, v5, v3
	s_delay_alu instid0(VALU_DEP_2) | instskip(NEXT) | instid1(VALU_DEP_2)
	v_xor_b32_e32 v7, v7, v3
	v_sub_co_u32 v8, vcc_lo, v5, v3
	s_wait_alu 0xfffd
	s_delay_alu instid0(VALU_DEP_2)
	v_sub_co_ci_u32_e64 v9, null, v7, v3, vcc_lo
.LBB100_18:                             ;   in Loop: Header=BB100_16 Depth=2
	s_wait_alu 0xfffe
	s_and_not1_saveexec_b32 s2, s36
	s_cbranch_execz .LBB100_15
; %bb.19:                               ;   in Loop: Header=BB100_16 Depth=2
	v_cvt_f32_u32_e32 v3, s28
	s_sub_co_i32 s29, 0, s28
	v_mov_b32_e32 v9, v2
	s_delay_alu instid0(VALU_DEP_2) | instskip(NEXT) | instid1(TRANS32_DEP_1)
	v_rcp_iflag_f32_e32 v3, v3
	v_mul_f32_e32 v3, 0x4f7ffffe, v3
	s_delay_alu instid0(VALU_DEP_1) | instskip(SKIP_1) | instid1(VALU_DEP_1)
	v_cvt_u32_f32_e32 v3, v3
	s_wait_alu 0xfffe
	v_mul_lo_u32 v5, s29, v3
	s_delay_alu instid0(VALU_DEP_1) | instskip(NEXT) | instid1(VALU_DEP_1)
	v_mul_hi_u32 v5, v3, v5
	v_add_nc_u32_e32 v3, v3, v5
	s_delay_alu instid0(VALU_DEP_1) | instskip(NEXT) | instid1(VALU_DEP_1)
	v_mul_hi_u32 v3, v6, v3
	v_mul_lo_u32 v5, v3, s28
	v_add_nc_u32_e32 v7, 1, v3
	s_delay_alu instid0(VALU_DEP_2) | instskip(NEXT) | instid1(VALU_DEP_1)
	v_sub_nc_u32_e32 v5, v6, v5
	v_cmp_le_u32_e32 vcc_lo, s28, v5
	v_subrev_nc_u32_e32 v8, s28, v5
	s_wait_alu 0xfffd
	v_cndmask_b32_e32 v3, v3, v7, vcc_lo
	s_delay_alu instid0(VALU_DEP_1) | instskip(NEXT) | instid1(VALU_DEP_3)
	v_add_nc_u32_e32 v7, 1, v3
	v_cndmask_b32_e32 v5, v5, v8, vcc_lo
	s_delay_alu instid0(VALU_DEP_1) | instskip(SKIP_1) | instid1(VALU_DEP_3)
	v_cmp_le_u32_e32 vcc_lo, s28, v5
	s_wait_alu 0xfffd
	v_cndmask_b32_e32 v8, v3, v7, vcc_lo
	s_branch .LBB100_15
.LBB100_20:                             ;   in Loop: Header=BB100_3 Depth=1
	s_mov_b32 s2, s18
	s_and_not1_b32 vcc_lo, exec_lo, s55
	s_wait_alu 0xfffe
	s_cbranch_vccnz .LBB100_56
.LBB100_21:                             ;   in Loop: Header=BB100_3 Depth=1
	s_add_co_i32 s26, s2, -7
.LBB100_22:                             ;   Parent Loop BB100_3 Depth=1
                                        ; =>  This Inner Loop Header: Depth=2
	s_wait_alu 0xfffe
	s_add_co_i32 s18, s26, 7
                                        ; implicit-def: $vgpr8_vgpr9
	s_mov_b32 s2, exec_lo
	s_wait_alu 0xfffe
	s_lshl_b64 s[34:35], s[18:19], 2
	s_wait_alu 0xfffe
	s_add_nc_u64 s[28:29], s[10:11], s[34:35]
	s_load_b32 s28, s[28:29], 0x8
	s_wait_kmcnt 0x0
	s_ashr_i32 s29, s28, 31
	s_wait_alu 0xfffe
	v_or_b32_e32 v3, s29, v7
	s_delay_alu instid0(VALU_DEP_1)
	v_cmpx_ne_u64_e32 0, v[2:3]
	s_xor_b32 s25, exec_lo, s2
	s_cbranch_execz .LBB100_24
; %bb.23:                               ;   in Loop: Header=BB100_22 Depth=2
	s_ashr_i32 s30, s29, 31
	v_ashrrev_i32_e32 v3, 31, v7
	s_wait_alu 0xfffe
	s_mov_b32 s31, s30
	s_wait_alu 0xfffe
	s_add_nc_u64 s[36:37], s[28:29], s[30:31]
	v_add_co_u32 v5, vcc_lo, v6, v3
	s_wait_alu 0xfffe
	s_xor_b64 s[36:37], s[36:37], s[30:31]
	s_wait_alu 0xfffd
	v_add_co_ci_u32_e64 v7, null, v7, v3, vcc_lo
	s_wait_alu 0xfffe
	s_cvt_f32_u32 s2, s36
	s_cvt_f32_u32 s18, s37
	s_sub_nc_u64 s[40:41], 0, s[36:37]
	v_xor_b32_e32 v5, v5, v3
	v_xor_b32_e32 v13, v7, v3
	s_wait_alu 0xfffe
	s_fmamk_f32 s2, s18, 0x4f800000, s2
	v_xor_b32_e32 v3, s30, v3
	s_wait_alu 0xfffe
	s_delay_alu instid0(SALU_CYCLE_1) | instskip(NEXT) | instid1(TRANS32_DEP_1)
	v_s_rcp_f32 s2, s2
	s_mul_f32 s2, s2, 0x5f7ffffc
	s_wait_alu 0xfffe
	s_delay_alu instid0(SALU_CYCLE_2) | instskip(SKIP_1) | instid1(SALU_CYCLE_2)
	s_mul_f32 s18, s2, 0x2f800000
	s_wait_alu 0xfffe
	s_trunc_f32 s18, s18
	s_wait_alu 0xfffe
	s_delay_alu instid0(SALU_CYCLE_2) | instskip(SKIP_2) | instid1(SALU_CYCLE_1)
	s_fmamk_f32 s2, s18, 0xcf800000, s2
	s_cvt_u32_f32 s39, s18
	s_wait_alu 0xfffe
	s_cvt_u32_f32 s38, s2
	s_wait_alu 0xfffe
	s_delay_alu instid0(SALU_CYCLE_2)
	s_mul_u64 s[42:43], s[40:41], s[38:39]
	s_wait_alu 0xfffe
	s_mul_hi_u32 s45, s38, s43
	s_mul_i32 s44, s38, s43
	s_mul_hi_u32 s18, s38, s42
	s_mul_i32 s27, s39, s42
	s_wait_alu 0xfffe
	s_add_nc_u64 s[44:45], s[18:19], s[44:45]
	s_mul_hi_u32 s2, s39, s42
	s_mul_hi_u32 s29, s39, s43
	s_wait_alu 0xfffe
	s_add_co_u32 s18, s44, s27
	s_add_co_ci_u32 s18, s45, s2
	s_mul_i32 s42, s39, s43
	s_add_co_ci_u32 s43, s29, 0
	s_wait_alu 0xfffe
	s_add_nc_u64 s[42:43], s[18:19], s[42:43]
	s_wait_alu 0xfffe
	s_add_co_u32 s38, s38, s42
	s_cselect_b32 s2, -1, 0
	s_wait_alu 0xfffe
	s_cmp_lg_u32 s2, 0
	s_add_co_ci_u32 s39, s39, s43
	s_wait_alu 0xfffe
	s_mul_u64 s[40:41], s[40:41], s[38:39]
	s_wait_alu 0xfffe
	s_mul_hi_u32 s43, s38, s41
	s_mul_i32 s42, s38, s41
	s_mul_hi_u32 s18, s38, s40
	s_mul_i32 s27, s39, s40
	s_wait_alu 0xfffe
	s_add_nc_u64 s[42:43], s[18:19], s[42:43]
	s_mul_hi_u32 s2, s39, s40
	s_mul_hi_u32 s29, s39, s41
	s_wait_alu 0xfffe
	s_add_co_u32 s18, s42, s27
	s_add_co_ci_u32 s18, s43, s2
	s_mul_i32 s40, s39, s41
	s_add_co_ci_u32 s41, s29, 0
	s_wait_alu 0xfffe
	s_add_nc_u64 s[40:41], s[18:19], s[40:41]
	s_wait_alu 0xfffe
	s_add_co_u32 s2, s38, s40
	s_cselect_b32 s18, -1, 0
	s_wait_alu 0xfffe
	v_mul_hi_u32 v14, v5, s2
	s_cmp_lg_u32 s18, 0
	v_mad_co_u64_u32 v[9:10], null, v13, s2, 0
	s_add_co_ci_u32 s18, s39, s41
	s_wait_alu 0xfffe
	v_mad_co_u64_u32 v[7:8], null, v5, s18, 0
	v_mad_co_u64_u32 v[11:12], null, v13, s18, 0
	s_delay_alu instid0(VALU_DEP_2) | instskip(SKIP_1) | instid1(VALU_DEP_3)
	v_add_co_u32 v7, vcc_lo, v14, v7
	s_wait_alu 0xfffd
	v_add_co_ci_u32_e64 v8, null, 0, v8, vcc_lo
	s_delay_alu instid0(VALU_DEP_2) | instskip(SKIP_1) | instid1(VALU_DEP_2)
	v_add_co_u32 v7, vcc_lo, v7, v9
	s_wait_alu 0xfffd
	v_add_co_ci_u32_e32 v7, vcc_lo, v8, v10, vcc_lo
	s_wait_alu 0xfffd
	v_add_co_ci_u32_e32 v8, vcc_lo, 0, v12, vcc_lo
	s_delay_alu instid0(VALU_DEP_2) | instskip(SKIP_1) | instid1(VALU_DEP_2)
	v_add_co_u32 v9, vcc_lo, v7, v11
	s_wait_alu 0xfffd
	v_add_co_ci_u32_e64 v10, null, 0, v8, vcc_lo
	s_delay_alu instid0(VALU_DEP_2) | instskip(SKIP_1) | instid1(VALU_DEP_3)
	v_mul_lo_u32 v11, s37, v9
	v_mad_co_u64_u32 v[7:8], null, s36, v9, 0
	v_mul_lo_u32 v12, s36, v10
	s_delay_alu instid0(VALU_DEP_2) | instskip(NEXT) | instid1(VALU_DEP_2)
	v_sub_co_u32 v5, vcc_lo, v5, v7
	v_add3_u32 v8, v8, v12, v11
	s_delay_alu instid0(VALU_DEP_1) | instskip(SKIP_2) | instid1(VALU_DEP_2)
	v_sub_nc_u32_e32 v11, v13, v8
	s_wait_alu 0xfffd
	v_sub_co_ci_u32_e64 v8, null, v13, v8, vcc_lo
	v_subrev_co_ci_u32_e64 v7, null, s37, v11, vcc_lo
	v_add_co_u32 v11, s2, v9, 2
	s_wait_alu 0xf1ff
	v_add_co_ci_u32_e64 v12, null, 0, v10, s2
	v_sub_co_u32 v14, s2, v5, s36
	s_wait_alu 0xf1ff
	v_subrev_co_ci_u32_e64 v7, null, 0, v7, s2
	s_delay_alu instid0(VALU_DEP_2) | instskip(SKIP_2) | instid1(VALU_DEP_3)
	v_cmp_le_u32_e32 vcc_lo, s36, v14
	s_wait_alu 0xfffd
	v_cndmask_b32_e64 v13, 0, -1, vcc_lo
	v_cmp_le_u32_e32 vcc_lo, s37, v7
	s_wait_alu 0xfffd
	v_cndmask_b32_e64 v14, 0, -1, vcc_lo
	;; [unrolled: 3-line block ×4, first 2 shown]
	v_cmp_eq_u32_e32 vcc_lo, s37, v7
	s_wait_alu 0xfffd
	v_cndmask_b32_e32 v7, v14, v13, vcc_lo
	v_add_co_u32 v13, vcc_lo, v9, 1
	s_wait_alu 0xfffd
	v_add_co_ci_u32_e64 v14, null, 0, v10, vcc_lo
	v_cmp_eq_u32_e32 vcc_lo, s37, v8
	s_wait_alu 0xfffd
	v_cndmask_b32_e32 v5, v15, v5, vcc_lo
	v_cmp_ne_u32_e32 vcc_lo, 0, v7
	s_delay_alu instid0(VALU_DEP_2) | instskip(SKIP_4) | instid1(VALU_DEP_2)
	v_cmp_ne_u32_e64 s2, 0, v5
	s_wait_alu 0xfffd
	v_cndmask_b32_e32 v5, v13, v11, vcc_lo
	v_cndmask_b32_e32 v7, v14, v12, vcc_lo
	s_wait_alu 0xf1ff
	v_cndmask_b32_e64 v5, v9, v5, s2
	s_delay_alu instid0(VALU_DEP_2) | instskip(NEXT) | instid1(VALU_DEP_2)
	v_cndmask_b32_e64 v7, v10, v7, s2
	v_xor_b32_e32 v5, v5, v3
	s_delay_alu instid0(VALU_DEP_2) | instskip(NEXT) | instid1(VALU_DEP_2)
	v_xor_b32_e32 v7, v7, v3
	v_sub_co_u32 v8, vcc_lo, v5, v3
	s_wait_alu 0xfffd
	s_delay_alu instid0(VALU_DEP_2)
	v_sub_co_ci_u32_e64 v9, null, v7, v3, vcc_lo
.LBB100_24:                             ;   in Loop: Header=BB100_22 Depth=2
	s_wait_alu 0xfffe
	s_and_not1_saveexec_b32 s2, s25
	s_cbranch_execz .LBB100_26
; %bb.25:                               ;   in Loop: Header=BB100_22 Depth=2
	v_cvt_f32_u32_e32 v3, s28
	s_sub_co_i32 s18, 0, s28
	v_mov_b32_e32 v9, v2
	s_delay_alu instid0(VALU_DEP_2) | instskip(NEXT) | instid1(TRANS32_DEP_1)
	v_rcp_iflag_f32_e32 v3, v3
	v_mul_f32_e32 v3, 0x4f7ffffe, v3
	s_delay_alu instid0(VALU_DEP_1) | instskip(SKIP_1) | instid1(VALU_DEP_1)
	v_cvt_u32_f32_e32 v3, v3
	s_wait_alu 0xfffe
	v_mul_lo_u32 v5, s18, v3
	s_delay_alu instid0(VALU_DEP_1) | instskip(NEXT) | instid1(VALU_DEP_1)
	v_mul_hi_u32 v5, v3, v5
	v_add_nc_u32_e32 v3, v3, v5
	s_delay_alu instid0(VALU_DEP_1) | instskip(NEXT) | instid1(VALU_DEP_1)
	v_mul_hi_u32 v3, v6, v3
	v_mul_lo_u32 v5, v3, s28
	v_add_nc_u32_e32 v7, 1, v3
	s_delay_alu instid0(VALU_DEP_2) | instskip(NEXT) | instid1(VALU_DEP_1)
	v_sub_nc_u32_e32 v5, v6, v5
	v_cmp_le_u32_e32 vcc_lo, s28, v5
	v_subrev_nc_u32_e32 v8, s28, v5
	s_wait_alu 0xfffd
	v_cndmask_b32_e32 v3, v3, v7, vcc_lo
	s_delay_alu instid0(VALU_DEP_1) | instskip(NEXT) | instid1(VALU_DEP_3)
	v_add_nc_u32_e32 v7, 1, v3
	v_cndmask_b32_e32 v5, v5, v8, vcc_lo
	s_delay_alu instid0(VALU_DEP_1) | instskip(SKIP_1) | instid1(VALU_DEP_3)
	v_cmp_le_u32_e32 vcc_lo, s28, v5
	s_wait_alu 0xfffd
	v_cndmask_b32_e32 v8, v3, v7, vcc_lo
.LBB100_26:                             ;   in Loop: Header=BB100_22 Depth=2
	s_wait_alu 0xfffe
	s_or_b32 exec_lo, exec_lo, s2
	s_add_co_i32 s18, s26, 6
	s_add_nc_u64 s[34:35], s[0:1], s[34:35]
	s_wait_alu 0xfffe
	s_lshl_b64 s[36:37], s[18:19], 2
                                        ; implicit-def: $vgpr10_vgpr11
	s_mov_b32 s2, exec_lo
	s_wait_alu 0xfffe
	s_add_nc_u64 s[30:31], s[10:11], s[36:37]
	s_clause 0x1
	s_load_b32 s25, s[34:35], 0x6c
	s_load_b32 s30, s[30:31], 0x8
	s_wait_kmcnt 0x0
	s_ashr_i32 s31, s30, 31
	s_wait_alu 0xfffe
	v_or_b32_e32 v3, s31, v9
	s_delay_alu instid0(VALU_DEP_1)
	v_cmpx_ne_u64_e32 0, v[2:3]
	s_xor_b32 s27, exec_lo, s2
	s_cbranch_execz .LBB100_28
; %bb.27:                               ;   in Loop: Header=BB100_22 Depth=2
	s_ashr_i32 s34, s31, 31
	v_ashrrev_i32_e32 v3, 31, v9
	s_wait_alu 0xfffe
	s_mov_b32 s35, s34
	s_wait_alu 0xfffe
	s_add_nc_u64 s[38:39], s[30:31], s[34:35]
	v_add_co_u32 v5, vcc_lo, v8, v3
	s_wait_alu 0xfffe
	s_xor_b64 s[38:39], s[38:39], s[34:35]
	s_wait_alu 0xfffd
	v_add_co_ci_u32_e64 v7, null, v9, v3, vcc_lo
	s_wait_alu 0xfffe
	s_cvt_f32_u32 s2, s38
	s_cvt_f32_u32 s18, s39
	s_sub_nc_u64 s[42:43], 0, s[38:39]
	v_xor_b32_e32 v5, v5, v3
	v_xor_b32_e32 v7, v7, v3
	s_wait_alu 0xfffe
	s_fmamk_f32 s2, s18, 0x4f800000, s2
	v_xor_b32_e32 v3, s34, v3
	s_wait_alu 0xfffe
	s_delay_alu instid0(SALU_CYCLE_1) | instskip(NEXT) | instid1(TRANS32_DEP_1)
	v_s_rcp_f32 s2, s2
	s_mul_f32 s2, s2, 0x5f7ffffc
	s_wait_alu 0xfffe
	s_delay_alu instid0(SALU_CYCLE_2) | instskip(SKIP_1) | instid1(SALU_CYCLE_2)
	s_mul_f32 s18, s2, 0x2f800000
	s_wait_alu 0xfffe
	s_trunc_f32 s18, s18
	s_wait_alu 0xfffe
	s_delay_alu instid0(SALU_CYCLE_2) | instskip(SKIP_2) | instid1(SALU_CYCLE_1)
	s_fmamk_f32 s2, s18, 0xcf800000, s2
	s_cvt_u32_f32 s41, s18
	s_wait_alu 0xfffe
	s_cvt_u32_f32 s40, s2
	s_wait_alu 0xfffe
	s_delay_alu instid0(SALU_CYCLE_2)
	s_mul_u64 s[44:45], s[42:43], s[40:41]
	s_wait_alu 0xfffe
	s_mul_hi_u32 s47, s40, s45
	s_mul_i32 s46, s40, s45
	s_mul_hi_u32 s18, s40, s44
	s_mul_i32 s29, s41, s44
	s_wait_alu 0xfffe
	s_add_nc_u64 s[46:47], s[18:19], s[46:47]
	s_mul_hi_u32 s2, s41, s44
	s_mul_hi_u32 s31, s41, s45
	s_wait_alu 0xfffe
	s_add_co_u32 s18, s46, s29
	s_add_co_ci_u32 s18, s47, s2
	s_mul_i32 s44, s41, s45
	s_add_co_ci_u32 s45, s31, 0
	s_wait_alu 0xfffe
	s_add_nc_u64 s[44:45], s[18:19], s[44:45]
	s_wait_alu 0xfffe
	s_add_co_u32 s40, s40, s44
	s_cselect_b32 s2, -1, 0
	s_wait_alu 0xfffe
	s_cmp_lg_u32 s2, 0
	s_add_co_ci_u32 s41, s41, s45
	s_wait_alu 0xfffe
	s_mul_u64 s[42:43], s[42:43], s[40:41]
	s_wait_alu 0xfffe
	s_mul_hi_u32 s45, s40, s43
	s_mul_i32 s44, s40, s43
	s_mul_hi_u32 s18, s40, s42
	s_mul_i32 s29, s41, s42
	s_wait_alu 0xfffe
	s_add_nc_u64 s[44:45], s[18:19], s[44:45]
	s_mul_hi_u32 s2, s41, s42
	s_mul_hi_u32 s31, s41, s43
	s_wait_alu 0xfffe
	s_add_co_u32 s18, s44, s29
	s_add_co_ci_u32 s18, s45, s2
	s_mul_i32 s42, s41, s43
	s_add_co_ci_u32 s43, s31, 0
	s_wait_alu 0xfffe
	s_add_nc_u64 s[42:43], s[18:19], s[42:43]
	s_wait_alu 0xfffe
	s_add_co_u32 s2, s40, s42
	s_cselect_b32 s18, -1, 0
	s_wait_alu 0xfffe
	v_mul_hi_u32 v15, v5, s2
	s_cmp_lg_u32 s18, 0
	v_mad_co_u64_u32 v[11:12], null, v7, s2, 0
	s_add_co_ci_u32 s18, s41, s43
	s_wait_alu 0xfffe
	v_mad_co_u64_u32 v[9:10], null, v5, s18, 0
	v_mad_co_u64_u32 v[13:14], null, v7, s18, 0
	s_delay_alu instid0(VALU_DEP_2) | instskip(SKIP_1) | instid1(VALU_DEP_3)
	v_add_co_u32 v9, vcc_lo, v15, v9
	s_wait_alu 0xfffd
	v_add_co_ci_u32_e64 v10, null, 0, v10, vcc_lo
	s_delay_alu instid0(VALU_DEP_2) | instskip(SKIP_1) | instid1(VALU_DEP_2)
	v_add_co_u32 v9, vcc_lo, v9, v11
	s_wait_alu 0xfffd
	v_add_co_ci_u32_e32 v9, vcc_lo, v10, v12, vcc_lo
	s_wait_alu 0xfffd
	v_add_co_ci_u32_e32 v10, vcc_lo, 0, v14, vcc_lo
	s_delay_alu instid0(VALU_DEP_2) | instskip(SKIP_1) | instid1(VALU_DEP_2)
	v_add_co_u32 v11, vcc_lo, v9, v13
	s_wait_alu 0xfffd
	v_add_co_ci_u32_e64 v12, null, 0, v10, vcc_lo
	s_delay_alu instid0(VALU_DEP_2) | instskip(SKIP_1) | instid1(VALU_DEP_3)
	v_mul_lo_u32 v13, s39, v11
	v_mad_co_u64_u32 v[9:10], null, s38, v11, 0
	v_mul_lo_u32 v14, s38, v12
	s_delay_alu instid0(VALU_DEP_2) | instskip(NEXT) | instid1(VALU_DEP_2)
	v_sub_co_u32 v5, vcc_lo, v5, v9
	v_add3_u32 v10, v10, v14, v13
	s_delay_alu instid0(VALU_DEP_1) | instskip(SKIP_2) | instid1(VALU_DEP_2)
	v_sub_nc_u32_e32 v13, v7, v10
	s_wait_alu 0xfffd
	v_sub_co_ci_u32_e64 v7, null, v7, v10, vcc_lo
	v_subrev_co_ci_u32_e64 v9, null, s39, v13, vcc_lo
	v_add_co_u32 v13, s2, v11, 2
	s_wait_alu 0xf1ff
	v_add_co_ci_u32_e64 v14, null, 0, v12, s2
	v_sub_co_u32 v15, s2, v5, s38
	s_wait_alu 0xf1ff
	v_subrev_co_ci_u32_e64 v9, null, 0, v9, s2
	s_delay_alu instid0(VALU_DEP_2) | instskip(SKIP_2) | instid1(VALU_DEP_3)
	v_cmp_le_u32_e32 vcc_lo, s38, v15
	s_wait_alu 0xfffd
	v_cndmask_b32_e64 v10, 0, -1, vcc_lo
	v_cmp_le_u32_e32 vcc_lo, s39, v9
	s_wait_alu 0xfffd
	v_cndmask_b32_e64 v15, 0, -1, vcc_lo
	;; [unrolled: 3-line block ×4, first 2 shown]
	v_cmp_eq_u32_e32 vcc_lo, s39, v9
	s_wait_alu 0xfffd
	v_cndmask_b32_e32 v9, v15, v10, vcc_lo
	v_add_co_u32 v10, vcc_lo, v11, 1
	s_wait_alu 0xfffd
	v_add_co_ci_u32_e64 v15, null, 0, v12, vcc_lo
	v_cmp_eq_u32_e32 vcc_lo, s39, v7
	s_wait_alu 0xfffd
	v_cndmask_b32_e32 v5, v16, v5, vcc_lo
	v_cmp_ne_u32_e32 vcc_lo, 0, v9
	s_delay_alu instid0(VALU_DEP_2) | instskip(SKIP_4) | instid1(VALU_DEP_2)
	v_cmp_ne_u32_e64 s2, 0, v5
	s_wait_alu 0xfffd
	v_cndmask_b32_e32 v5, v10, v13, vcc_lo
	v_cndmask_b32_e32 v7, v15, v14, vcc_lo
	s_wait_alu 0xf1ff
	v_cndmask_b32_e64 v5, v11, v5, s2
	s_delay_alu instid0(VALU_DEP_2) | instskip(NEXT) | instid1(VALU_DEP_2)
	v_cndmask_b32_e64 v7, v12, v7, s2
	v_xor_b32_e32 v5, v5, v3
	s_delay_alu instid0(VALU_DEP_2) | instskip(NEXT) | instid1(VALU_DEP_2)
	v_xor_b32_e32 v7, v7, v3
	v_sub_co_u32 v10, vcc_lo, v5, v3
	s_wait_alu 0xfffd
	s_delay_alu instid0(VALU_DEP_2)
	v_sub_co_ci_u32_e64 v11, null, v7, v3, vcc_lo
.LBB100_28:                             ;   in Loop: Header=BB100_22 Depth=2
	s_wait_alu 0xfffe
	s_and_not1_saveexec_b32 s2, s27
	s_cbranch_execz .LBB100_30
; %bb.29:                               ;   in Loop: Header=BB100_22 Depth=2
	v_cvt_f32_u32_e32 v3, s30
	s_sub_co_i32 s18, 0, s30
	v_mov_b32_e32 v11, v2
	s_delay_alu instid0(VALU_DEP_2) | instskip(NEXT) | instid1(TRANS32_DEP_1)
	v_rcp_iflag_f32_e32 v3, v3
	v_mul_f32_e32 v3, 0x4f7ffffe, v3
	s_delay_alu instid0(VALU_DEP_1) | instskip(SKIP_1) | instid1(VALU_DEP_1)
	v_cvt_u32_f32_e32 v3, v3
	s_wait_alu 0xfffe
	v_mul_lo_u32 v5, s18, v3
	s_delay_alu instid0(VALU_DEP_1) | instskip(NEXT) | instid1(VALU_DEP_1)
	v_mul_hi_u32 v5, v3, v5
	v_add_nc_u32_e32 v3, v3, v5
	s_delay_alu instid0(VALU_DEP_1) | instskip(NEXT) | instid1(VALU_DEP_1)
	v_mul_hi_u32 v3, v8, v3
	v_mul_lo_u32 v5, v3, s30
	v_add_nc_u32_e32 v7, 1, v3
	s_delay_alu instid0(VALU_DEP_2) | instskip(NEXT) | instid1(VALU_DEP_1)
	v_sub_nc_u32_e32 v5, v8, v5
	v_cmp_le_u32_e32 vcc_lo, s30, v5
	v_subrev_nc_u32_e32 v9, s30, v5
	s_wait_alu 0xfffd
	v_cndmask_b32_e32 v3, v3, v7, vcc_lo
	s_delay_alu instid0(VALU_DEP_1) | instskip(NEXT) | instid1(VALU_DEP_3)
	v_add_nc_u32_e32 v7, 1, v3
	v_cndmask_b32_e32 v5, v5, v9, vcc_lo
	s_delay_alu instid0(VALU_DEP_1) | instskip(SKIP_1) | instid1(VALU_DEP_3)
	v_cmp_le_u32_e32 vcc_lo, s30, v5
	s_wait_alu 0xfffd
	v_cndmask_b32_e32 v10, v3, v7, vcc_lo
.LBB100_30:                             ;   in Loop: Header=BB100_22 Depth=2
	s_wait_alu 0xfffe
	s_or_b32 exec_lo, exec_lo, s2
	s_add_co_i32 s18, s26, 5
	s_add_nc_u64 s[36:37], s[0:1], s[36:37]
	s_wait_alu 0xfffe
	s_lshl_b64 s[38:39], s[18:19], 2
                                        ; implicit-def: $vgpr12_vgpr13
	s_mov_b32 s2, exec_lo
	s_wait_alu 0xfffe
	s_add_nc_u64 s[34:35], s[10:11], s[38:39]
	s_clause 0x1
	s_load_b32 s29, s[36:37], 0x6c
	s_load_b32 s34, s[34:35], 0x8
	s_wait_kmcnt 0x0
	s_ashr_i32 s35, s34, 31
	s_wait_alu 0xfffe
	v_or_b32_e32 v3, s35, v11
	s_delay_alu instid0(VALU_DEP_1)
	v_cmpx_ne_u64_e32 0, v[2:3]
	s_xor_b32 s27, exec_lo, s2
	s_cbranch_execz .LBB100_32
; %bb.31:                               ;   in Loop: Header=BB100_22 Depth=2
	s_ashr_i32 s36, s35, 31
	v_ashrrev_i32_e32 v3, 31, v11
	s_wait_alu 0xfffe
	s_mov_b32 s37, s36
	s_wait_alu 0xfffe
	s_add_nc_u64 s[40:41], s[34:35], s[36:37]
	v_add_co_u32 v5, vcc_lo, v10, v3
	s_wait_alu 0xfffe
	s_xor_b64 s[40:41], s[40:41], s[36:37]
	s_wait_alu 0xfffd
	v_add_co_ci_u32_e64 v7, null, v11, v3, vcc_lo
	s_wait_alu 0xfffe
	s_cvt_f32_u32 s2, s40
	s_cvt_f32_u32 s18, s41
	s_sub_nc_u64 s[44:45], 0, s[40:41]
	v_xor_b32_e32 v5, v5, v3
	v_xor_b32_e32 v7, v7, v3
	s_wait_alu 0xfffe
	s_fmamk_f32 s2, s18, 0x4f800000, s2
	v_xor_b32_e32 v3, s36, v3
	s_wait_alu 0xfffe
	s_delay_alu instid0(SALU_CYCLE_1) | instskip(NEXT) | instid1(TRANS32_DEP_1)
	v_s_rcp_f32 s2, s2
	s_mul_f32 s2, s2, 0x5f7ffffc
	s_wait_alu 0xfffe
	s_delay_alu instid0(SALU_CYCLE_2) | instskip(SKIP_1) | instid1(SALU_CYCLE_2)
	s_mul_f32 s18, s2, 0x2f800000
	s_wait_alu 0xfffe
	s_trunc_f32 s18, s18
	s_wait_alu 0xfffe
	s_delay_alu instid0(SALU_CYCLE_2) | instskip(SKIP_2) | instid1(SALU_CYCLE_1)
	s_fmamk_f32 s2, s18, 0xcf800000, s2
	s_cvt_u32_f32 s43, s18
	s_wait_alu 0xfffe
	s_cvt_u32_f32 s42, s2
	s_wait_alu 0xfffe
	s_delay_alu instid0(SALU_CYCLE_2)
	s_mul_u64 s[46:47], s[44:45], s[42:43]
	s_wait_alu 0xfffe
	s_mul_hi_u32 s49, s42, s47
	s_mul_i32 s48, s42, s47
	s_mul_hi_u32 s18, s42, s46
	s_mul_i32 s31, s43, s46
	s_wait_alu 0xfffe
	s_add_nc_u64 s[48:49], s[18:19], s[48:49]
	s_mul_hi_u32 s2, s43, s46
	s_mul_hi_u32 s35, s43, s47
	s_wait_alu 0xfffe
	s_add_co_u32 s18, s48, s31
	s_add_co_ci_u32 s18, s49, s2
	s_mul_i32 s46, s43, s47
	s_add_co_ci_u32 s47, s35, 0
	s_wait_alu 0xfffe
	s_add_nc_u64 s[46:47], s[18:19], s[46:47]
	s_wait_alu 0xfffe
	s_add_co_u32 s42, s42, s46
	s_cselect_b32 s2, -1, 0
	s_wait_alu 0xfffe
	s_cmp_lg_u32 s2, 0
	s_add_co_ci_u32 s43, s43, s47
	s_wait_alu 0xfffe
	s_mul_u64 s[44:45], s[44:45], s[42:43]
	s_wait_alu 0xfffe
	s_mul_hi_u32 s47, s42, s45
	s_mul_i32 s46, s42, s45
	s_mul_hi_u32 s18, s42, s44
	s_mul_i32 s31, s43, s44
	s_wait_alu 0xfffe
	s_add_nc_u64 s[46:47], s[18:19], s[46:47]
	s_mul_hi_u32 s2, s43, s44
	s_mul_hi_u32 s35, s43, s45
	s_wait_alu 0xfffe
	s_add_co_u32 s18, s46, s31
	s_add_co_ci_u32 s18, s47, s2
	s_mul_i32 s44, s43, s45
	s_add_co_ci_u32 s45, s35, 0
	s_wait_alu 0xfffe
	s_add_nc_u64 s[44:45], s[18:19], s[44:45]
	s_wait_alu 0xfffe
	s_add_co_u32 s2, s42, s44
	s_cselect_b32 s18, -1, 0
	s_wait_alu 0xfffe
	v_mul_hi_u32 v9, v5, s2
	s_cmp_lg_u32 s18, 0
	v_mad_co_u64_u32 v[13:14], null, v7, s2, 0
	s_add_co_ci_u32 s18, s43, s45
	s_wait_alu 0xfffe
	v_mad_co_u64_u32 v[11:12], null, v5, s18, 0
	v_mad_co_u64_u32 v[15:16], null, v7, s18, 0
	s_delay_alu instid0(VALU_DEP_2) | instskip(SKIP_1) | instid1(VALU_DEP_3)
	v_add_co_u32 v9, vcc_lo, v9, v11
	s_wait_alu 0xfffd
	v_add_co_ci_u32_e64 v11, null, 0, v12, vcc_lo
	s_delay_alu instid0(VALU_DEP_2) | instskip(SKIP_1) | instid1(VALU_DEP_2)
	v_add_co_u32 v9, vcc_lo, v9, v13
	s_wait_alu 0xfffd
	v_add_co_ci_u32_e32 v9, vcc_lo, v11, v14, vcc_lo
	s_wait_alu 0xfffd
	v_add_co_ci_u32_e32 v11, vcc_lo, 0, v16, vcc_lo
	s_delay_alu instid0(VALU_DEP_2) | instskip(SKIP_1) | instid1(VALU_DEP_2)
	v_add_co_u32 v9, vcc_lo, v9, v15
	s_wait_alu 0xfffd
	v_add_co_ci_u32_e64 v13, null, 0, v11, vcc_lo
	s_delay_alu instid0(VALU_DEP_2) | instskip(SKIP_1) | instid1(VALU_DEP_3)
	v_mul_lo_u32 v14, s41, v9
	v_mad_co_u64_u32 v[11:12], null, s40, v9, 0
	v_mul_lo_u32 v15, s40, v13
	s_delay_alu instid0(VALU_DEP_2) | instskip(NEXT) | instid1(VALU_DEP_2)
	v_sub_co_u32 v5, vcc_lo, v5, v11
	v_add3_u32 v12, v12, v15, v14
	s_delay_alu instid0(VALU_DEP_1) | instskip(SKIP_2) | instid1(VALU_DEP_2)
	v_sub_nc_u32_e32 v14, v7, v12
	s_wait_alu 0xfffd
	v_sub_co_ci_u32_e64 v7, null, v7, v12, vcc_lo
	v_subrev_co_ci_u32_e64 v11, null, s41, v14, vcc_lo
	v_add_co_u32 v14, s2, v9, 2
	s_wait_alu 0xf1ff
	v_add_co_ci_u32_e64 v15, null, 0, v13, s2
	v_sub_co_u32 v16, s2, v5, s40
	s_wait_alu 0xf1ff
	v_subrev_co_ci_u32_e64 v11, null, 0, v11, s2
	s_delay_alu instid0(VALU_DEP_2) | instskip(SKIP_2) | instid1(VALU_DEP_3)
	v_cmp_le_u32_e32 vcc_lo, s40, v16
	s_wait_alu 0xfffd
	v_cndmask_b32_e64 v12, 0, -1, vcc_lo
	v_cmp_le_u32_e32 vcc_lo, s41, v11
	s_wait_alu 0xfffd
	v_cndmask_b32_e64 v16, 0, -1, vcc_lo
	;; [unrolled: 3-line block ×4, first 2 shown]
	v_cmp_eq_u32_e32 vcc_lo, s41, v11
	s_wait_alu 0xfffd
	v_cndmask_b32_e32 v11, v16, v12, vcc_lo
	v_add_co_u32 v12, vcc_lo, v9, 1
	s_wait_alu 0xfffd
	v_add_co_ci_u32_e64 v16, null, 0, v13, vcc_lo
	v_cmp_eq_u32_e32 vcc_lo, s41, v7
	s_wait_alu 0xfffd
	v_cndmask_b32_e32 v5, v17, v5, vcc_lo
	v_cmp_ne_u32_e32 vcc_lo, 0, v11
	s_delay_alu instid0(VALU_DEP_2) | instskip(SKIP_4) | instid1(VALU_DEP_2)
	v_cmp_ne_u32_e64 s2, 0, v5
	s_wait_alu 0xfffd
	v_cndmask_b32_e32 v5, v12, v14, vcc_lo
	v_cndmask_b32_e32 v7, v16, v15, vcc_lo
	s_wait_alu 0xf1ff
	v_cndmask_b32_e64 v5, v9, v5, s2
	s_delay_alu instid0(VALU_DEP_2) | instskip(NEXT) | instid1(VALU_DEP_2)
	v_cndmask_b32_e64 v7, v13, v7, s2
	v_xor_b32_e32 v5, v5, v3
	s_delay_alu instid0(VALU_DEP_2) | instskip(NEXT) | instid1(VALU_DEP_2)
	v_xor_b32_e32 v7, v7, v3
	v_sub_co_u32 v12, vcc_lo, v5, v3
	s_wait_alu 0xfffd
	s_delay_alu instid0(VALU_DEP_2)
	v_sub_co_ci_u32_e64 v13, null, v7, v3, vcc_lo
.LBB100_32:                             ;   in Loop: Header=BB100_22 Depth=2
	s_wait_alu 0xfffe
	s_and_not1_saveexec_b32 s2, s27
	s_cbranch_execz .LBB100_34
; %bb.33:                               ;   in Loop: Header=BB100_22 Depth=2
	v_cvt_f32_u32_e32 v3, s34
	s_sub_co_i32 s18, 0, s34
	v_mov_b32_e32 v13, v2
	s_delay_alu instid0(VALU_DEP_2) | instskip(NEXT) | instid1(TRANS32_DEP_1)
	v_rcp_iflag_f32_e32 v3, v3
	v_mul_f32_e32 v3, 0x4f7ffffe, v3
	s_delay_alu instid0(VALU_DEP_1) | instskip(SKIP_1) | instid1(VALU_DEP_1)
	v_cvt_u32_f32_e32 v3, v3
	s_wait_alu 0xfffe
	v_mul_lo_u32 v5, s18, v3
	s_delay_alu instid0(VALU_DEP_1) | instskip(NEXT) | instid1(VALU_DEP_1)
	v_mul_hi_u32 v5, v3, v5
	v_add_nc_u32_e32 v3, v3, v5
	s_delay_alu instid0(VALU_DEP_1) | instskip(NEXT) | instid1(VALU_DEP_1)
	v_mul_hi_u32 v3, v10, v3
	v_mul_lo_u32 v5, v3, s34
	v_add_nc_u32_e32 v7, 1, v3
	s_delay_alu instid0(VALU_DEP_2) | instskip(NEXT) | instid1(VALU_DEP_1)
	v_sub_nc_u32_e32 v5, v10, v5
	v_cmp_le_u32_e32 vcc_lo, s34, v5
	v_subrev_nc_u32_e32 v9, s34, v5
	s_wait_alu 0xfffd
	v_cndmask_b32_e32 v3, v3, v7, vcc_lo
	s_delay_alu instid0(VALU_DEP_1) | instskip(NEXT) | instid1(VALU_DEP_3)
	v_add_nc_u32_e32 v7, 1, v3
	v_cndmask_b32_e32 v5, v5, v9, vcc_lo
	s_delay_alu instid0(VALU_DEP_1) | instskip(SKIP_1) | instid1(VALU_DEP_3)
	v_cmp_le_u32_e32 vcc_lo, s34, v5
	s_wait_alu 0xfffd
	v_cndmask_b32_e32 v12, v3, v7, vcc_lo
.LBB100_34:                             ;   in Loop: Header=BB100_22 Depth=2
	s_wait_alu 0xfffe
	s_or_b32 exec_lo, exec_lo, s2
	s_add_co_i32 s18, s26, 4
	s_add_nc_u64 s[38:39], s[0:1], s[38:39]
	s_wait_alu 0xfffe
	s_lshl_b64 s[40:41], s[18:19], 2
                                        ; implicit-def: $vgpr14_vgpr15
	s_mov_b32 s2, exec_lo
	s_wait_alu 0xfffe
	s_add_nc_u64 s[36:37], s[10:11], s[40:41]
	s_clause 0x1
	s_load_b32 s31, s[38:39], 0x6c
	s_load_b32 s36, s[36:37], 0x8
	s_wait_kmcnt 0x0
	s_ashr_i32 s37, s36, 31
	s_wait_alu 0xfffe
	v_or_b32_e32 v3, s37, v13
	s_delay_alu instid0(VALU_DEP_1)
	v_cmpx_ne_u64_e32 0, v[2:3]
	s_xor_b32 s27, exec_lo, s2
	s_cbranch_execz .LBB100_36
; %bb.35:                               ;   in Loop: Header=BB100_22 Depth=2
	s_ashr_i32 s38, s37, 31
	v_ashrrev_i32_e32 v3, 31, v13
	s_wait_alu 0xfffe
	s_mov_b32 s39, s38
	s_wait_alu 0xfffe
	s_add_nc_u64 s[42:43], s[36:37], s[38:39]
	v_add_co_u32 v5, vcc_lo, v12, v3
	s_wait_alu 0xfffe
	s_xor_b64 s[42:43], s[42:43], s[38:39]
	s_wait_alu 0xfffd
	v_add_co_ci_u32_e64 v7, null, v13, v3, vcc_lo
	s_wait_alu 0xfffe
	s_cvt_f32_u32 s2, s42
	s_cvt_f32_u32 s18, s43
	s_sub_nc_u64 s[46:47], 0, s[42:43]
	v_xor_b32_e32 v5, v5, v3
	v_xor_b32_e32 v7, v7, v3
	s_wait_alu 0xfffe
	s_fmamk_f32 s2, s18, 0x4f800000, s2
	v_xor_b32_e32 v3, s38, v3
	s_wait_alu 0xfffe
	s_delay_alu instid0(SALU_CYCLE_1) | instskip(NEXT) | instid1(TRANS32_DEP_1)
	v_s_rcp_f32 s2, s2
	s_mul_f32 s2, s2, 0x5f7ffffc
	s_wait_alu 0xfffe
	s_delay_alu instid0(SALU_CYCLE_2) | instskip(SKIP_1) | instid1(SALU_CYCLE_2)
	s_mul_f32 s18, s2, 0x2f800000
	s_wait_alu 0xfffe
	s_trunc_f32 s18, s18
	s_wait_alu 0xfffe
	s_delay_alu instid0(SALU_CYCLE_2) | instskip(SKIP_2) | instid1(SALU_CYCLE_1)
	s_fmamk_f32 s2, s18, 0xcf800000, s2
	s_cvt_u32_f32 s45, s18
	s_wait_alu 0xfffe
	s_cvt_u32_f32 s44, s2
	s_wait_alu 0xfffe
	s_delay_alu instid0(SALU_CYCLE_2)
	s_mul_u64 s[48:49], s[46:47], s[44:45]
	s_wait_alu 0xfffe
	s_mul_hi_u32 s51, s44, s49
	s_mul_i32 s50, s44, s49
	s_mul_hi_u32 s18, s44, s48
	s_mul_i32 s35, s45, s48
	s_wait_alu 0xfffe
	s_add_nc_u64 s[50:51], s[18:19], s[50:51]
	s_mul_hi_u32 s2, s45, s48
	s_mul_hi_u32 s37, s45, s49
	s_wait_alu 0xfffe
	s_add_co_u32 s18, s50, s35
	s_add_co_ci_u32 s18, s51, s2
	s_mul_i32 s48, s45, s49
	s_add_co_ci_u32 s49, s37, 0
	s_wait_alu 0xfffe
	s_add_nc_u64 s[48:49], s[18:19], s[48:49]
	s_wait_alu 0xfffe
	s_add_co_u32 s44, s44, s48
	s_cselect_b32 s2, -1, 0
	s_wait_alu 0xfffe
	s_cmp_lg_u32 s2, 0
	s_add_co_ci_u32 s45, s45, s49
	s_wait_alu 0xfffe
	s_mul_u64 s[46:47], s[46:47], s[44:45]
	s_wait_alu 0xfffe
	s_mul_hi_u32 s49, s44, s47
	s_mul_i32 s48, s44, s47
	s_mul_hi_u32 s18, s44, s46
	s_mul_i32 s35, s45, s46
	s_wait_alu 0xfffe
	s_add_nc_u64 s[48:49], s[18:19], s[48:49]
	s_mul_hi_u32 s2, s45, s46
	s_mul_hi_u32 s37, s45, s47
	s_wait_alu 0xfffe
	s_add_co_u32 s18, s48, s35
	s_add_co_ci_u32 s18, s49, s2
	s_mul_i32 s46, s45, s47
	s_add_co_ci_u32 s47, s37, 0
	s_wait_alu 0xfffe
	s_add_nc_u64 s[46:47], s[18:19], s[46:47]
	s_wait_alu 0xfffe
	s_add_co_u32 s2, s44, s46
	s_cselect_b32 s18, -1, 0
	s_wait_alu 0xfffe
	v_mul_hi_u32 v9, v5, s2
	s_cmp_lg_u32 s18, 0
	v_mad_co_u64_u32 v[15:16], null, v7, s2, 0
	s_add_co_ci_u32 s18, s45, s47
	s_wait_alu 0xfffe
	v_mad_co_u64_u32 v[13:14], null, v5, s18, 0
	v_mad_co_u64_u32 v[17:18], null, v7, s18, 0
	s_delay_alu instid0(VALU_DEP_2) | instskip(SKIP_1) | instid1(VALU_DEP_3)
	v_add_co_u32 v9, vcc_lo, v9, v13
	s_wait_alu 0xfffd
	v_add_co_ci_u32_e64 v11, null, 0, v14, vcc_lo
	s_delay_alu instid0(VALU_DEP_2) | instskip(SKIP_1) | instid1(VALU_DEP_2)
	v_add_co_u32 v9, vcc_lo, v9, v15
	s_wait_alu 0xfffd
	v_add_co_ci_u32_e32 v9, vcc_lo, v11, v16, vcc_lo
	s_wait_alu 0xfffd
	v_add_co_ci_u32_e32 v11, vcc_lo, 0, v18, vcc_lo
	s_delay_alu instid0(VALU_DEP_2) | instskip(SKIP_1) | instid1(VALU_DEP_2)
	v_add_co_u32 v9, vcc_lo, v9, v17
	s_wait_alu 0xfffd
	v_add_co_ci_u32_e64 v11, null, 0, v11, vcc_lo
	s_delay_alu instid0(VALU_DEP_2) | instskip(SKIP_1) | instid1(VALU_DEP_3)
	v_mul_lo_u32 v15, s43, v9
	v_mad_co_u64_u32 v[13:14], null, s42, v9, 0
	v_mul_lo_u32 v16, s42, v11
	s_delay_alu instid0(VALU_DEP_2) | instskip(NEXT) | instid1(VALU_DEP_2)
	v_sub_co_u32 v5, vcc_lo, v5, v13
	v_add3_u32 v14, v14, v16, v15
	s_delay_alu instid0(VALU_DEP_1) | instskip(SKIP_2) | instid1(VALU_DEP_2)
	v_sub_nc_u32_e32 v15, v7, v14
	s_wait_alu 0xfffd
	v_sub_co_ci_u32_e64 v7, null, v7, v14, vcc_lo
	v_subrev_co_ci_u32_e64 v13, null, s43, v15, vcc_lo
	v_add_co_u32 v15, s2, v9, 2
	s_wait_alu 0xf1ff
	v_add_co_ci_u32_e64 v16, null, 0, v11, s2
	v_sub_co_u32 v17, s2, v5, s42
	s_wait_alu 0xf1ff
	v_subrev_co_ci_u32_e64 v13, null, 0, v13, s2
	s_delay_alu instid0(VALU_DEP_2) | instskip(SKIP_2) | instid1(VALU_DEP_3)
	v_cmp_le_u32_e32 vcc_lo, s42, v17
	s_wait_alu 0xfffd
	v_cndmask_b32_e64 v14, 0, -1, vcc_lo
	v_cmp_le_u32_e32 vcc_lo, s43, v13
	s_wait_alu 0xfffd
	v_cndmask_b32_e64 v17, 0, -1, vcc_lo
	;; [unrolled: 3-line block ×4, first 2 shown]
	v_cmp_eq_u32_e32 vcc_lo, s43, v13
	s_wait_alu 0xfffd
	v_cndmask_b32_e32 v13, v17, v14, vcc_lo
	v_add_co_u32 v14, vcc_lo, v9, 1
	s_wait_alu 0xfffd
	v_add_co_ci_u32_e64 v17, null, 0, v11, vcc_lo
	v_cmp_eq_u32_e32 vcc_lo, s43, v7
	s_wait_alu 0xfffd
	v_cndmask_b32_e32 v5, v18, v5, vcc_lo
	v_cmp_ne_u32_e32 vcc_lo, 0, v13
	s_delay_alu instid0(VALU_DEP_2) | instskip(SKIP_4) | instid1(VALU_DEP_2)
	v_cmp_ne_u32_e64 s2, 0, v5
	s_wait_alu 0xfffd
	v_cndmask_b32_e32 v5, v14, v15, vcc_lo
	v_cndmask_b32_e32 v7, v17, v16, vcc_lo
	s_wait_alu 0xf1ff
	v_cndmask_b32_e64 v5, v9, v5, s2
	s_delay_alu instid0(VALU_DEP_2) | instskip(NEXT) | instid1(VALU_DEP_2)
	v_cndmask_b32_e64 v7, v11, v7, s2
	v_xor_b32_e32 v5, v5, v3
	s_delay_alu instid0(VALU_DEP_2) | instskip(NEXT) | instid1(VALU_DEP_2)
	v_xor_b32_e32 v7, v7, v3
	v_sub_co_u32 v14, vcc_lo, v5, v3
	s_wait_alu 0xfffd
	s_delay_alu instid0(VALU_DEP_2)
	v_sub_co_ci_u32_e64 v15, null, v7, v3, vcc_lo
.LBB100_36:                             ;   in Loop: Header=BB100_22 Depth=2
	s_wait_alu 0xfffe
	s_and_not1_saveexec_b32 s2, s27
	s_cbranch_execz .LBB100_38
; %bb.37:                               ;   in Loop: Header=BB100_22 Depth=2
	v_cvt_f32_u32_e32 v3, s36
	s_sub_co_i32 s18, 0, s36
	v_mov_b32_e32 v15, v2
	s_delay_alu instid0(VALU_DEP_2) | instskip(NEXT) | instid1(TRANS32_DEP_1)
	v_rcp_iflag_f32_e32 v3, v3
	v_mul_f32_e32 v3, 0x4f7ffffe, v3
	s_delay_alu instid0(VALU_DEP_1) | instskip(SKIP_1) | instid1(VALU_DEP_1)
	v_cvt_u32_f32_e32 v3, v3
	s_wait_alu 0xfffe
	v_mul_lo_u32 v5, s18, v3
	s_delay_alu instid0(VALU_DEP_1) | instskip(NEXT) | instid1(VALU_DEP_1)
	v_mul_hi_u32 v5, v3, v5
	v_add_nc_u32_e32 v3, v3, v5
	s_delay_alu instid0(VALU_DEP_1) | instskip(NEXT) | instid1(VALU_DEP_1)
	v_mul_hi_u32 v3, v12, v3
	v_mul_lo_u32 v5, v3, s36
	v_add_nc_u32_e32 v7, 1, v3
	s_delay_alu instid0(VALU_DEP_2) | instskip(NEXT) | instid1(VALU_DEP_1)
	v_sub_nc_u32_e32 v5, v12, v5
	v_cmp_le_u32_e32 vcc_lo, s36, v5
	v_subrev_nc_u32_e32 v9, s36, v5
	s_wait_alu 0xfffd
	v_cndmask_b32_e32 v3, v3, v7, vcc_lo
	s_delay_alu instid0(VALU_DEP_1) | instskip(NEXT) | instid1(VALU_DEP_3)
	v_add_nc_u32_e32 v7, 1, v3
	v_cndmask_b32_e32 v5, v5, v9, vcc_lo
	s_delay_alu instid0(VALU_DEP_1) | instskip(SKIP_1) | instid1(VALU_DEP_3)
	v_cmp_le_u32_e32 vcc_lo, s36, v5
	s_wait_alu 0xfffd
	v_cndmask_b32_e32 v14, v3, v7, vcc_lo
.LBB100_38:                             ;   in Loop: Header=BB100_22 Depth=2
	s_wait_alu 0xfffe
	s_or_b32 exec_lo, exec_lo, s2
	s_add_co_i32 s18, s26, 3
	s_add_nc_u64 s[40:41], s[0:1], s[40:41]
	s_wait_alu 0xfffe
	s_lshl_b64 s[42:43], s[18:19], 2
                                        ; implicit-def: $vgpr16_vgpr17
	s_mov_b32 s2, exec_lo
	s_wait_alu 0xfffe
	s_add_nc_u64 s[38:39], s[10:11], s[42:43]
	s_clause 0x1
	s_load_b32 s35, s[40:41], 0x6c
	s_load_b32 s38, s[38:39], 0x8
	s_wait_kmcnt 0x0
	s_ashr_i32 s39, s38, 31
	s_wait_alu 0xfffe
	v_or_b32_e32 v3, s39, v15
	s_delay_alu instid0(VALU_DEP_1)
	v_cmpx_ne_u64_e32 0, v[2:3]
	s_xor_b32 s27, exec_lo, s2
	s_cbranch_execz .LBB100_40
; %bb.39:                               ;   in Loop: Header=BB100_22 Depth=2
	s_ashr_i32 s40, s39, 31
	v_ashrrev_i32_e32 v3, 31, v15
	s_wait_alu 0xfffe
	s_mov_b32 s41, s40
	s_wait_alu 0xfffe
	s_add_nc_u64 s[44:45], s[38:39], s[40:41]
	v_add_co_u32 v5, vcc_lo, v14, v3
	s_wait_alu 0xfffe
	s_xor_b64 s[44:45], s[44:45], s[40:41]
	s_wait_alu 0xfffd
	v_add_co_ci_u32_e64 v7, null, v15, v3, vcc_lo
	s_wait_alu 0xfffe
	s_cvt_f32_u32 s2, s44
	s_cvt_f32_u32 s18, s45
	s_sub_nc_u64 s[48:49], 0, s[44:45]
	v_xor_b32_e32 v5, v5, v3
	v_xor_b32_e32 v7, v7, v3
	s_wait_alu 0xfffe
	s_fmamk_f32 s2, s18, 0x4f800000, s2
	v_xor_b32_e32 v3, s40, v3
	s_wait_alu 0xfffe
	s_delay_alu instid0(SALU_CYCLE_1) | instskip(NEXT) | instid1(TRANS32_DEP_1)
	v_s_rcp_f32 s2, s2
	s_mul_f32 s2, s2, 0x5f7ffffc
	s_wait_alu 0xfffe
	s_delay_alu instid0(SALU_CYCLE_2) | instskip(SKIP_1) | instid1(SALU_CYCLE_2)
	s_mul_f32 s18, s2, 0x2f800000
	s_wait_alu 0xfffe
	s_trunc_f32 s18, s18
	s_wait_alu 0xfffe
	s_delay_alu instid0(SALU_CYCLE_2) | instskip(SKIP_2) | instid1(SALU_CYCLE_1)
	s_fmamk_f32 s2, s18, 0xcf800000, s2
	s_cvt_u32_f32 s47, s18
	s_wait_alu 0xfffe
	s_cvt_u32_f32 s46, s2
	s_wait_alu 0xfffe
	s_delay_alu instid0(SALU_CYCLE_2)
	s_mul_u64 s[50:51], s[48:49], s[46:47]
	s_wait_alu 0xfffe
	s_mul_hi_u32 s59, s46, s51
	s_mul_i32 s58, s46, s51
	s_mul_hi_u32 s18, s46, s50
	s_mul_i32 s37, s47, s50
	s_wait_alu 0xfffe
	s_add_nc_u64 s[58:59], s[18:19], s[58:59]
	s_mul_hi_u32 s2, s47, s50
	s_mul_hi_u32 s39, s47, s51
	s_add_co_u32 s18, s58, s37
	s_wait_alu 0xfffe
	s_add_co_ci_u32 s18, s59, s2
	s_mul_i32 s50, s47, s51
	s_add_co_ci_u32 s51, s39, 0
	s_wait_alu 0xfffe
	s_add_nc_u64 s[50:51], s[18:19], s[50:51]
	s_wait_alu 0xfffe
	s_add_co_u32 s46, s46, s50
	s_cselect_b32 s2, -1, 0
	s_wait_alu 0xfffe
	s_cmp_lg_u32 s2, 0
	s_add_co_ci_u32 s47, s47, s51
	s_wait_alu 0xfffe
	s_mul_u64 s[48:49], s[48:49], s[46:47]
	s_wait_alu 0xfffe
	s_mul_hi_u32 s51, s46, s49
	s_mul_i32 s50, s46, s49
	s_mul_hi_u32 s18, s46, s48
	s_mul_i32 s37, s47, s48
	s_wait_alu 0xfffe
	s_add_nc_u64 s[50:51], s[18:19], s[50:51]
	s_mul_hi_u32 s2, s47, s48
	s_mul_hi_u32 s39, s47, s49
	s_wait_alu 0xfffe
	s_add_co_u32 s18, s50, s37
	s_add_co_ci_u32 s18, s51, s2
	s_mul_i32 s48, s47, s49
	s_add_co_ci_u32 s49, s39, 0
	s_wait_alu 0xfffe
	s_add_nc_u64 s[48:49], s[18:19], s[48:49]
	s_wait_alu 0xfffe
	s_add_co_u32 s2, s46, s48
	s_cselect_b32 s18, -1, 0
	s_wait_alu 0xfffe
	v_mul_hi_u32 v9, v5, s2
	s_cmp_lg_u32 s18, 0
	v_mad_co_u64_u32 v[17:18], null, v7, s2, 0
	s_add_co_ci_u32 s18, s47, s49
	s_wait_alu 0xfffe
	v_mad_co_u64_u32 v[15:16], null, v5, s18, 0
	v_mad_co_u64_u32 v[19:20], null, v7, s18, 0
	s_delay_alu instid0(VALU_DEP_2) | instskip(SKIP_1) | instid1(VALU_DEP_3)
	v_add_co_u32 v9, vcc_lo, v9, v15
	s_wait_alu 0xfffd
	v_add_co_ci_u32_e64 v11, null, 0, v16, vcc_lo
	s_delay_alu instid0(VALU_DEP_2) | instskip(SKIP_1) | instid1(VALU_DEP_2)
	v_add_co_u32 v9, vcc_lo, v9, v17
	s_wait_alu 0xfffd
	v_add_co_ci_u32_e32 v9, vcc_lo, v11, v18, vcc_lo
	s_wait_alu 0xfffd
	v_add_co_ci_u32_e32 v11, vcc_lo, 0, v20, vcc_lo
	s_delay_alu instid0(VALU_DEP_2) | instskip(SKIP_1) | instid1(VALU_DEP_2)
	v_add_co_u32 v9, vcc_lo, v9, v19
	s_wait_alu 0xfffd
	v_add_co_ci_u32_e64 v11, null, 0, v11, vcc_lo
	s_delay_alu instid0(VALU_DEP_2) | instskip(SKIP_1) | instid1(VALU_DEP_3)
	v_mul_lo_u32 v13, s45, v9
	v_mad_co_u64_u32 v[15:16], null, s44, v9, 0
	v_mul_lo_u32 v17, s44, v11
	s_delay_alu instid0(VALU_DEP_2) | instskip(NEXT) | instid1(VALU_DEP_2)
	v_sub_co_u32 v5, vcc_lo, v5, v15
	v_add3_u32 v13, v16, v17, v13
	s_delay_alu instid0(VALU_DEP_1) | instskip(SKIP_2) | instid1(VALU_DEP_2)
	v_sub_nc_u32_e32 v16, v7, v13
	s_wait_alu 0xfffd
	v_sub_co_ci_u32_e64 v7, null, v7, v13, vcc_lo
	v_subrev_co_ci_u32_e64 v15, null, s45, v16, vcc_lo
	v_add_co_u32 v16, s2, v9, 2
	s_wait_alu 0xf1ff
	v_add_co_ci_u32_e64 v17, null, 0, v11, s2
	v_sub_co_u32 v18, s2, v5, s44
	s_wait_alu 0xf1ff
	v_subrev_co_ci_u32_e64 v15, null, 0, v15, s2
	s_delay_alu instid0(VALU_DEP_2) | instskip(SKIP_2) | instid1(VALU_DEP_3)
	v_cmp_le_u32_e32 vcc_lo, s44, v18
	s_wait_alu 0xfffd
	v_cndmask_b32_e64 v13, 0, -1, vcc_lo
	v_cmp_le_u32_e32 vcc_lo, s45, v15
	s_wait_alu 0xfffd
	v_cndmask_b32_e64 v18, 0, -1, vcc_lo
	;; [unrolled: 3-line block ×4, first 2 shown]
	v_cmp_eq_u32_e32 vcc_lo, s45, v15
	s_wait_alu 0xfffd
	v_cndmask_b32_e32 v13, v18, v13, vcc_lo
	v_add_co_u32 v15, vcc_lo, v9, 1
	s_wait_alu 0xfffd
	v_add_co_ci_u32_e64 v18, null, 0, v11, vcc_lo
	v_cmp_eq_u32_e32 vcc_lo, s45, v7
	s_wait_alu 0xfffd
	v_cndmask_b32_e32 v5, v19, v5, vcc_lo
	v_cmp_ne_u32_e32 vcc_lo, 0, v13
	s_delay_alu instid0(VALU_DEP_2) | instskip(SKIP_4) | instid1(VALU_DEP_2)
	v_cmp_ne_u32_e64 s2, 0, v5
	s_wait_alu 0xfffd
	v_cndmask_b32_e32 v5, v15, v16, vcc_lo
	v_cndmask_b32_e32 v7, v18, v17, vcc_lo
	s_wait_alu 0xf1ff
	v_cndmask_b32_e64 v5, v9, v5, s2
	s_delay_alu instid0(VALU_DEP_2) | instskip(NEXT) | instid1(VALU_DEP_2)
	v_cndmask_b32_e64 v7, v11, v7, s2
	v_xor_b32_e32 v5, v5, v3
	s_delay_alu instid0(VALU_DEP_2) | instskip(NEXT) | instid1(VALU_DEP_2)
	v_xor_b32_e32 v7, v7, v3
	v_sub_co_u32 v16, vcc_lo, v5, v3
	s_wait_alu 0xfffd
	s_delay_alu instid0(VALU_DEP_2)
	v_sub_co_ci_u32_e64 v17, null, v7, v3, vcc_lo
.LBB100_40:                             ;   in Loop: Header=BB100_22 Depth=2
	s_wait_alu 0xfffe
	s_and_not1_saveexec_b32 s2, s27
	s_cbranch_execz .LBB100_42
; %bb.41:                               ;   in Loop: Header=BB100_22 Depth=2
	v_cvt_f32_u32_e32 v3, s38
	s_sub_co_i32 s18, 0, s38
	v_mov_b32_e32 v17, v2
	s_delay_alu instid0(VALU_DEP_2) | instskip(NEXT) | instid1(TRANS32_DEP_1)
	v_rcp_iflag_f32_e32 v3, v3
	v_mul_f32_e32 v3, 0x4f7ffffe, v3
	s_delay_alu instid0(VALU_DEP_1) | instskip(SKIP_1) | instid1(VALU_DEP_1)
	v_cvt_u32_f32_e32 v3, v3
	s_wait_alu 0xfffe
	v_mul_lo_u32 v5, s18, v3
	s_delay_alu instid0(VALU_DEP_1) | instskip(NEXT) | instid1(VALU_DEP_1)
	v_mul_hi_u32 v5, v3, v5
	v_add_nc_u32_e32 v3, v3, v5
	s_delay_alu instid0(VALU_DEP_1) | instskip(NEXT) | instid1(VALU_DEP_1)
	v_mul_hi_u32 v3, v14, v3
	v_mul_lo_u32 v5, v3, s38
	v_add_nc_u32_e32 v7, 1, v3
	s_delay_alu instid0(VALU_DEP_2) | instskip(NEXT) | instid1(VALU_DEP_1)
	v_sub_nc_u32_e32 v5, v14, v5
	v_cmp_le_u32_e32 vcc_lo, s38, v5
	v_subrev_nc_u32_e32 v9, s38, v5
	s_wait_alu 0xfffd
	v_cndmask_b32_e32 v3, v3, v7, vcc_lo
	s_delay_alu instid0(VALU_DEP_1) | instskip(NEXT) | instid1(VALU_DEP_3)
	v_add_nc_u32_e32 v7, 1, v3
	v_cndmask_b32_e32 v5, v5, v9, vcc_lo
	s_delay_alu instid0(VALU_DEP_1) | instskip(SKIP_1) | instid1(VALU_DEP_3)
	v_cmp_le_u32_e32 vcc_lo, s38, v5
	s_wait_alu 0xfffd
	v_cndmask_b32_e32 v16, v3, v7, vcc_lo
.LBB100_42:                             ;   in Loop: Header=BB100_22 Depth=2
	s_wait_alu 0xfffe
	s_or_b32 exec_lo, exec_lo, s2
	s_add_co_i32 s18, s26, 2
	s_add_nc_u64 s[42:43], s[0:1], s[42:43]
	s_wait_alu 0xfffe
	s_lshl_b64 s[44:45], s[18:19], 2
                                        ; implicit-def: $vgpr18_vgpr19
	s_mov_b32 s2, exec_lo
	s_wait_alu 0xfffe
	s_add_nc_u64 s[40:41], s[10:11], s[44:45]
	s_clause 0x1
	s_load_b32 s37, s[42:43], 0x6c
	s_load_b32 s40, s[40:41], 0x8
	s_wait_kmcnt 0x0
	s_ashr_i32 s41, s40, 31
	s_wait_alu 0xfffe
	v_or_b32_e32 v3, s41, v17
	s_delay_alu instid0(VALU_DEP_1)
	v_cmpx_ne_u64_e32 0, v[2:3]
	s_xor_b32 s27, exec_lo, s2
	s_cbranch_execz .LBB100_44
; %bb.43:                               ;   in Loop: Header=BB100_22 Depth=2
	s_ashr_i32 s42, s41, 31
	v_ashrrev_i32_e32 v3, 31, v17
	s_wait_alu 0xfffe
	s_mov_b32 s43, s42
	s_wait_alu 0xfffe
	s_add_nc_u64 s[46:47], s[40:41], s[42:43]
	v_add_co_u32 v5, vcc_lo, v16, v3
	s_wait_alu 0xfffe
	s_xor_b64 s[46:47], s[46:47], s[42:43]
	s_wait_alu 0xfffd
	v_add_co_ci_u32_e64 v7, null, v17, v3, vcc_lo
	s_wait_alu 0xfffe
	s_cvt_f32_u32 s2, s46
	s_cvt_f32_u32 s18, s47
	s_sub_nc_u64 s[50:51], 0, s[46:47]
	v_xor_b32_e32 v5, v5, v3
	v_xor_b32_e32 v7, v7, v3
	s_wait_alu 0xfffe
	s_fmamk_f32 s2, s18, 0x4f800000, s2
	v_xor_b32_e32 v3, s42, v3
	s_wait_alu 0xfffe
	s_delay_alu instid0(SALU_CYCLE_1) | instskip(NEXT) | instid1(TRANS32_DEP_1)
	v_s_rcp_f32 s2, s2
	s_mul_f32 s2, s2, 0x5f7ffffc
	s_wait_alu 0xfffe
	s_delay_alu instid0(SALU_CYCLE_2) | instskip(SKIP_1) | instid1(SALU_CYCLE_2)
	s_mul_f32 s18, s2, 0x2f800000
	s_wait_alu 0xfffe
	s_trunc_f32 s18, s18
	s_wait_alu 0xfffe
	s_delay_alu instid0(SALU_CYCLE_2) | instskip(SKIP_2) | instid1(SALU_CYCLE_1)
	s_fmamk_f32 s2, s18, 0xcf800000, s2
	s_cvt_u32_f32 s49, s18
	s_wait_alu 0xfffe
	s_cvt_u32_f32 s48, s2
	s_wait_alu 0xfffe
	s_delay_alu instid0(SALU_CYCLE_2) | instskip(NEXT) | instid1(SALU_CYCLE_1)
	s_mul_u64 s[58:59], s[50:51], s[48:49]
	s_mul_hi_u32 s61, s48, s59
	s_mul_i32 s60, s48, s59
	s_mul_hi_u32 s18, s48, s58
	s_mul_i32 s39, s49, s58
	s_wait_alu 0xfffe
	s_add_nc_u64 s[60:61], s[18:19], s[60:61]
	s_mul_hi_u32 s2, s49, s58
	s_mul_hi_u32 s41, s49, s59
	s_add_co_u32 s18, s60, s39
	s_wait_alu 0xfffe
	s_add_co_ci_u32 s18, s61, s2
	s_mul_i32 s58, s49, s59
	s_add_co_ci_u32 s59, s41, 0
	s_wait_alu 0xfffe
	s_add_nc_u64 s[58:59], s[18:19], s[58:59]
	s_delay_alu instid0(SALU_CYCLE_1)
	s_add_co_u32 s48, s48, s58
	s_cselect_b32 s2, -1, 0
	s_wait_alu 0xfffe
	s_cmp_lg_u32 s2, 0
	s_add_co_ci_u32 s49, s49, s59
	s_wait_alu 0xfffe
	s_mul_u64 s[50:51], s[50:51], s[48:49]
	s_wait_alu 0xfffe
	s_mul_hi_u32 s59, s48, s51
	s_mul_i32 s58, s48, s51
	s_mul_hi_u32 s18, s48, s50
	s_mul_i32 s39, s49, s50
	s_wait_alu 0xfffe
	s_add_nc_u64 s[58:59], s[18:19], s[58:59]
	s_mul_hi_u32 s2, s49, s50
	s_mul_hi_u32 s41, s49, s51
	s_add_co_u32 s18, s58, s39
	s_wait_alu 0xfffe
	s_add_co_ci_u32 s18, s59, s2
	s_mul_i32 s50, s49, s51
	s_add_co_ci_u32 s51, s41, 0
	s_wait_alu 0xfffe
	s_add_nc_u64 s[50:51], s[18:19], s[50:51]
	s_wait_alu 0xfffe
	s_add_co_u32 s2, s48, s50
	s_cselect_b32 s18, -1, 0
	s_wait_alu 0xfffe
	v_mul_hi_u32 v9, v5, s2
	s_cmp_lg_u32 s18, 0
	v_mad_co_u64_u32 v[19:20], null, v7, s2, 0
	s_add_co_ci_u32 s18, s49, s51
	s_wait_alu 0xfffe
	v_mad_co_u64_u32 v[17:18], null, v5, s18, 0
	v_mad_co_u64_u32 v[21:22], null, v7, s18, 0
	s_delay_alu instid0(VALU_DEP_2) | instskip(SKIP_1) | instid1(VALU_DEP_3)
	v_add_co_u32 v9, vcc_lo, v9, v17
	s_wait_alu 0xfffd
	v_add_co_ci_u32_e64 v11, null, 0, v18, vcc_lo
	s_delay_alu instid0(VALU_DEP_2) | instskip(SKIP_1) | instid1(VALU_DEP_2)
	v_add_co_u32 v9, vcc_lo, v9, v19
	s_wait_alu 0xfffd
	v_add_co_ci_u32_e32 v9, vcc_lo, v11, v20, vcc_lo
	s_wait_alu 0xfffd
	v_add_co_ci_u32_e32 v11, vcc_lo, 0, v22, vcc_lo
	s_delay_alu instid0(VALU_DEP_2) | instskip(SKIP_1) | instid1(VALU_DEP_2)
	v_add_co_u32 v9, vcc_lo, v9, v21
	s_wait_alu 0xfffd
	v_add_co_ci_u32_e64 v11, null, 0, v11, vcc_lo
	s_delay_alu instid0(VALU_DEP_2) | instskip(SKIP_1) | instid1(VALU_DEP_3)
	v_mul_lo_u32 v13, s47, v9
	v_mad_co_u64_u32 v[17:18], null, s46, v9, 0
	v_mul_lo_u32 v15, s46, v11
	s_delay_alu instid0(VALU_DEP_2) | instskip(NEXT) | instid1(VALU_DEP_2)
	v_sub_co_u32 v5, vcc_lo, v5, v17
	v_add3_u32 v13, v18, v15, v13
	v_add_co_u32 v17, s2, v9, 2
	s_wait_alu 0xf1ff
	v_add_co_ci_u32_e64 v18, null, 0, v11, s2
	s_delay_alu instid0(VALU_DEP_3) | instskip(SKIP_3) | instid1(VALU_DEP_3)
	v_sub_nc_u32_e32 v15, v7, v13
	v_sub_co_u32 v19, s2, v5, s46
	s_wait_alu 0xfffd
	v_sub_co_ci_u32_e64 v7, null, v7, v13, vcc_lo
	v_subrev_co_ci_u32_e64 v15, null, s47, v15, vcc_lo
	s_delay_alu instid0(VALU_DEP_3) | instskip(SKIP_1) | instid1(VALU_DEP_2)
	v_cmp_le_u32_e32 vcc_lo, s46, v19
	s_wait_alu 0xf1ff
	v_subrev_co_ci_u32_e64 v15, null, 0, v15, s2
	s_wait_alu 0xfffd
	v_cndmask_b32_e64 v13, 0, -1, vcc_lo
	s_delay_alu instid0(VALU_DEP_2)
	v_cmp_le_u32_e32 vcc_lo, s47, v15
	s_wait_alu 0xfffd
	v_cndmask_b32_e64 v19, 0, -1, vcc_lo
	v_cmp_le_u32_e32 vcc_lo, s46, v5
	s_wait_alu 0xfffd
	v_cndmask_b32_e64 v5, 0, -1, vcc_lo
	;; [unrolled: 3-line block ×3, first 2 shown]
	v_cmp_eq_u32_e32 vcc_lo, s47, v15
	s_wait_alu 0xfffd
	v_cndmask_b32_e32 v13, v19, v13, vcc_lo
	v_add_co_u32 v15, vcc_lo, v9, 1
	s_wait_alu 0xfffd
	v_add_co_ci_u32_e64 v19, null, 0, v11, vcc_lo
	v_cmp_eq_u32_e32 vcc_lo, s47, v7
	s_wait_alu 0xfffd
	v_cndmask_b32_e32 v5, v20, v5, vcc_lo
	v_cmp_ne_u32_e32 vcc_lo, 0, v13
	s_delay_alu instid0(VALU_DEP_2) | instskip(SKIP_4) | instid1(VALU_DEP_2)
	v_cmp_ne_u32_e64 s2, 0, v5
	s_wait_alu 0xfffd
	v_cndmask_b32_e32 v5, v15, v17, vcc_lo
	v_cndmask_b32_e32 v7, v19, v18, vcc_lo
	s_wait_alu 0xf1ff
	v_cndmask_b32_e64 v5, v9, v5, s2
	s_delay_alu instid0(VALU_DEP_2) | instskip(NEXT) | instid1(VALU_DEP_2)
	v_cndmask_b32_e64 v7, v11, v7, s2
	v_xor_b32_e32 v5, v5, v3
	s_delay_alu instid0(VALU_DEP_2) | instskip(NEXT) | instid1(VALU_DEP_2)
	v_xor_b32_e32 v7, v7, v3
	v_sub_co_u32 v18, vcc_lo, v5, v3
	s_wait_alu 0xfffd
	s_delay_alu instid0(VALU_DEP_2)
	v_sub_co_ci_u32_e64 v19, null, v7, v3, vcc_lo
.LBB100_44:                             ;   in Loop: Header=BB100_22 Depth=2
	s_wait_alu 0xfffe
	s_and_not1_saveexec_b32 s2, s27
	s_cbranch_execz .LBB100_46
; %bb.45:                               ;   in Loop: Header=BB100_22 Depth=2
	v_cvt_f32_u32_e32 v3, s40
	s_sub_co_i32 s18, 0, s40
	v_mov_b32_e32 v19, v2
	s_delay_alu instid0(VALU_DEP_2) | instskip(NEXT) | instid1(TRANS32_DEP_1)
	v_rcp_iflag_f32_e32 v3, v3
	v_mul_f32_e32 v3, 0x4f7ffffe, v3
	s_delay_alu instid0(VALU_DEP_1) | instskip(SKIP_1) | instid1(VALU_DEP_1)
	v_cvt_u32_f32_e32 v3, v3
	s_wait_alu 0xfffe
	v_mul_lo_u32 v5, s18, v3
	s_delay_alu instid0(VALU_DEP_1) | instskip(NEXT) | instid1(VALU_DEP_1)
	v_mul_hi_u32 v5, v3, v5
	v_add_nc_u32_e32 v3, v3, v5
	s_delay_alu instid0(VALU_DEP_1) | instskip(NEXT) | instid1(VALU_DEP_1)
	v_mul_hi_u32 v3, v16, v3
	v_mul_lo_u32 v5, v3, s40
	v_add_nc_u32_e32 v7, 1, v3
	s_delay_alu instid0(VALU_DEP_2) | instskip(NEXT) | instid1(VALU_DEP_1)
	v_sub_nc_u32_e32 v5, v16, v5
	v_cmp_le_u32_e32 vcc_lo, s40, v5
	v_subrev_nc_u32_e32 v9, s40, v5
	s_wait_alu 0xfffd
	v_cndmask_b32_e32 v3, v3, v7, vcc_lo
	s_delay_alu instid0(VALU_DEP_1) | instskip(NEXT) | instid1(VALU_DEP_3)
	v_add_nc_u32_e32 v7, 1, v3
	v_cndmask_b32_e32 v5, v5, v9, vcc_lo
	s_delay_alu instid0(VALU_DEP_1) | instskip(SKIP_1) | instid1(VALU_DEP_3)
	v_cmp_le_u32_e32 vcc_lo, s40, v5
	s_wait_alu 0xfffd
	v_cndmask_b32_e32 v18, v3, v7, vcc_lo
.LBB100_46:                             ;   in Loop: Header=BB100_22 Depth=2
	s_wait_alu 0xfffe
	s_or_b32 exec_lo, exec_lo, s2
	s_add_co_i32 s18, s26, 1
	s_add_nc_u64 s[44:45], s[0:1], s[44:45]
	s_wait_alu 0xfffe
	s_lshl_b64 s[48:49], s[18:19], 2
                                        ; implicit-def: $vgpr20_vgpr21
	s_mov_b32 s2, exec_lo
	s_wait_alu 0xfffe
	s_add_nc_u64 s[42:43], s[10:11], s[48:49]
	s_clause 0x1
	s_load_b32 s39, s[44:45], 0x6c
	s_load_b32 s42, s[42:43], 0x8
	s_wait_kmcnt 0x0
	s_ashr_i32 s43, s42, 31
	s_wait_alu 0xfffe
	v_or_b32_e32 v3, s43, v19
	s_delay_alu instid0(VALU_DEP_1)
	v_cmpx_ne_u64_e32 0, v[2:3]
	s_xor_b32 s27, exec_lo, s2
	s_cbranch_execz .LBB100_48
; %bb.47:                               ;   in Loop: Header=BB100_22 Depth=2
	s_ashr_i32 s44, s43, 31
	v_ashrrev_i32_e32 v3, 31, v19
	s_wait_alu 0xfffe
	s_mov_b32 s45, s44
	s_wait_alu 0xfffe
	s_add_nc_u64 s[46:47], s[42:43], s[44:45]
	v_add_co_u32 v5, vcc_lo, v18, v3
	s_wait_alu 0xfffe
	s_xor_b64 s[46:47], s[46:47], s[44:45]
	s_wait_alu 0xfffd
	v_add_co_ci_u32_e64 v7, null, v19, v3, vcc_lo
	s_wait_alu 0xfffe
	s_cvt_f32_u32 s2, s46
	s_cvt_f32_u32 s18, s47
	s_sub_nc_u64 s[58:59], 0, s[46:47]
	v_xor_b32_e32 v5, v5, v3
	v_xor_b32_e32 v7, v7, v3
	s_wait_alu 0xfffe
	s_fmamk_f32 s2, s18, 0x4f800000, s2
	v_xor_b32_e32 v3, s44, v3
	s_wait_alu 0xfffe
	s_delay_alu instid0(SALU_CYCLE_1) | instskip(NEXT) | instid1(TRANS32_DEP_1)
	v_s_rcp_f32 s2, s2
	s_mul_f32 s2, s2, 0x5f7ffffc
	s_wait_alu 0xfffe
	s_delay_alu instid0(SALU_CYCLE_2) | instskip(SKIP_1) | instid1(SALU_CYCLE_2)
	s_mul_f32 s18, s2, 0x2f800000
	s_wait_alu 0xfffe
	s_trunc_f32 s18, s18
	s_wait_alu 0xfffe
	s_delay_alu instid0(SALU_CYCLE_2) | instskip(SKIP_2) | instid1(SALU_CYCLE_1)
	s_fmamk_f32 s2, s18, 0xcf800000, s2
	s_cvt_u32_f32 s51, s18
	s_wait_alu 0xfffe
	s_cvt_u32_f32 s50, s2
	s_wait_alu 0xfffe
	s_delay_alu instid0(SALU_CYCLE_2) | instskip(NEXT) | instid1(SALU_CYCLE_1)
	s_mul_u64 s[60:61], s[58:59], s[50:51]
	s_mul_hi_u32 s63, s50, s61
	s_mul_i32 s62, s50, s61
	s_mul_hi_u32 s18, s50, s60
	s_mul_i32 s41, s51, s60
	s_wait_alu 0xfffe
	s_add_nc_u64 s[62:63], s[18:19], s[62:63]
	s_mul_hi_u32 s2, s51, s60
	s_mul_hi_u32 s43, s51, s61
	s_add_co_u32 s18, s62, s41
	s_wait_alu 0xfffe
	s_add_co_ci_u32 s18, s63, s2
	s_mul_i32 s60, s51, s61
	s_add_co_ci_u32 s61, s43, 0
	s_wait_alu 0xfffe
	s_add_nc_u64 s[60:61], s[18:19], s[60:61]
	s_delay_alu instid0(SALU_CYCLE_1)
	s_add_co_u32 s50, s50, s60
	s_cselect_b32 s2, -1, 0
	s_wait_alu 0xfffe
	s_cmp_lg_u32 s2, 0
	s_add_co_ci_u32 s51, s51, s61
	s_wait_alu 0xfffe
	s_mul_u64 s[58:59], s[58:59], s[50:51]
	s_delay_alu instid0(SALU_CYCLE_1)
	s_mul_hi_u32 s61, s50, s59
	s_mul_i32 s60, s50, s59
	s_mul_hi_u32 s18, s50, s58
	s_mul_i32 s41, s51, s58
	s_wait_alu 0xfffe
	s_add_nc_u64 s[60:61], s[18:19], s[60:61]
	s_mul_hi_u32 s2, s51, s58
	s_mul_hi_u32 s43, s51, s59
	s_add_co_u32 s18, s60, s41
	s_wait_alu 0xfffe
	s_add_co_ci_u32 s18, s61, s2
	s_mul_i32 s58, s51, s59
	s_add_co_ci_u32 s59, s43, 0
	s_wait_alu 0xfffe
	s_add_nc_u64 s[58:59], s[18:19], s[58:59]
	s_delay_alu instid0(SALU_CYCLE_1)
	s_add_co_u32 s2, s50, s58
	s_cselect_b32 s18, -1, 0
	s_wait_alu 0xfffe
	v_mul_hi_u32 v9, v5, s2
	s_cmp_lg_u32 s18, 0
	v_mad_co_u64_u32 v[21:22], null, v7, s2, 0
	s_add_co_ci_u32 s18, s51, s59
	s_wait_alu 0xfffe
	v_mad_co_u64_u32 v[19:20], null, v5, s18, 0
	v_mad_co_u64_u32 v[28:29], null, v7, s18, 0
	s_delay_alu instid0(VALU_DEP_2) | instskip(SKIP_1) | instid1(VALU_DEP_3)
	v_add_co_u32 v9, vcc_lo, v9, v19
	s_wait_alu 0xfffd
	v_add_co_ci_u32_e64 v11, null, 0, v20, vcc_lo
	s_delay_alu instid0(VALU_DEP_2) | instskip(SKIP_1) | instid1(VALU_DEP_2)
	v_add_co_u32 v9, vcc_lo, v9, v21
	s_wait_alu 0xfffd
	v_add_co_ci_u32_e32 v9, vcc_lo, v11, v22, vcc_lo
	s_wait_alu 0xfffd
	v_add_co_ci_u32_e32 v11, vcc_lo, 0, v29, vcc_lo
	s_delay_alu instid0(VALU_DEP_2) | instskip(SKIP_1) | instid1(VALU_DEP_2)
	v_add_co_u32 v9, vcc_lo, v9, v28
	s_wait_alu 0xfffd
	v_add_co_ci_u32_e64 v11, null, 0, v11, vcc_lo
	s_delay_alu instid0(VALU_DEP_2) | instskip(SKIP_1) | instid1(VALU_DEP_3)
	v_mul_lo_u32 v13, s47, v9
	v_mad_co_u64_u32 v[19:20], null, s46, v9, 0
	v_mul_lo_u32 v15, s46, v11
	v_add_co_u32 v17, s2, v9, 2
	s_delay_alu instid0(VALU_DEP_3) | instskip(NEXT) | instid1(VALU_DEP_3)
	v_sub_co_u32 v5, vcc_lo, v5, v19
	v_add3_u32 v13, v20, v15, v13
	s_wait_alu 0xf1ff
	v_add_co_ci_u32_e64 v19, null, 0, v11, s2
	s_delay_alu instid0(VALU_DEP_3) | instskip(NEXT) | instid1(VALU_DEP_3)
	v_sub_co_u32 v20, s2, v5, s46
	v_sub_nc_u32_e32 v15, v7, v13
	s_wait_alu 0xfffd
	v_sub_co_ci_u32_e64 v7, null, v7, v13, vcc_lo
	s_delay_alu instid0(VALU_DEP_2) | instskip(SKIP_2) | instid1(VALU_DEP_2)
	v_subrev_co_ci_u32_e64 v15, null, s47, v15, vcc_lo
	v_cmp_le_u32_e32 vcc_lo, s46, v20
	s_wait_alu 0xf1ff
	v_subrev_co_ci_u32_e64 v15, null, 0, v15, s2
	s_wait_alu 0xfffd
	v_cndmask_b32_e64 v13, 0, -1, vcc_lo
	s_delay_alu instid0(VALU_DEP_2)
	v_cmp_le_u32_e32 vcc_lo, s47, v15
	s_wait_alu 0xfffd
	v_cndmask_b32_e64 v20, 0, -1, vcc_lo
	v_cmp_le_u32_e32 vcc_lo, s46, v5
	s_wait_alu 0xfffd
	v_cndmask_b32_e64 v5, 0, -1, vcc_lo
	;; [unrolled: 3-line block ×3, first 2 shown]
	v_cmp_eq_u32_e32 vcc_lo, s47, v15
	s_wait_alu 0xfffd
	v_cndmask_b32_e32 v13, v20, v13, vcc_lo
	v_add_co_u32 v15, vcc_lo, v9, 1
	s_wait_alu 0xfffd
	v_add_co_ci_u32_e64 v20, null, 0, v11, vcc_lo
	v_cmp_eq_u32_e32 vcc_lo, s47, v7
	s_wait_alu 0xfffd
	v_cndmask_b32_e32 v5, v21, v5, vcc_lo
	v_cmp_ne_u32_e32 vcc_lo, 0, v13
	s_delay_alu instid0(VALU_DEP_2) | instskip(SKIP_4) | instid1(VALU_DEP_2)
	v_cmp_ne_u32_e64 s2, 0, v5
	s_wait_alu 0xfffd
	v_cndmask_b32_e32 v5, v15, v17, vcc_lo
	v_cndmask_b32_e32 v7, v20, v19, vcc_lo
	s_wait_alu 0xf1ff
	v_cndmask_b32_e64 v5, v9, v5, s2
	s_delay_alu instid0(VALU_DEP_2) | instskip(NEXT) | instid1(VALU_DEP_2)
	v_cndmask_b32_e64 v7, v11, v7, s2
	v_xor_b32_e32 v5, v5, v3
	s_delay_alu instid0(VALU_DEP_2) | instskip(NEXT) | instid1(VALU_DEP_2)
	v_xor_b32_e32 v7, v7, v3
	v_sub_co_u32 v20, vcc_lo, v5, v3
	s_wait_alu 0xfffd
	s_delay_alu instid0(VALU_DEP_2)
	v_sub_co_ci_u32_e64 v21, null, v7, v3, vcc_lo
.LBB100_48:                             ;   in Loop: Header=BB100_22 Depth=2
	s_wait_alu 0xfffe
	s_and_not1_saveexec_b32 s2, s27
	s_cbranch_execz .LBB100_50
; %bb.49:                               ;   in Loop: Header=BB100_22 Depth=2
	v_cvt_f32_u32_e32 v3, s42
	s_sub_co_i32 s18, 0, s42
	v_mov_b32_e32 v21, v2
	s_delay_alu instid0(VALU_DEP_2) | instskip(NEXT) | instid1(TRANS32_DEP_1)
	v_rcp_iflag_f32_e32 v3, v3
	v_mul_f32_e32 v3, 0x4f7ffffe, v3
	s_delay_alu instid0(VALU_DEP_1) | instskip(SKIP_1) | instid1(VALU_DEP_1)
	v_cvt_u32_f32_e32 v3, v3
	s_wait_alu 0xfffe
	v_mul_lo_u32 v5, s18, v3
	s_delay_alu instid0(VALU_DEP_1) | instskip(NEXT) | instid1(VALU_DEP_1)
	v_mul_hi_u32 v5, v3, v5
	v_add_nc_u32_e32 v3, v3, v5
	s_delay_alu instid0(VALU_DEP_1) | instskip(NEXT) | instid1(VALU_DEP_1)
	v_mul_hi_u32 v3, v18, v3
	v_mul_lo_u32 v5, v3, s42
	v_add_nc_u32_e32 v7, 1, v3
	s_delay_alu instid0(VALU_DEP_2) | instskip(NEXT) | instid1(VALU_DEP_1)
	v_sub_nc_u32_e32 v5, v18, v5
	v_cmp_le_u32_e32 vcc_lo, s42, v5
	v_subrev_nc_u32_e32 v9, s42, v5
	s_wait_alu 0xfffd
	v_cndmask_b32_e32 v3, v3, v7, vcc_lo
	s_delay_alu instid0(VALU_DEP_1) | instskip(NEXT) | instid1(VALU_DEP_3)
	v_add_nc_u32_e32 v7, 1, v3
	v_cndmask_b32_e32 v5, v5, v9, vcc_lo
	s_delay_alu instid0(VALU_DEP_1) | instskip(SKIP_1) | instid1(VALU_DEP_3)
	v_cmp_le_u32_e32 vcc_lo, s42, v5
	s_wait_alu 0xfffd
	v_cndmask_b32_e32 v20, v3, v7, vcc_lo
.LBB100_50:                             ;   in Loop: Header=BB100_22 Depth=2
	s_wait_alu 0xfffe
	s_or_b32 exec_lo, exec_lo, s2
	s_mov_b32 s27, s19
	s_add_nc_u64 s[48:49], s[0:1], s[48:49]
	s_wait_alu 0xfffe
	s_lshl_b64 s[46:47], s[26:27], 2
                                        ; implicit-def: $vgpr22_vgpr23
	s_mov_b32 s2, exec_lo
	s_wait_alu 0xfffe
	s_add_nc_u64 s[44:45], s[10:11], s[46:47]
	s_clause 0x1
	s_load_b32 s27, s[48:49], 0x6c
	s_load_b32 s44, s[44:45], 0x8
	s_wait_kmcnt 0x0
	s_ashr_i32 s45, s44, 31
	s_wait_alu 0xfffe
	v_or_b32_e32 v3, s45, v21
	s_delay_alu instid0(VALU_DEP_1)
	v_cmpx_ne_u64_e32 0, v[2:3]
	s_xor_b32 s41, exec_lo, s2
	s_cbranch_execz .LBB100_52
; %bb.51:                               ;   in Loop: Header=BB100_22 Depth=2
	s_ashr_i32 s48, s45, 31
	v_ashrrev_i32_e32 v3, 31, v21
	s_wait_alu 0xfffe
	s_mov_b32 s49, s48
	s_wait_alu 0xfffe
	s_add_nc_u64 s[50:51], s[44:45], s[48:49]
	v_add_co_u32 v5, vcc_lo, v20, v3
	s_wait_alu 0xfffe
	s_xor_b64 s[50:51], s[50:51], s[48:49]
	s_wait_alu 0xfffd
	v_add_co_ci_u32_e64 v7, null, v21, v3, vcc_lo
	s_wait_alu 0xfffe
	s_cvt_f32_u32 s2, s50
	s_cvt_f32_u32 s18, s51
	s_sub_nc_u64 s[60:61], 0, s[50:51]
	v_xor_b32_e32 v5, v5, v3
	v_xor_b32_e32 v7, v7, v3
	s_wait_alu 0xfffe
	s_fmamk_f32 s2, s18, 0x4f800000, s2
	v_xor_b32_e32 v3, s48, v3
	s_wait_alu 0xfffe
	s_delay_alu instid0(SALU_CYCLE_1) | instskip(NEXT) | instid1(TRANS32_DEP_1)
	v_s_rcp_f32 s2, s2
	s_mul_f32 s2, s2, 0x5f7ffffc
	s_wait_alu 0xfffe
	s_delay_alu instid0(SALU_CYCLE_2) | instskip(SKIP_1) | instid1(SALU_CYCLE_2)
	s_mul_f32 s18, s2, 0x2f800000
	s_wait_alu 0xfffe
	s_trunc_f32 s18, s18
	s_wait_alu 0xfffe
	s_delay_alu instid0(SALU_CYCLE_2) | instskip(SKIP_2) | instid1(SALU_CYCLE_1)
	s_fmamk_f32 s2, s18, 0xcf800000, s2
	s_cvt_u32_f32 s59, s18
	s_wait_alu 0xfffe
	s_cvt_u32_f32 s58, s2
	s_delay_alu instid0(SALU_CYCLE_3) | instskip(NEXT) | instid1(SALU_CYCLE_1)
	s_mul_u64 s[62:63], s[60:61], s[58:59]
	s_mul_hi_u32 s65, s58, s63
	s_mul_i32 s64, s58, s63
	s_mul_hi_u32 s18, s58, s62
	s_mul_i32 s43, s59, s62
	s_wait_alu 0xfffe
	s_add_nc_u64 s[64:65], s[18:19], s[64:65]
	s_mul_hi_u32 s2, s59, s62
	s_mul_hi_u32 s45, s59, s63
	s_add_co_u32 s18, s64, s43
	s_wait_alu 0xfffe
	s_add_co_ci_u32 s18, s65, s2
	s_mul_i32 s62, s59, s63
	s_add_co_ci_u32 s63, s45, 0
	s_wait_alu 0xfffe
	s_add_nc_u64 s[62:63], s[18:19], s[62:63]
	s_delay_alu instid0(SALU_CYCLE_1) | instskip(SKIP_4) | instid1(SALU_CYCLE_1)
	s_add_co_u32 s58, s58, s62
	s_cselect_b32 s2, -1, 0
	s_wait_alu 0xfffe
	s_cmp_lg_u32 s2, 0
	s_add_co_ci_u32 s59, s59, s63
	s_mul_u64 s[60:61], s[60:61], s[58:59]
	s_delay_alu instid0(SALU_CYCLE_1)
	s_mul_hi_u32 s63, s58, s61
	s_mul_i32 s62, s58, s61
	s_mul_hi_u32 s18, s58, s60
	s_mul_i32 s43, s59, s60
	s_wait_alu 0xfffe
	s_add_nc_u64 s[62:63], s[18:19], s[62:63]
	s_mul_hi_u32 s2, s59, s60
	s_mul_hi_u32 s45, s59, s61
	s_add_co_u32 s18, s62, s43
	s_wait_alu 0xfffe
	s_add_co_ci_u32 s18, s63, s2
	s_mul_i32 s60, s59, s61
	s_add_co_ci_u32 s61, s45, 0
	s_wait_alu 0xfffe
	s_add_nc_u64 s[60:61], s[18:19], s[60:61]
	s_delay_alu instid0(SALU_CYCLE_1)
	s_add_co_u32 s2, s58, s60
	s_cselect_b32 s18, -1, 0
	s_wait_alu 0xfffe
	v_mul_hi_u32 v9, v5, s2
	s_cmp_lg_u32 s18, 0
	v_mad_co_u64_u32 v[28:29], null, v7, s2, 0
	s_add_co_ci_u32 s18, s59, s61
	s_wait_alu 0xfffe
	v_mad_co_u64_u32 v[21:22], null, v5, s18, 0
	v_mad_co_u64_u32 v[30:31], null, v7, s18, 0
	s_delay_alu instid0(VALU_DEP_2) | instskip(SKIP_1) | instid1(VALU_DEP_3)
	v_add_co_u32 v9, vcc_lo, v9, v21
	s_wait_alu 0xfffd
	v_add_co_ci_u32_e64 v11, null, 0, v22, vcc_lo
	s_delay_alu instid0(VALU_DEP_2) | instskip(SKIP_1) | instid1(VALU_DEP_2)
	v_add_co_u32 v9, vcc_lo, v9, v28
	s_wait_alu 0xfffd
	v_add_co_ci_u32_e32 v9, vcc_lo, v11, v29, vcc_lo
	s_wait_alu 0xfffd
	v_add_co_ci_u32_e32 v11, vcc_lo, 0, v31, vcc_lo
	s_delay_alu instid0(VALU_DEP_2) | instskip(SKIP_1) | instid1(VALU_DEP_2)
	v_add_co_u32 v9, vcc_lo, v9, v30
	s_wait_alu 0xfffd
	v_add_co_ci_u32_e64 v11, null, 0, v11, vcc_lo
	s_delay_alu instid0(VALU_DEP_2) | instskip(SKIP_1) | instid1(VALU_DEP_3)
	v_mul_lo_u32 v13, s51, v9
	v_mad_co_u64_u32 v[21:22], null, s50, v9, 0
	v_mul_lo_u32 v15, s50, v11
	v_add_co_u32 v17, s2, v9, 2
	s_wait_alu 0xf1ff
	v_add_co_ci_u32_e64 v19, null, 0, v11, s2
	s_delay_alu instid0(VALU_DEP_4) | instskip(NEXT) | instid1(VALU_DEP_4)
	v_sub_co_u32 v5, vcc_lo, v5, v21
	v_add3_u32 v13, v22, v15, v13
	s_delay_alu instid0(VALU_DEP_2) | instskip(NEXT) | instid1(VALU_DEP_2)
	v_sub_co_u32 v21, s2, v5, s50
	v_sub_nc_u32_e32 v15, v7, v13
	s_wait_alu 0xfffd
	v_sub_co_ci_u32_e64 v7, null, v7, v13, vcc_lo
	s_delay_alu instid0(VALU_DEP_2) | instskip(SKIP_2) | instid1(VALU_DEP_2)
	v_subrev_co_ci_u32_e64 v15, null, s51, v15, vcc_lo
	v_cmp_le_u32_e32 vcc_lo, s50, v21
	s_wait_alu 0xf1ff
	v_subrev_co_ci_u32_e64 v15, null, 0, v15, s2
	s_wait_alu 0xfffd
	v_cndmask_b32_e64 v13, 0, -1, vcc_lo
	s_delay_alu instid0(VALU_DEP_2)
	v_cmp_le_u32_e32 vcc_lo, s51, v15
	s_wait_alu 0xfffd
	v_cndmask_b32_e64 v21, 0, -1, vcc_lo
	v_cmp_le_u32_e32 vcc_lo, s50, v5
	s_wait_alu 0xfffd
	v_cndmask_b32_e64 v5, 0, -1, vcc_lo
	;; [unrolled: 3-line block ×3, first 2 shown]
	v_cmp_eq_u32_e32 vcc_lo, s51, v15
	s_wait_alu 0xfffd
	v_cndmask_b32_e32 v13, v21, v13, vcc_lo
	v_add_co_u32 v15, vcc_lo, v9, 1
	s_wait_alu 0xfffd
	v_add_co_ci_u32_e64 v21, null, 0, v11, vcc_lo
	v_cmp_eq_u32_e32 vcc_lo, s51, v7
	s_wait_alu 0xfffd
	v_cndmask_b32_e32 v5, v22, v5, vcc_lo
	v_cmp_ne_u32_e32 vcc_lo, 0, v13
	s_delay_alu instid0(VALU_DEP_2) | instskip(SKIP_4) | instid1(VALU_DEP_2)
	v_cmp_ne_u32_e64 s2, 0, v5
	s_wait_alu 0xfffd
	v_cndmask_b32_e32 v5, v15, v17, vcc_lo
	v_cndmask_b32_e32 v7, v21, v19, vcc_lo
	s_wait_alu 0xf1ff
	v_cndmask_b32_e64 v5, v9, v5, s2
	s_delay_alu instid0(VALU_DEP_2) | instskip(NEXT) | instid1(VALU_DEP_2)
	v_cndmask_b32_e64 v7, v11, v7, s2
	v_xor_b32_e32 v5, v5, v3
	s_delay_alu instid0(VALU_DEP_2) | instskip(NEXT) | instid1(VALU_DEP_2)
	v_xor_b32_e32 v7, v7, v3
	v_sub_co_u32 v22, vcc_lo, v5, v3
	s_wait_alu 0xfffd
	s_delay_alu instid0(VALU_DEP_2)
	v_sub_co_ci_u32_e64 v23, null, v7, v3, vcc_lo
.LBB100_52:                             ;   in Loop: Header=BB100_22 Depth=2
	s_wait_alu 0xfffe
	s_and_not1_saveexec_b32 s2, s41
	s_cbranch_execz .LBB100_54
; %bb.53:                               ;   in Loop: Header=BB100_22 Depth=2
	v_cvt_f32_u32_e32 v3, s44
	s_sub_co_i32 s18, 0, s44
	v_mov_b32_e32 v23, v2
	s_delay_alu instid0(VALU_DEP_2) | instskip(NEXT) | instid1(TRANS32_DEP_1)
	v_rcp_iflag_f32_e32 v3, v3
	v_mul_f32_e32 v3, 0x4f7ffffe, v3
	s_delay_alu instid0(VALU_DEP_1) | instskip(SKIP_1) | instid1(VALU_DEP_1)
	v_cvt_u32_f32_e32 v3, v3
	s_wait_alu 0xfffe
	v_mul_lo_u32 v5, s18, v3
	s_delay_alu instid0(VALU_DEP_1) | instskip(NEXT) | instid1(VALU_DEP_1)
	v_mul_hi_u32 v5, v3, v5
	v_add_nc_u32_e32 v3, v3, v5
	s_delay_alu instid0(VALU_DEP_1) | instskip(NEXT) | instid1(VALU_DEP_1)
	v_mul_hi_u32 v3, v20, v3
	v_mul_lo_u32 v5, v3, s44
	v_add_nc_u32_e32 v7, 1, v3
	s_delay_alu instid0(VALU_DEP_2) | instskip(NEXT) | instid1(VALU_DEP_1)
	v_sub_nc_u32_e32 v5, v20, v5
	v_cmp_le_u32_e32 vcc_lo, s44, v5
	v_subrev_nc_u32_e32 v9, s44, v5
	s_wait_alu 0xfffd
	v_cndmask_b32_e32 v3, v3, v7, vcc_lo
	s_delay_alu instid0(VALU_DEP_1) | instskip(NEXT) | instid1(VALU_DEP_3)
	v_add_nc_u32_e32 v7, 1, v3
	v_cndmask_b32_e32 v5, v5, v9, vcc_lo
	s_delay_alu instid0(VALU_DEP_1) | instskip(SKIP_1) | instid1(VALU_DEP_3)
	v_cmp_le_u32_e32 vcc_lo, s44, v5
	s_wait_alu 0xfffd
	v_cndmask_b32_e32 v22, v3, v7, vcc_lo
.LBB100_54:                             ;   in Loop: Header=BB100_22 Depth=2
	s_wait_alu 0xfffe
	s_or_b32 exec_lo, exec_lo, s2
	v_mul_lo_u32 v3, v8, s28
	v_mul_lo_u32 v5, v10, s30
	;; [unrolled: 1-line block ×5, first 2 shown]
	s_add_nc_u64 s[40:41], s[0:1], s[46:47]
	v_mul_lo_u32 v11, v16, s38
	s_load_b32 s2, s[40:41], 0x6c
	v_sub_nc_u32_e32 v3, v6, v3
	v_sub_nc_u32_e32 v5, v8, v5
	;; [unrolled: 1-line block ×4, first 2 shown]
	v_mul_lo_u32 v8, v20, s42
	v_mul_lo_u32 v3, s25, v3
	v_mul_lo_u32 v5, s29, v5
	v_mul_lo_u32 v9, v22, s44
	v_sub_nc_u32_e32 v10, v14, v11
	v_sub_nc_u32_e32 v11, v16, v13
	v_mul_lo_u32 v6, s31, v6
	v_mul_lo_u32 v7, s35, v7
	s_add_co_i32 s26, s26, -8
	v_mul_lo_u32 v10, s37, v10
	v_add3_u32 v3, v3, v4, v5
	v_sub_nc_u32_e32 v4, v18, v8
	v_sub_nc_u32_e32 v5, v20, v9
	v_mul_lo_u32 v8, s39, v11
	s_wait_alu 0xfffe
	s_cmp_eq_u32 s26, -8
	v_add3_u32 v3, v6, v3, v7
	v_mul_lo_u32 v4, s27, v4
	s_wait_kmcnt 0x0
	v_mul_lo_u32 v5, s2, v5
	s_delay_alu instid0(VALU_DEP_3) | instskip(NEXT) | instid1(VALU_DEP_1)
	v_add3_u32 v3, v10, v3, v8
	v_add3_u32 v4, v4, v3, v5
	s_cbranch_scc1 .LBB100_56
; %bb.55:                               ;   in Loop: Header=BB100_22 Depth=2
	v_dual_mov_b32 v6, v22 :: v_dual_mov_b32 v7, v23
	s_branch .LBB100_22
.LBB100_56:                             ;   in Loop: Header=BB100_3 Depth=1
	s_load_b32 s2, s[12:13], 0x4
	s_wait_kmcnt 0x0
	v_cmp_gt_i32_e32 vcc_lo, s2, v27
	s_and_b32 exec_lo, exec_lo, vcc_lo
	s_cbranch_execz .LBB100_2
; %bb.57:                               ;   in Loop: Header=BB100_3 Depth=1
	v_ashrrev_i32_e32 v6, 31, v4
	v_add_nc_u32_e32 v3, 1, v27
	v_add_co_u32 v5, vcc_lo, s16, v4
	s_wait_alu 0xfffd
	s_delay_alu instid0(VALU_DEP_3) | instskip(NEXT) | instid1(VALU_DEP_3)
	v_add_co_ci_u32_e64 v6, null, s17, v6, vcc_lo
	v_cmp_gt_i32_e32 vcc_lo, s2, v3
	global_store_b8 v[5:6], v2, off
	s_and_b32 exec_lo, exec_lo, vcc_lo
	s_cbranch_execz .LBB100_2
; %bb.58:                               ;   in Loop: Header=BB100_3 Depth=1
	v_sub_nc_u32_e32 v5, v3, v26
	s_mov_b32 s18, exec_lo
	s_delay_alu instid0(VALU_DEP_1) | instskip(NEXT) | instid1(VALU_DEP_1)
	v_ashrrev_i32_e32 v6, 31, v5
	v_cmpx_gt_i64_e64 s[4:5], v[5:6]
	s_cbranch_execz .LBB100_60
; %bb.59:                               ;   in Loop: Header=BB100_3 Depth=1
	v_add_nc_u32_e32 v3, s3, v4
	s_delay_alu instid0(VALU_DEP_1) | instskip(SKIP_2) | instid1(VALU_DEP_2)
	v_ashrrev_i32_e32 v6, 31, v3
	v_add_co_u32 v5, vcc_lo, s16, v3
	s_wait_alu 0xfffd
	v_add_co_ci_u32_e64 v6, null, s17, v6, vcc_lo
	global_store_b8 v[5:6], v2, off
.LBB100_60:                             ;   in Loop: Header=BB100_3 Depth=1
	s_wait_alu 0xfffe
	s_or_b32 exec_lo, exec_lo, s18
	v_add_nc_u32_e32 v3, 2, v27
	s_delay_alu instid0(VALU_DEP_1)
	v_cmp_gt_i32_e32 vcc_lo, s2, v3
	s_and_b32 exec_lo, exec_lo, vcc_lo
	s_cbranch_execz .LBB100_2
; %bb.61:                               ;   in Loop: Header=BB100_3 Depth=1
	v_sub_nc_u32_e32 v5, v3, v26
	s_mov_b32 s18, exec_lo
	s_delay_alu instid0(VALU_DEP_1) | instskip(NEXT) | instid1(VALU_DEP_1)
	v_ashrrev_i32_e32 v6, 31, v5
	v_cmpx_gt_i64_e64 s[4:5], v[5:6]
	s_cbranch_execz .LBB100_63
; %bb.62:                               ;   in Loop: Header=BB100_3 Depth=1
	v_lshl_add_u32 v3, s3, 1, v4
	s_delay_alu instid0(VALU_DEP_1) | instskip(SKIP_2) | instid1(VALU_DEP_2)
	v_ashrrev_i32_e32 v6, 31, v3
	v_add_co_u32 v5, vcc_lo, s16, v3
	s_wait_alu 0xfffd
	v_add_co_ci_u32_e64 v6, null, s17, v6, vcc_lo
	global_store_b8 v[5:6], v2, off
.LBB100_63:                             ;   in Loop: Header=BB100_3 Depth=1
	s_wait_alu 0xfffe
	s_or_b32 exec_lo, exec_lo, s18
	v_add_nc_u32_e32 v3, 3, v27
	s_delay_alu instid0(VALU_DEP_1)
	v_cmp_gt_i32_e32 vcc_lo, s2, v3
	s_and_b32 exec_lo, exec_lo, vcc_lo
	s_cbranch_execz .LBB100_2
; %bb.64:                               ;   in Loop: Header=BB100_3 Depth=1
	v_sub_nc_u32_e32 v5, v3, v26
	s_delay_alu instid0(VALU_DEP_1) | instskip(NEXT) | instid1(VALU_DEP_1)
	v_ashrrev_i32_e32 v6, 31, v5
	v_cmp_gt_i64_e32 vcc_lo, s[4:5], v[5:6]
	s_and_b32 exec_lo, exec_lo, vcc_lo
	s_cbranch_execz .LBB100_2
; %bb.65:                               ;   in Loop: Header=BB100_3 Depth=1
	v_mad_co_u64_u32 v[3:4], null, s3, 3, v[4:5]
	s_delay_alu instid0(VALU_DEP_1) | instskip(SKIP_2) | instid1(VALU_DEP_2)
	v_ashrrev_i32_e32 v4, 31, v3
	v_add_co_u32 v3, vcc_lo, s16, v3
	s_wait_alu 0xfffd
	v_add_co_ci_u32_e64 v4, null, s17, v4, vcc_lo
	global_store_b8 v[3:4], v2, off
	s_branch .LBB100_2
.LBB100_66:
	s_endpgm
	.section	.rodata,"a",@progbits
	.p2align	6, 0x0
	.amdhsa_kernel _ZN2at6native16triu_tril_kernelIbiLb1ELi4ELb1EEEvNS_4cuda6detail10TensorInfoIT_T0_EENS4_IKS5_S6_EEllS6_
		.amdhsa_group_segment_fixed_size 0
		.amdhsa_private_segment_fixed_size 0
		.amdhsa_kernarg_size 712
		.amdhsa_user_sgpr_count 2
		.amdhsa_user_sgpr_dispatch_ptr 0
		.amdhsa_user_sgpr_queue_ptr 0
		.amdhsa_user_sgpr_kernarg_segment_ptr 1
		.amdhsa_user_sgpr_dispatch_id 0
		.amdhsa_user_sgpr_private_segment_size 0
		.amdhsa_wavefront_size32 1
		.amdhsa_uses_dynamic_stack 0
		.amdhsa_enable_private_segment 0
		.amdhsa_system_sgpr_workgroup_id_x 1
		.amdhsa_system_sgpr_workgroup_id_y 0
		.amdhsa_system_sgpr_workgroup_id_z 0
		.amdhsa_system_sgpr_workgroup_info 0
		.amdhsa_system_vgpr_workitem_id 0
		.amdhsa_next_free_vgpr 32
		.amdhsa_next_free_sgpr 66
		.amdhsa_reserve_vcc 1
		.amdhsa_float_round_mode_32 0
		.amdhsa_float_round_mode_16_64 0
		.amdhsa_float_denorm_mode_32 3
		.amdhsa_float_denorm_mode_16_64 3
		.amdhsa_fp16_overflow 0
		.amdhsa_workgroup_processor_mode 1
		.amdhsa_memory_ordered 1
		.amdhsa_forward_progress 1
		.amdhsa_inst_pref_size 97
		.amdhsa_round_robin_scheduling 0
		.amdhsa_exception_fp_ieee_invalid_op 0
		.amdhsa_exception_fp_denorm_src 0
		.amdhsa_exception_fp_ieee_div_zero 0
		.amdhsa_exception_fp_ieee_overflow 0
		.amdhsa_exception_fp_ieee_underflow 0
		.amdhsa_exception_fp_ieee_inexact 0
		.amdhsa_exception_int_div_zero 0
	.end_amdhsa_kernel
	.section	.text._ZN2at6native16triu_tril_kernelIbiLb1ELi4ELb1EEEvNS_4cuda6detail10TensorInfoIT_T0_EENS4_IKS5_S6_EEllS6_,"axG",@progbits,_ZN2at6native16triu_tril_kernelIbiLb1ELi4ELb1EEEvNS_4cuda6detail10TensorInfoIT_T0_EENS4_IKS5_S6_EEllS6_,comdat
.Lfunc_end100:
	.size	_ZN2at6native16triu_tril_kernelIbiLb1ELi4ELb1EEEvNS_4cuda6detail10TensorInfoIT_T0_EENS4_IKS5_S6_EEllS6_, .Lfunc_end100-_ZN2at6native16triu_tril_kernelIbiLb1ELi4ELb1EEEvNS_4cuda6detail10TensorInfoIT_T0_EENS4_IKS5_S6_EEllS6_
                                        ; -- End function
	.set _ZN2at6native16triu_tril_kernelIbiLb1ELi4ELb1EEEvNS_4cuda6detail10TensorInfoIT_T0_EENS4_IKS5_S6_EEllS6_.num_vgpr, 32
	.set _ZN2at6native16triu_tril_kernelIbiLb1ELi4ELb1EEEvNS_4cuda6detail10TensorInfoIT_T0_EENS4_IKS5_S6_EEllS6_.num_agpr, 0
	.set _ZN2at6native16triu_tril_kernelIbiLb1ELi4ELb1EEEvNS_4cuda6detail10TensorInfoIT_T0_EENS4_IKS5_S6_EEllS6_.numbered_sgpr, 66
	.set _ZN2at6native16triu_tril_kernelIbiLb1ELi4ELb1EEEvNS_4cuda6detail10TensorInfoIT_T0_EENS4_IKS5_S6_EEllS6_.num_named_barrier, 0
	.set _ZN2at6native16triu_tril_kernelIbiLb1ELi4ELb1EEEvNS_4cuda6detail10TensorInfoIT_T0_EENS4_IKS5_S6_EEllS6_.private_seg_size, 0
	.set _ZN2at6native16triu_tril_kernelIbiLb1ELi4ELb1EEEvNS_4cuda6detail10TensorInfoIT_T0_EENS4_IKS5_S6_EEllS6_.uses_vcc, 1
	.set _ZN2at6native16triu_tril_kernelIbiLb1ELi4ELb1EEEvNS_4cuda6detail10TensorInfoIT_T0_EENS4_IKS5_S6_EEllS6_.uses_flat_scratch, 0
	.set _ZN2at6native16triu_tril_kernelIbiLb1ELi4ELb1EEEvNS_4cuda6detail10TensorInfoIT_T0_EENS4_IKS5_S6_EEllS6_.has_dyn_sized_stack, 0
	.set _ZN2at6native16triu_tril_kernelIbiLb1ELi4ELb1EEEvNS_4cuda6detail10TensorInfoIT_T0_EENS4_IKS5_S6_EEllS6_.has_recursion, 0
	.set _ZN2at6native16triu_tril_kernelIbiLb1ELi4ELb1EEEvNS_4cuda6detail10TensorInfoIT_T0_EENS4_IKS5_S6_EEllS6_.has_indirect_call, 0
	.section	.AMDGPU.csdata,"",@progbits
; Kernel info:
; codeLenInByte = 12340
; TotalNumSgprs: 68
; NumVgprs: 32
; ScratchSize: 0
; MemoryBound: 0
; FloatMode: 240
; IeeeMode: 1
; LDSByteSize: 0 bytes/workgroup (compile time only)
; SGPRBlocks: 0
; VGPRBlocks: 3
; NumSGPRsForWavesPerEU: 68
; NumVGPRsForWavesPerEU: 32
; Occupancy: 16
; WaveLimiterHint : 0
; COMPUTE_PGM_RSRC2:SCRATCH_EN: 0
; COMPUTE_PGM_RSRC2:USER_SGPR: 2
; COMPUTE_PGM_RSRC2:TRAP_HANDLER: 0
; COMPUTE_PGM_RSRC2:TGID_X_EN: 1
; COMPUTE_PGM_RSRC2:TGID_Y_EN: 0
; COMPUTE_PGM_RSRC2:TGID_Z_EN: 0
; COMPUTE_PGM_RSRC2:TIDIG_COMP_CNT: 0
	.section	.text._ZN2at6native16triu_tril_kernelIbiLb1ELi4ELb0EEEvNS_4cuda6detail10TensorInfoIT_T0_EENS4_IKS5_S6_EEllS6_,"axG",@progbits,_ZN2at6native16triu_tril_kernelIbiLb1ELi4ELb0EEEvNS_4cuda6detail10TensorInfoIT_T0_EENS4_IKS5_S6_EEllS6_,comdat
	.protected	_ZN2at6native16triu_tril_kernelIbiLb1ELi4ELb0EEEvNS_4cuda6detail10TensorInfoIT_T0_EENS4_IKS5_S6_EEllS6_ ; -- Begin function _ZN2at6native16triu_tril_kernelIbiLb1ELi4ELb0EEEvNS_4cuda6detail10TensorInfoIT_T0_EENS4_IKS5_S6_EEllS6_
	.globl	_ZN2at6native16triu_tril_kernelIbiLb1ELi4ELb0EEEvNS_4cuda6detail10TensorInfoIT_T0_EENS4_IKS5_S6_EEllS6_
	.p2align	8
	.type	_ZN2at6native16triu_tril_kernelIbiLb1ELi4ELb0EEEvNS_4cuda6detail10TensorInfoIT_T0_EENS4_IKS5_S6_EEllS6_,@function
_ZN2at6native16triu_tril_kernelIbiLb1ELi4ELb0EEEvNS_4cuda6detail10TensorInfoIT_T0_EENS4_IKS5_S6_EEllS6_: ; @_ZN2at6native16triu_tril_kernelIbiLb1ELi4ELb0EEEvNS_4cuda6detail10TensorInfoIT_T0_EENS4_IKS5_S6_EEllS6_
; %bb.0:
	s_clause 0x1
	s_load_b32 s2, s[0:1], 0x1d4
	s_load_b128 s[12:15], s[0:1], 0x1b0
	v_mov_b32_e32 v2, 0
	s_mov_b32 s3, exec_lo
	s_delay_alu instid0(VALU_DEP_1)
	v_mov_b32_e32 v1, v2
	s_wait_kmcnt 0x0
	s_and_b32 s2, s2, 0xffff
	s_delay_alu instid0(VALU_DEP_1) | instid1(SALU_CYCLE_1)
	v_mad_co_u64_u32 v[0:1], null, s2, ttmp9, v[0:1]
	s_delay_alu instid0(VALU_DEP_1) | instskip(NEXT) | instid1(VALU_DEP_1)
	v_lshlrev_b64_e32 v[0:1], 2, v[0:1]
	v_cmpx_gt_i64_e64 s[14:15], v[0:1]
	s_cbranch_execz .LBB101_53
; %bb.1:
	s_clause 0x2
	s_load_b32 s4, s[0:1], 0x1a8
	s_load_b32 s10, s[0:1], 0x1c0
	s_load_b64 s[16:17], s[0:1], 0xd8
	s_add_nc_u64 s[18:19], s[0:1], 0xd8
	s_add_nc_u64 s[22:23], s[0:1], 0x1c8
	s_mov_b32 s27, 0
	s_load_b32 s3, s[22:23], 0x0
	s_mov_b32 s55, 0
	s_load_b64 s[24:25], s[0:1], 0x0
	s_wait_kmcnt 0x0
	s_ashr_i32 s5, s4, 31
	v_cvt_f32_u32_e32 v3, s10
	s_lshl_b64 s[6:7], s[4:5], 2
	s_and_b32 s46, s4, 3
	s_add_nc_u64 s[20:21], s[18:19], s[6:7]
	s_add_nc_u64 s[6:7], s[0:1], s[6:7]
	s_load_b64 s[8:9], s[20:21], 0x0
	v_rcp_iflag_f32_e32 v3, v3
	s_clause 0x1
	s_load_b64 s[20:21], s[20:21], 0x64
	s_load_b64 s[22:23], s[6:7], 0x64
	s_mul_i32 s3, s3, s2
	s_ashr_i32 s11, s10, 31
	s_add_co_i32 s33, s4, -3
	s_wait_alu 0xfffe
	s_lshl_b32 s48, s3, 2
	v_cmp_gt_i64_e64 s47, s[4:5], 2
	v_mul_f32_e32 v3, 0x4f7ffffe, v3
	s_delay_alu instid0(VALU_DEP_1)
	v_cvt_u32_f32_e32 v18, v3
	s_wait_kmcnt 0x0
	s_mov_b32 s28, s8
	s_ashr_i32 s29, s8, 31
	v_cvt_f32_u32_e32 v4, s28
	s_cmp_lg_u32 s46, 2
	s_mov_b32 s49, s21
	s_cselect_b32 s51, -1, 0
	s_cmp_gt_u32 s33, 2
	v_rcp_iflag_f32_e32 v4, v4
	s_mov_b32 s50, s23
	s_cselect_b32 s52, -1, 0
	s_ashr_i32 s53, s21, 31
	s_add_co_i32 s21, s21, s21
	s_ashr_i32 s54, s23, 31
	s_add_co_i32 s23, s23, s23
	s_ashr_i32 s30, s11, 31
	s_delay_alu instid0(TRANS32_DEP_1) | instskip(NEXT) | instid1(VALU_DEP_1)
	v_mul_f32_e32 v3, 0x4f7ffffe, v4
	v_cvt_u32_f32_e32 v19, v3
	s_branch .LBB101_3
.LBB101_2:                              ;   in Loop: Header=BB101_3 Depth=1
	s_wait_alu 0xfffe
	s_or_b32 exec_lo, exec_lo, s2
	v_add_co_u32 v0, vcc_lo, v0, s48
	s_wait_alu 0xfffd
	v_add_co_ci_u32_e64 v1, null, 0, v1, vcc_lo
	s_delay_alu instid0(VALU_DEP_1)
	v_cmp_le_i64_e32 vcc_lo, s[14:15], v[0:1]
	s_or_b32 s55, vcc_lo, s55
	s_wait_alu 0xfffe
	s_and_not1_b32 exec_lo, exec_lo, s55
	s_cbranch_execz .LBB101_53
.LBB101_3:                              ; =>This Loop Header: Depth=1
                                        ;     Child Loop BB101_15 Depth 2
                                        ;     Child Loop BB101_20 Depth 2
	v_or_b32_e32 v3, s11, v1
                                        ; implicit-def: $vgpr4_vgpr5
	s_mov_b32 s2, exec_lo
	s_delay_alu instid0(VALU_DEP_1)
	v_cmpx_ne_u64_e32 0, v[2:3]
	s_wait_alu 0xfffe
	s_xor_b32 s3, exec_lo, s2
	s_cbranch_execz .LBB101_5
; %bb.4:                                ;   in Loop: Header=BB101_3 Depth=1
	s_mov_b32 s31, s30
	v_ashrrev_i32_e32 v9, 31, v1
	s_wait_alu 0xfffe
	s_add_nc_u64 s[4:5], s[10:11], s[30:31]
	s_wait_alu 0xfffe
	s_xor_b64 s[4:5], s[4:5], s[30:31]
	v_add_co_u32 v3, vcc_lo, v0, v9
	s_wait_alu 0xfffe
	s_cvt_f32_u32 s2, s4
	s_cvt_f32_u32 s6, s5
	s_sub_nc_u64 s[34:35], 0, s[4:5]
	s_wait_alu 0xfffd
	v_add_co_ci_u32_e64 v4, null, v1, v9, vcc_lo
	s_wait_alu 0xfffe
	s_fmamk_f32 s2, s6, 0x4f800000, s2
	v_xor_b32_e32 v10, v3, v9
	s_delay_alu instid0(VALU_DEP_2) | instskip(SKIP_2) | instid1(TRANS32_DEP_1)
	v_xor_b32_e32 v11, v4, v9
	s_wait_alu 0xfffe
	v_s_rcp_f32 s2, s2
	s_mul_f32 s2, s2, 0x5f7ffffc
	s_wait_alu 0xfffe
	s_delay_alu instid0(SALU_CYCLE_2) | instskip(SKIP_1) | instid1(SALU_CYCLE_2)
	s_mul_f32 s6, s2, 0x2f800000
	s_wait_alu 0xfffe
	s_trunc_f32 s6, s6
	s_wait_alu 0xfffe
	s_delay_alu instid0(SALU_CYCLE_2) | instskip(SKIP_2) | instid1(SALU_CYCLE_1)
	s_fmamk_f32 s2, s6, 0xcf800000, s2
	s_cvt_u32_f32 s7, s6
	s_wait_alu 0xfffe
	s_cvt_u32_f32 s6, s2
	s_wait_alu 0xfffe
	s_delay_alu instid0(SALU_CYCLE_2)
	s_mul_u64 s[36:37], s[34:35], s[6:7]
	s_wait_alu 0xfffe
	s_mul_hi_u32 s39, s6, s37
	s_mul_i32 s38, s6, s37
	s_mul_hi_u32 s26, s6, s36
	s_mul_i32 s8, s7, s36
	s_wait_alu 0xfffe
	s_add_nc_u64 s[38:39], s[26:27], s[38:39]
	s_mul_hi_u32 s2, s7, s36
	s_mul_hi_u32 s31, s7, s37
	s_wait_alu 0xfffe
	s_add_co_u32 s8, s38, s8
	s_add_co_ci_u32 s26, s39, s2
	s_mul_i32 s36, s7, s37
	s_add_co_ci_u32 s37, s31, 0
	s_wait_alu 0xfffe
	s_add_nc_u64 s[36:37], s[26:27], s[36:37]
	s_wait_alu 0xfffe
	s_add_co_u32 s6, s6, s36
	s_cselect_b32 s2, -1, 0
	s_wait_alu 0xfffe
	s_cmp_lg_u32 s2, 0
	s_add_co_ci_u32 s7, s7, s37
	s_wait_alu 0xfffe
	s_mul_u64 s[34:35], s[34:35], s[6:7]
	s_wait_alu 0xfffe
	s_mul_hi_u32 s37, s6, s35
	s_mul_i32 s36, s6, s35
	s_mul_hi_u32 s26, s6, s34
	s_mul_i32 s8, s7, s34
	s_wait_alu 0xfffe
	s_add_nc_u64 s[36:37], s[26:27], s[36:37]
	s_mul_hi_u32 s2, s7, s34
	s_mul_hi_u32 s31, s7, s35
	s_wait_alu 0xfffe
	s_add_co_u32 s8, s36, s8
	s_add_co_ci_u32 s26, s37, s2
	s_mul_i32 s34, s7, s35
	s_add_co_ci_u32 s35, s31, 0
	s_wait_alu 0xfffe
	s_add_nc_u64 s[34:35], s[26:27], s[34:35]
	s_wait_alu 0xfffe
	s_add_co_u32 s2, s6, s34
	s_cselect_b32 s6, -1, 0
	s_wait_alu 0xfffe
	v_mul_hi_u32 v12, v10, s2
	s_cmp_lg_u32 s6, 0
	v_mad_co_u64_u32 v[5:6], null, v11, s2, 0
	s_add_co_ci_u32 s6, s7, s35
	s_wait_alu 0xfffe
	v_mad_co_u64_u32 v[3:4], null, v10, s6, 0
	v_mad_co_u64_u32 v[7:8], null, v11, s6, 0
	s_delay_alu instid0(VALU_DEP_2) | instskip(SKIP_1) | instid1(VALU_DEP_3)
	v_add_co_u32 v3, vcc_lo, v12, v3
	s_wait_alu 0xfffd
	v_add_co_ci_u32_e64 v4, null, 0, v4, vcc_lo
	s_delay_alu instid0(VALU_DEP_2) | instskip(SKIP_1) | instid1(VALU_DEP_2)
	v_add_co_u32 v3, vcc_lo, v3, v5
	s_wait_alu 0xfffd
	v_add_co_ci_u32_e32 v3, vcc_lo, v4, v6, vcc_lo
	s_wait_alu 0xfffd
	v_add_co_ci_u32_e32 v4, vcc_lo, 0, v8, vcc_lo
	s_delay_alu instid0(VALU_DEP_2) | instskip(SKIP_1) | instid1(VALU_DEP_2)
	v_add_co_u32 v5, vcc_lo, v3, v7
	s_wait_alu 0xfffd
	v_add_co_ci_u32_e64 v6, null, 0, v4, vcc_lo
	s_delay_alu instid0(VALU_DEP_2) | instskip(SKIP_1) | instid1(VALU_DEP_3)
	v_mul_lo_u32 v7, s5, v5
	v_mad_co_u64_u32 v[3:4], null, s4, v5, 0
	v_mul_lo_u32 v8, s4, v6
	s_delay_alu instid0(VALU_DEP_2) | instskip(NEXT) | instid1(VALU_DEP_2)
	v_sub_co_u32 v3, vcc_lo, v10, v3
	v_add3_u32 v4, v4, v8, v7
	v_add_co_u32 v8, s2, v5, 2
	s_wait_alu 0xf1ff
	v_add_co_ci_u32_e64 v10, null, 0, v6, s2
	s_delay_alu instid0(VALU_DEP_3) | instskip(SKIP_3) | instid1(VALU_DEP_3)
	v_sub_nc_u32_e32 v7, v11, v4
	v_sub_co_u32 v12, s2, v3, s4
	s_wait_alu 0xfffd
	v_sub_co_ci_u32_e64 v4, null, v11, v4, vcc_lo
	v_subrev_co_ci_u32_e64 v7, null, s5, v7, vcc_lo
	s_delay_alu instid0(VALU_DEP_3) | instskip(SKIP_1) | instid1(VALU_DEP_2)
	v_cmp_le_u32_e32 vcc_lo, s4, v12
	s_wait_alu 0xf1ff
	v_subrev_co_ci_u32_e64 v7, null, 0, v7, s2
	s_wait_alu 0xfffd
	v_cndmask_b32_e64 v11, 0, -1, vcc_lo
	s_delay_alu instid0(VALU_DEP_2)
	v_cmp_le_u32_e32 vcc_lo, s5, v7
	s_wait_alu 0xfffd
	v_cndmask_b32_e64 v12, 0, -1, vcc_lo
	v_cmp_le_u32_e32 vcc_lo, s4, v3
	s_wait_alu 0xfffd
	v_cndmask_b32_e64 v3, 0, -1, vcc_lo
	;; [unrolled: 3-line block ×3, first 2 shown]
	v_cmp_eq_u32_e32 vcc_lo, s5, v7
	s_wait_alu 0xfffd
	v_cndmask_b32_e32 v7, v12, v11, vcc_lo
	v_add_co_u32 v11, vcc_lo, v5, 1
	s_wait_alu 0xfffd
	v_add_co_ci_u32_e64 v12, null, 0, v6, vcc_lo
	v_cmp_eq_u32_e32 vcc_lo, s5, v4
	s_wait_alu 0xfffd
	v_cndmask_b32_e32 v3, v13, v3, vcc_lo
	v_cmp_ne_u32_e32 vcc_lo, 0, v7
	v_xor_b32_e32 v7, s30, v9
	s_wait_alu 0xfffd
	v_cndmask_b32_e32 v4, v12, v10, vcc_lo
	v_cmp_ne_u32_e64 s2, 0, v3
	v_cndmask_b32_e32 v3, v11, v8, vcc_lo
	s_wait_alu 0xf1ff
	s_delay_alu instid0(VALU_DEP_2) | instskip(NEXT) | instid1(VALU_DEP_2)
	v_cndmask_b32_e64 v4, v6, v4, s2
	v_cndmask_b32_e64 v3, v5, v3, s2
	s_delay_alu instid0(VALU_DEP_2) | instskip(NEXT) | instid1(VALU_DEP_2)
	v_xor_b32_e32 v5, v4, v7
	v_xor_b32_e32 v3, v3, v7
	s_delay_alu instid0(VALU_DEP_1) | instskip(SKIP_1) | instid1(VALU_DEP_3)
	v_sub_co_u32 v4, vcc_lo, v3, v7
	s_wait_alu 0xfffd
	v_sub_co_ci_u32_e64 v5, null, v5, v7, vcc_lo
.LBB101_5:                              ;   in Loop: Header=BB101_3 Depth=1
	s_wait_alu 0xfffe
	s_and_not1_saveexec_b32 s2, s3
	s_cbranch_execz .LBB101_7
; %bb.6:                                ;   in Loop: Header=BB101_3 Depth=1
	s_sub_co_i32 s3, 0, s10
	s_wait_alu 0xfffe
	v_mul_lo_u32 v3, s3, v18
	s_delay_alu instid0(VALU_DEP_1) | instskip(NEXT) | instid1(VALU_DEP_1)
	v_mul_hi_u32 v3, v18, v3
	v_add_nc_u32_e32 v3, v18, v3
	s_delay_alu instid0(VALU_DEP_1) | instskip(NEXT) | instid1(VALU_DEP_1)
	v_mul_hi_u32 v3, v0, v3
	v_mul_lo_u32 v4, v3, s10
	v_add_nc_u32_e32 v5, 1, v3
	s_delay_alu instid0(VALU_DEP_2) | instskip(NEXT) | instid1(VALU_DEP_1)
	v_sub_nc_u32_e32 v4, v0, v4
	v_subrev_nc_u32_e32 v6, s10, v4
	v_cmp_le_u32_e32 vcc_lo, s10, v4
	s_wait_alu 0xfffd
	s_delay_alu instid0(VALU_DEP_2) | instskip(NEXT) | instid1(VALU_DEP_1)
	v_dual_cndmask_b32 v4, v4, v6 :: v_dual_cndmask_b32 v3, v3, v5
	v_cmp_le_u32_e32 vcc_lo, s10, v4
	s_delay_alu instid0(VALU_DEP_2) | instskip(SKIP_1) | instid1(VALU_DEP_1)
	v_add_nc_u32_e32 v5, 1, v3
	s_wait_alu 0xfffd
	v_dual_cndmask_b32 v4, v3, v5 :: v_dual_mov_b32 v5, v2
.LBB101_7:                              ;   in Loop: Header=BB101_3 Depth=1
	s_wait_alu 0xfffe
	s_or_b32 exec_lo, exec_lo, s2
	s_delay_alu instid0(VALU_DEP_1) | instskip(SKIP_1) | instid1(VALU_DEP_1)
	v_or_b32_e32 v3, s29, v5
                                        ; implicit-def: $vgpr8_vgpr9
	s_mov_b32 s2, exec_lo
	v_cmpx_ne_u64_e32 0, v[2:3]
	s_wait_alu 0xfffe
	s_xor_b32 s3, exec_lo, s2
	s_cbranch_execz .LBB101_9
; %bb.8:                                ;   in Loop: Header=BB101_3 Depth=1
	s_ashr_i32 s4, s29, 31
	v_ashrrev_i32_e32 v3, 31, v5
	s_wait_alu 0xfffe
	s_mov_b32 s5, s4
	s_wait_alu 0xfffe
	s_add_nc_u64 s[6:7], s[28:29], s[4:5]
	v_add_co_u32 v6, vcc_lo, v4, v3
	s_wait_alu 0xfffe
	s_xor_b64 s[6:7], s[6:7], s[4:5]
	s_wait_alu 0xfffd
	v_add_co_ci_u32_e64 v5, null, v5, v3, vcc_lo
	s_wait_alu 0xfffe
	s_cvt_f32_u32 s2, s6
	s_cvt_f32_u32 s5, s7
	s_sub_nc_u64 s[36:37], 0, s[6:7]
	v_xor_b32_e32 v11, v6, v3
	v_xor_b32_e32 v12, v5, v3
	s_wait_alu 0xfffe
	s_fmamk_f32 s2, s5, 0x4f800000, s2
	v_xor_b32_e32 v3, s4, v3
	s_wait_alu 0xfffe
	s_delay_alu instid0(SALU_CYCLE_1) | instskip(NEXT) | instid1(TRANS32_DEP_1)
	v_s_rcp_f32 s2, s2
	s_mul_f32 s2, s2, 0x5f7ffffc
	s_wait_alu 0xfffe
	s_delay_alu instid0(SALU_CYCLE_2) | instskip(SKIP_1) | instid1(SALU_CYCLE_2)
	s_mul_f32 s5, s2, 0x2f800000
	s_wait_alu 0xfffe
	s_trunc_f32 s5, s5
	s_wait_alu 0xfffe
	s_delay_alu instid0(SALU_CYCLE_2) | instskip(SKIP_2) | instid1(SALU_CYCLE_1)
	s_fmamk_f32 s2, s5, 0xcf800000, s2
	s_cvt_u32_f32 s35, s5
	s_wait_alu 0xfffe
	s_cvt_u32_f32 s34, s2
	s_wait_alu 0xfffe
	s_delay_alu instid0(SALU_CYCLE_2)
	s_mul_u64 s[38:39], s[36:37], s[34:35]
	s_wait_alu 0xfffe
	s_mul_hi_u32 s41, s34, s39
	s_mul_i32 s40, s34, s39
	s_mul_hi_u32 s26, s34, s38
	s_mul_i32 s5, s35, s38
	s_wait_alu 0xfffe
	s_add_nc_u64 s[40:41], s[26:27], s[40:41]
	s_mul_hi_u32 s2, s35, s38
	s_mul_hi_u32 s8, s35, s39
	s_wait_alu 0xfffe
	s_add_co_u32 s5, s40, s5
	s_add_co_ci_u32 s26, s41, s2
	s_mul_i32 s38, s35, s39
	s_add_co_ci_u32 s39, s8, 0
	s_wait_alu 0xfffe
	s_add_nc_u64 s[38:39], s[26:27], s[38:39]
	s_wait_alu 0xfffe
	s_add_co_u32 s34, s34, s38
	s_cselect_b32 s2, -1, 0
	s_wait_alu 0xfffe
	s_cmp_lg_u32 s2, 0
	s_add_co_ci_u32 s35, s35, s39
	s_wait_alu 0xfffe
	s_mul_u64 s[36:37], s[36:37], s[34:35]
	s_wait_alu 0xfffe
	s_mul_hi_u32 s39, s34, s37
	s_mul_i32 s38, s34, s37
	s_mul_hi_u32 s26, s34, s36
	s_mul_i32 s5, s35, s36
	s_wait_alu 0xfffe
	s_add_nc_u64 s[38:39], s[26:27], s[38:39]
	s_mul_hi_u32 s2, s35, s36
	s_mul_hi_u32 s8, s35, s37
	s_wait_alu 0xfffe
	s_add_co_u32 s5, s38, s5
	s_add_co_ci_u32 s26, s39, s2
	s_mul_i32 s36, s35, s37
	s_add_co_ci_u32 s37, s8, 0
	s_wait_alu 0xfffe
	s_add_nc_u64 s[36:37], s[26:27], s[36:37]
	s_wait_alu 0xfffe
	s_add_co_u32 s2, s34, s36
	s_cselect_b32 s5, -1, 0
	s_wait_alu 0xfffe
	v_mul_hi_u32 v13, v11, s2
	s_cmp_lg_u32 s5, 0
	v_mad_co_u64_u32 v[7:8], null, v12, s2, 0
	s_add_co_ci_u32 s5, s35, s37
	s_wait_alu 0xfffe
	v_mad_co_u64_u32 v[5:6], null, v11, s5, 0
	v_mad_co_u64_u32 v[9:10], null, v12, s5, 0
	s_delay_alu instid0(VALU_DEP_2) | instskip(SKIP_1) | instid1(VALU_DEP_3)
	v_add_co_u32 v5, vcc_lo, v13, v5
	s_wait_alu 0xfffd
	v_add_co_ci_u32_e64 v6, null, 0, v6, vcc_lo
	s_delay_alu instid0(VALU_DEP_2) | instskip(SKIP_1) | instid1(VALU_DEP_2)
	v_add_co_u32 v5, vcc_lo, v5, v7
	s_wait_alu 0xfffd
	v_add_co_ci_u32_e32 v5, vcc_lo, v6, v8, vcc_lo
	s_wait_alu 0xfffd
	v_add_co_ci_u32_e32 v6, vcc_lo, 0, v10, vcc_lo
	s_delay_alu instid0(VALU_DEP_2) | instskip(SKIP_1) | instid1(VALU_DEP_2)
	v_add_co_u32 v7, vcc_lo, v5, v9
	s_wait_alu 0xfffd
	v_add_co_ci_u32_e64 v8, null, 0, v6, vcc_lo
	s_delay_alu instid0(VALU_DEP_2) | instskip(SKIP_1) | instid1(VALU_DEP_3)
	v_mul_lo_u32 v9, s7, v7
	v_mad_co_u64_u32 v[5:6], null, s6, v7, 0
	v_mul_lo_u32 v10, s6, v8
	s_delay_alu instid0(VALU_DEP_2) | instskip(NEXT) | instid1(VALU_DEP_2)
	v_sub_co_u32 v5, vcc_lo, v11, v5
	v_add3_u32 v6, v6, v10, v9
	v_add_co_u32 v10, s2, v7, 2
	s_wait_alu 0xf1ff
	v_add_co_ci_u32_e64 v11, null, 0, v8, s2
	s_delay_alu instid0(VALU_DEP_3) | instskip(SKIP_3) | instid1(VALU_DEP_3)
	v_sub_nc_u32_e32 v9, v12, v6
	v_sub_co_u32 v13, s2, v5, s6
	s_wait_alu 0xfffd
	v_sub_co_ci_u32_e64 v6, null, v12, v6, vcc_lo
	v_subrev_co_ci_u32_e64 v9, null, s7, v9, vcc_lo
	s_delay_alu instid0(VALU_DEP_3) | instskip(SKIP_1) | instid1(VALU_DEP_2)
	v_cmp_le_u32_e32 vcc_lo, s6, v13
	s_wait_alu 0xf1ff
	v_subrev_co_ci_u32_e64 v9, null, 0, v9, s2
	s_wait_alu 0xfffd
	v_cndmask_b32_e64 v12, 0, -1, vcc_lo
	s_delay_alu instid0(VALU_DEP_2)
	v_cmp_le_u32_e32 vcc_lo, s7, v9
	s_wait_alu 0xfffd
	v_cndmask_b32_e64 v13, 0, -1, vcc_lo
	v_cmp_le_u32_e32 vcc_lo, s6, v5
	s_wait_alu 0xfffd
	v_cndmask_b32_e64 v5, 0, -1, vcc_lo
	;; [unrolled: 3-line block ×3, first 2 shown]
	v_cmp_eq_u32_e32 vcc_lo, s7, v9
	s_wait_alu 0xfffd
	v_cndmask_b32_e32 v9, v13, v12, vcc_lo
	v_add_co_u32 v12, vcc_lo, v7, 1
	s_wait_alu 0xfffd
	v_add_co_ci_u32_e64 v13, null, 0, v8, vcc_lo
	v_cmp_eq_u32_e32 vcc_lo, s7, v6
	s_wait_alu 0xfffd
	v_cndmask_b32_e32 v5, v14, v5, vcc_lo
	v_cmp_ne_u32_e32 vcc_lo, 0, v9
	s_wait_alu 0xfffd
	v_cndmask_b32_e32 v6, v13, v11, vcc_lo
	s_delay_alu instid0(VALU_DEP_3) | instskip(SKIP_2) | instid1(VALU_DEP_2)
	v_cmp_ne_u32_e64 s2, 0, v5
	v_cndmask_b32_e32 v5, v12, v10, vcc_lo
	s_wait_alu 0xf1ff
	v_cndmask_b32_e64 v6, v8, v6, s2
	s_delay_alu instid0(VALU_DEP_2) | instskip(NEXT) | instid1(VALU_DEP_2)
	v_cndmask_b32_e64 v5, v7, v5, s2
	v_xor_b32_e32 v6, v6, v3
	s_delay_alu instid0(VALU_DEP_2) | instskip(NEXT) | instid1(VALU_DEP_1)
	v_xor_b32_e32 v5, v5, v3
	v_sub_co_u32 v8, vcc_lo, v5, v3
	s_wait_alu 0xfffd
	s_delay_alu instid0(VALU_DEP_3)
	v_sub_co_ci_u32_e64 v9, null, v6, v3, vcc_lo
.LBB101_9:                              ;   in Loop: Header=BB101_3 Depth=1
	s_wait_alu 0xfffe
	s_and_not1_saveexec_b32 s2, s3
	s_cbranch_execz .LBB101_11
; %bb.10:                               ;   in Loop: Header=BB101_3 Depth=1
	s_sub_co_i32 s3, 0, s28
	v_mov_b32_e32 v9, v2
	s_wait_alu 0xfffe
	v_mul_lo_u32 v3, s3, v19
	s_delay_alu instid0(VALU_DEP_1) | instskip(NEXT) | instid1(VALU_DEP_1)
	v_mul_hi_u32 v3, v19, v3
	v_add_nc_u32_e32 v3, v19, v3
	s_delay_alu instid0(VALU_DEP_1) | instskip(NEXT) | instid1(VALU_DEP_1)
	v_mul_hi_u32 v3, v4, v3
	v_mul_lo_u32 v5, v3, s28
	v_add_nc_u32_e32 v6, 1, v3
	s_delay_alu instid0(VALU_DEP_2) | instskip(NEXT) | instid1(VALU_DEP_1)
	v_sub_nc_u32_e32 v5, v4, v5
	v_cmp_le_u32_e32 vcc_lo, s28, v5
	v_subrev_nc_u32_e32 v7, s28, v5
	s_wait_alu 0xfffd
	v_cndmask_b32_e32 v3, v3, v6, vcc_lo
	s_delay_alu instid0(VALU_DEP_1) | instskip(NEXT) | instid1(VALU_DEP_3)
	v_add_nc_u32_e32 v6, 1, v3
	v_cndmask_b32_e32 v5, v5, v7, vcc_lo
	s_delay_alu instid0(VALU_DEP_1) | instskip(SKIP_1) | instid1(VALU_DEP_3)
	v_cmp_le_u32_e32 vcc_lo, s28, v5
	s_wait_alu 0xfffd
	v_cndmask_b32_e32 v8, v3, v6, vcc_lo
.LBB101_11:                             ;   in Loop: Header=BB101_3 Depth=1
	s_wait_alu 0xfffe
	s_or_b32 exec_lo, exec_lo, s2
	v_mad_co_u64_u32 v[5:6], null, v4, s10, 0
	s_delay_alu instid0(VALU_DEP_2) | instskip(SKIP_3) | instid1(VALU_DEP_2)
	v_mad_co_u64_u32 v[6:7], null, v8, s28, 0
	s_and_not1_b32 vcc_lo, exec_lo, s47
	v_sub_co_u32 v20, null, v0, v5
	v_sub_co_u32 v21, null, v4, v6
	v_mul_lo_u32 v3, s49, v20
	v_mul_lo_u32 v5, s50, v20
	s_delay_alu instid0(VALU_DEP_2) | instskip(NEXT) | instid1(VALU_DEP_1)
	v_mad_co_u64_u32 v[6:7], null, s20, v21, v[3:4]
	v_mad_co_u64_u32 v[4:5], null, s22, v21, v[5:6]
	s_wait_alu 0xfffe
	s_cbranch_vccnz .LBB101_38
; %bb.12:                               ;   in Loop: Header=BB101_3 Depth=1
	s_mov_b32 s3, 1
	s_and_not1_b32 vcc_lo, exec_lo, s51
	s_mov_b32 s26, s33
	s_mov_b32 s2, s33
	s_wait_alu 0xfffe
	s_cbranch_vccz .LBB101_15
; %bb.13:                               ;   in Loop: Header=BB101_3 Depth=1
	s_and_b32 vcc_lo, exec_lo, s52
	s_mov_b32 s26, s2
	s_wait_alu 0xfffe
	s_cbranch_vccnz .LBB101_20
	s_branch .LBB101_38
.LBB101_14:                             ;   in Loop: Header=BB101_15 Depth=2
	s_wait_alu 0xfffe
	s_or_b32 exec_lo, exec_lo, s2
	s_add_nc_u64 s[34:35], s[0:1], s[34:35]
	s_clause 0x1
	s_load_b32 s2, s[6:7], 0x6c
	s_load_b32 s5, s[34:35], 0x6c
	v_mul_lo_u32 v3, v10, s4
	s_add_co_i32 s26, s26, -1
	s_delay_alu instid0(VALU_DEP_1) | instskip(SKIP_2) | instid1(VALU_DEP_2)
	v_sub_nc_u32_e32 v3, v8, v3
	v_dual_mov_b32 v8, v10 :: v_dual_mov_b32 v9, v11
	s_wait_kmcnt 0x0
	v_mad_co_u64_u32 v[6:7], null, s2, v3, v[6:7]
	v_mad_co_u64_u32 v[4:5], null, s5, v3, v[4:5]
	s_xor_b32 s2, s46, s3
	s_add_co_i32 s3, s3, 1
	s_wait_alu 0xfffe
	s_cmp_lg_u32 s2, 2
	s_cbranch_scc0 .LBB101_19
.LBB101_15:                             ;   Parent Loop BB101_3 Depth=1
                                        ; =>  This Inner Loop Header: Depth=2
	s_lshl_b64 s[34:35], s[26:27], 2
                                        ; implicit-def: $vgpr10_vgpr11
	s_mov_b32 s2, exec_lo
	s_wait_alu 0xfffe
	s_add_nc_u64 s[6:7], s[18:19], s[34:35]
	s_load_b32 s4, s[6:7], 0x8
	s_wait_kmcnt 0x0
	s_ashr_i32 s5, s4, 31
	s_wait_alu 0xfffe
	v_or_b32_e32 v3, s5, v9
	s_delay_alu instid0(VALU_DEP_1)
	v_cmpx_ne_u64_e32 0, v[2:3]
	s_xor_b32 s8, exec_lo, s2
	s_cbranch_execz .LBB101_17
; %bb.16:                               ;   in Loop: Header=BB101_15 Depth=2
	s_ashr_i32 s36, s5, 31
	s_mov_b32 s45, s27
	s_wait_alu 0xfffe
	s_mov_b32 s37, s36
	s_mov_b32 s59, s27
	s_wait_alu 0xfffe
	s_add_nc_u64 s[38:39], s[4:5], s[36:37]
	v_ashrrev_i32_e32 v3, 31, v9
	s_wait_alu 0xfffe
	s_xor_b64 s[38:39], s[38:39], s[36:37]
	s_wait_alu 0xfffe
	s_cvt_f32_u32 s2, s38
	s_cvt_f32_u32 s5, s39
	s_sub_nc_u64 s[42:43], 0, s[38:39]
	v_add_co_u32 v5, vcc_lo, v8, v3
	s_wait_alu 0xfffe
	s_fmamk_f32 s2, s5, 0x4f800000, s2
	s_wait_alu 0xfffd
	v_add_co_ci_u32_e64 v7, null, v9, v3, vcc_lo
	v_xor_b32_e32 v5, v5, v3
	s_wait_alu 0xfffe
	v_s_rcp_f32 s2, s2
	s_delay_alu instid0(VALU_DEP_2) | instskip(SKIP_1) | instid1(TRANS32_DEP_1)
	v_xor_b32_e32 v7, v7, v3
	v_xor_b32_e32 v3, s36, v3
	s_mul_f32 s2, s2, 0x5f7ffffc
	s_wait_alu 0xfffe
	s_delay_alu instid0(SALU_CYCLE_2) | instskip(SKIP_1) | instid1(SALU_CYCLE_2)
	s_mul_f32 s5, s2, 0x2f800000
	s_wait_alu 0xfffe
	s_trunc_f32 s5, s5
	s_wait_alu 0xfffe
	s_delay_alu instid0(SALU_CYCLE_2) | instskip(SKIP_2) | instid1(SALU_CYCLE_1)
	s_fmamk_f32 s2, s5, 0xcf800000, s2
	s_cvt_u32_f32 s41, s5
	s_wait_alu 0xfffe
	s_cvt_u32_f32 s40, s2
	s_wait_alu 0xfffe
	s_delay_alu instid0(SALU_CYCLE_2) | instskip(NEXT) | instid1(SALU_CYCLE_1)
	s_mul_u64 s[56:57], s[42:43], s[40:41]
	s_mul_hi_u32 s61, s40, s57
	s_mul_i32 s60, s40, s57
	s_mul_hi_u32 s44, s40, s56
	s_mul_i32 s5, s41, s56
	s_wait_alu 0xfffe
	s_add_nc_u64 s[44:45], s[44:45], s[60:61]
	s_mul_hi_u32 s2, s41, s56
	s_mul_hi_u32 s31, s41, s57
	s_wait_alu 0xfffe
	s_add_co_u32 s5, s44, s5
	s_add_co_ci_u32 s58, s45, s2
	s_mul_i32 s56, s41, s57
	s_add_co_ci_u32 s57, s31, 0
	s_delay_alu instid0(SALU_CYCLE_1)
	s_add_nc_u64 s[44:45], s[58:59], s[56:57]
	s_mov_b32 s57, s27
	s_wait_alu 0xfffe
	s_add_co_u32 s40, s40, s44
	s_cselect_b32 s2, -1, 0
	s_wait_alu 0xfffe
	s_cmp_lg_u32 s2, 0
	s_add_co_ci_u32 s41, s41, s45
	s_mov_b32 s45, s27
	s_wait_alu 0xfffe
	s_mul_u64 s[42:43], s[42:43], s[40:41]
	s_wait_alu 0xfffe
	s_mul_hi_u32 s59, s40, s43
	s_mul_i32 s58, s40, s43
	s_mul_hi_u32 s56, s40, s42
	s_mul_i32 s5, s41, s42
	s_add_nc_u64 s[56:57], s[56:57], s[58:59]
	s_mul_hi_u32 s2, s41, s42
	s_mul_hi_u32 s31, s41, s43
	s_wait_alu 0xfffe
	s_add_co_u32 s5, s56, s5
	s_add_co_ci_u32 s44, s57, s2
	s_mul_i32 s42, s41, s43
	s_add_co_ci_u32 s43, s31, 0
	s_wait_alu 0xfffe
	s_add_nc_u64 s[42:43], s[44:45], s[42:43]
	s_wait_alu 0xfffe
	s_add_co_u32 s2, s40, s42
	s_cselect_b32 s5, -1, 0
	s_wait_alu 0xfffe
	v_mul_hi_u32 v15, v5, s2
	s_cmp_lg_u32 s5, 0
	v_mad_co_u64_u32 v[11:12], null, v7, s2, 0
	s_add_co_ci_u32 s5, s41, s43
	s_wait_alu 0xfffe
	v_mad_co_u64_u32 v[9:10], null, v5, s5, 0
	v_mad_co_u64_u32 v[13:14], null, v7, s5, 0
	s_delay_alu instid0(VALU_DEP_2) | instskip(SKIP_1) | instid1(VALU_DEP_3)
	v_add_co_u32 v9, vcc_lo, v15, v9
	s_wait_alu 0xfffd
	v_add_co_ci_u32_e64 v10, null, 0, v10, vcc_lo
	s_delay_alu instid0(VALU_DEP_2) | instskip(SKIP_1) | instid1(VALU_DEP_2)
	v_add_co_u32 v9, vcc_lo, v9, v11
	s_wait_alu 0xfffd
	v_add_co_ci_u32_e32 v9, vcc_lo, v10, v12, vcc_lo
	s_wait_alu 0xfffd
	v_add_co_ci_u32_e32 v10, vcc_lo, 0, v14, vcc_lo
	s_delay_alu instid0(VALU_DEP_2) | instskip(SKIP_1) | instid1(VALU_DEP_2)
	v_add_co_u32 v11, vcc_lo, v9, v13
	s_wait_alu 0xfffd
	v_add_co_ci_u32_e64 v12, null, 0, v10, vcc_lo
	s_delay_alu instid0(VALU_DEP_2) | instskip(SKIP_1) | instid1(VALU_DEP_3)
	v_mul_lo_u32 v13, s39, v11
	v_mad_co_u64_u32 v[9:10], null, s38, v11, 0
	v_mul_lo_u32 v14, s38, v12
	s_delay_alu instid0(VALU_DEP_2) | instskip(NEXT) | instid1(VALU_DEP_2)
	v_sub_co_u32 v5, vcc_lo, v5, v9
	v_add3_u32 v10, v10, v14, v13
	s_delay_alu instid0(VALU_DEP_1) | instskip(SKIP_2) | instid1(VALU_DEP_2)
	v_sub_nc_u32_e32 v13, v7, v10
	s_wait_alu 0xfffd
	v_sub_co_ci_u32_e64 v7, null, v7, v10, vcc_lo
	v_subrev_co_ci_u32_e64 v9, null, s39, v13, vcc_lo
	v_add_co_u32 v13, s2, v11, 2
	s_wait_alu 0xf1ff
	v_add_co_ci_u32_e64 v14, null, 0, v12, s2
	v_sub_co_u32 v15, s2, v5, s38
	s_wait_alu 0xf1ff
	v_subrev_co_ci_u32_e64 v9, null, 0, v9, s2
	s_delay_alu instid0(VALU_DEP_2) | instskip(SKIP_2) | instid1(VALU_DEP_3)
	v_cmp_le_u32_e32 vcc_lo, s38, v15
	s_wait_alu 0xfffd
	v_cndmask_b32_e64 v10, 0, -1, vcc_lo
	v_cmp_le_u32_e32 vcc_lo, s39, v9
	s_wait_alu 0xfffd
	v_cndmask_b32_e64 v15, 0, -1, vcc_lo
	;; [unrolled: 3-line block ×4, first 2 shown]
	v_cmp_eq_u32_e32 vcc_lo, s39, v9
	s_wait_alu 0xfffd
	v_cndmask_b32_e32 v9, v15, v10, vcc_lo
	v_add_co_u32 v10, vcc_lo, v11, 1
	s_wait_alu 0xfffd
	v_add_co_ci_u32_e64 v15, null, 0, v12, vcc_lo
	v_cmp_eq_u32_e32 vcc_lo, s39, v7
	s_wait_alu 0xfffd
	v_cndmask_b32_e32 v5, v16, v5, vcc_lo
	v_cmp_ne_u32_e32 vcc_lo, 0, v9
	s_delay_alu instid0(VALU_DEP_2) | instskip(SKIP_4) | instid1(VALU_DEP_2)
	v_cmp_ne_u32_e64 s2, 0, v5
	s_wait_alu 0xfffd
	v_cndmask_b32_e32 v5, v10, v13, vcc_lo
	v_cndmask_b32_e32 v7, v15, v14, vcc_lo
	s_wait_alu 0xf1ff
	v_cndmask_b32_e64 v5, v11, v5, s2
	s_delay_alu instid0(VALU_DEP_2) | instskip(NEXT) | instid1(VALU_DEP_2)
	v_cndmask_b32_e64 v7, v12, v7, s2
	v_xor_b32_e32 v5, v5, v3
	s_delay_alu instid0(VALU_DEP_2) | instskip(NEXT) | instid1(VALU_DEP_2)
	v_xor_b32_e32 v7, v7, v3
	v_sub_co_u32 v10, vcc_lo, v5, v3
	s_wait_alu 0xfffd
	s_delay_alu instid0(VALU_DEP_2)
	v_sub_co_ci_u32_e64 v11, null, v7, v3, vcc_lo
.LBB101_17:                             ;   in Loop: Header=BB101_15 Depth=2
	s_wait_alu 0xfffe
	s_and_not1_saveexec_b32 s2, s8
	s_cbranch_execz .LBB101_14
; %bb.18:                               ;   in Loop: Header=BB101_15 Depth=2
	v_cvt_f32_u32_e32 v3, s4
	s_sub_co_i32 s5, 0, s4
	v_mov_b32_e32 v11, v2
	s_delay_alu instid0(VALU_DEP_2) | instskip(NEXT) | instid1(TRANS32_DEP_1)
	v_rcp_iflag_f32_e32 v3, v3
	v_mul_f32_e32 v3, 0x4f7ffffe, v3
	s_delay_alu instid0(VALU_DEP_1) | instskip(SKIP_1) | instid1(VALU_DEP_1)
	v_cvt_u32_f32_e32 v3, v3
	s_wait_alu 0xfffe
	v_mul_lo_u32 v5, s5, v3
	s_delay_alu instid0(VALU_DEP_1) | instskip(NEXT) | instid1(VALU_DEP_1)
	v_mul_hi_u32 v5, v3, v5
	v_add_nc_u32_e32 v3, v3, v5
	s_delay_alu instid0(VALU_DEP_1) | instskip(NEXT) | instid1(VALU_DEP_1)
	v_mul_hi_u32 v3, v8, v3
	v_mul_lo_u32 v5, v3, s4
	v_add_nc_u32_e32 v7, 1, v3
	s_delay_alu instid0(VALU_DEP_2) | instskip(NEXT) | instid1(VALU_DEP_1)
	v_sub_nc_u32_e32 v5, v8, v5
	v_cmp_le_u32_e32 vcc_lo, s4, v5
	v_subrev_nc_u32_e32 v9, s4, v5
	s_wait_alu 0xfffd
	v_cndmask_b32_e32 v3, v3, v7, vcc_lo
	s_delay_alu instid0(VALU_DEP_1) | instskip(NEXT) | instid1(VALU_DEP_3)
	v_add_nc_u32_e32 v7, 1, v3
	v_cndmask_b32_e32 v5, v5, v9, vcc_lo
	s_delay_alu instid0(VALU_DEP_1) | instskip(SKIP_1) | instid1(VALU_DEP_3)
	v_cmp_le_u32_e32 vcc_lo, s4, v5
	s_wait_alu 0xfffd
	v_cndmask_b32_e32 v10, v3, v7, vcc_lo
	s_branch .LBB101_14
.LBB101_19:                             ;   in Loop: Header=BB101_3 Depth=1
	s_mov_b32 s2, s26
	s_and_b32 vcc_lo, exec_lo, s52
	s_wait_alu 0xfffe
	s_mov_b32 s26, s2
	s_cbranch_vccz .LBB101_38
.LBB101_20:                             ;   Parent Loop BB101_3 Depth=1
                                        ; =>  This Inner Loop Header: Depth=2
	s_lshl_b64 s[40:41], s[26:27], 2
                                        ; implicit-def: $vgpr10_vgpr11
	s_mov_b32 s2, exec_lo
	s_wait_alu 0xfffe
	s_add_nc_u64 s[34:35], s[18:19], s[40:41]
	s_load_b32 s4, s[34:35], 0x8
	s_wait_kmcnt 0x0
	s_ashr_i32 s5, s4, 31
	s_wait_alu 0xfffe
	v_or_b32_e32 v3, s5, v9
	s_delay_alu instid0(VALU_DEP_1)
	v_cmpx_ne_u64_e32 0, v[2:3]
	s_xor_b32 s3, exec_lo, s2
	s_cbranch_execz .LBB101_22
; %bb.21:                               ;   in Loop: Header=BB101_20 Depth=2
	s_ashr_i32 s6, s5, 31
	s_mov_b32 s45, s27
	s_wait_alu 0xfffe
	s_mov_b32 s7, s6
	s_mov_b32 s59, s27
	s_wait_alu 0xfffe
	s_add_nc_u64 s[36:37], s[4:5], s[6:7]
	v_ashrrev_i32_e32 v3, 31, v9
	s_wait_alu 0xfffe
	s_xor_b64 s[36:37], s[36:37], s[6:7]
	s_wait_alu 0xfffe
	s_cvt_f32_u32 s2, s36
	s_cvt_f32_u32 s5, s37
	s_sub_nc_u64 s[42:43], 0, s[36:37]
	v_add_co_u32 v5, vcc_lo, v8, v3
	s_wait_alu 0xfffe
	s_fmamk_f32 s2, s5, 0x4f800000, s2
	s_wait_alu 0xfffd
	v_add_co_ci_u32_e64 v7, null, v9, v3, vcc_lo
	v_xor_b32_e32 v5, v5, v3
	s_wait_alu 0xfffe
	v_s_rcp_f32 s2, s2
	s_delay_alu instid0(VALU_DEP_2) | instskip(SKIP_1) | instid1(TRANS32_DEP_1)
	v_xor_b32_e32 v7, v7, v3
	v_xor_b32_e32 v3, s6, v3
	s_mul_f32 s2, s2, 0x5f7ffffc
	s_wait_alu 0xfffe
	s_delay_alu instid0(SALU_CYCLE_2) | instskip(SKIP_1) | instid1(SALU_CYCLE_2)
	s_mul_f32 s5, s2, 0x2f800000
	s_wait_alu 0xfffe
	s_trunc_f32 s5, s5
	s_wait_alu 0xfffe
	s_delay_alu instid0(SALU_CYCLE_2) | instskip(SKIP_2) | instid1(SALU_CYCLE_1)
	s_fmamk_f32 s2, s5, 0xcf800000, s2
	s_cvt_u32_f32 s39, s5
	s_wait_alu 0xfffe
	s_cvt_u32_f32 s38, s2
	s_wait_alu 0xfffe
	s_delay_alu instid0(SALU_CYCLE_2) | instskip(NEXT) | instid1(SALU_CYCLE_1)
	s_mul_u64 s[56:57], s[42:43], s[38:39]
	s_mul_hi_u32 s61, s38, s57
	s_mul_i32 s60, s38, s57
	s_mul_hi_u32 s44, s38, s56
	s_mul_i32 s5, s39, s56
	s_wait_alu 0xfffe
	s_add_nc_u64 s[44:45], s[44:45], s[60:61]
	s_mul_hi_u32 s2, s39, s56
	s_mul_hi_u32 s7, s39, s57
	s_wait_alu 0xfffe
	s_add_co_u32 s5, s44, s5
	s_add_co_ci_u32 s58, s45, s2
	s_mul_i32 s56, s39, s57
	s_add_co_ci_u32 s57, s7, 0
	s_delay_alu instid0(SALU_CYCLE_1)
	s_add_nc_u64 s[44:45], s[58:59], s[56:57]
	s_mov_b32 s57, s27
	s_wait_alu 0xfffe
	s_add_co_u32 s38, s38, s44
	s_cselect_b32 s2, -1, 0
	s_wait_alu 0xfffe
	s_cmp_lg_u32 s2, 0
	s_add_co_ci_u32 s39, s39, s45
	s_mov_b32 s45, s27
	s_wait_alu 0xfffe
	s_mul_u64 s[42:43], s[42:43], s[38:39]
	s_wait_alu 0xfffe
	s_mul_hi_u32 s59, s38, s43
	s_mul_i32 s58, s38, s43
	s_mul_hi_u32 s56, s38, s42
	s_mul_i32 s5, s39, s42
	s_add_nc_u64 s[56:57], s[56:57], s[58:59]
	s_mul_hi_u32 s2, s39, s42
	s_mul_hi_u32 s7, s39, s43
	s_wait_alu 0xfffe
	s_add_co_u32 s5, s56, s5
	s_add_co_ci_u32 s44, s57, s2
	s_mul_i32 s42, s39, s43
	s_add_co_ci_u32 s43, s7, 0
	s_wait_alu 0xfffe
	s_add_nc_u64 s[42:43], s[44:45], s[42:43]
	s_wait_alu 0xfffe
	s_add_co_u32 s2, s38, s42
	s_cselect_b32 s5, -1, 0
	s_wait_alu 0xfffe
	v_mul_hi_u32 v15, v5, s2
	s_cmp_lg_u32 s5, 0
	v_mad_co_u64_u32 v[11:12], null, v7, s2, 0
	s_add_co_ci_u32 s5, s39, s43
	s_wait_alu 0xfffe
	v_mad_co_u64_u32 v[9:10], null, v5, s5, 0
	v_mad_co_u64_u32 v[13:14], null, v7, s5, 0
	s_delay_alu instid0(VALU_DEP_2) | instskip(SKIP_1) | instid1(VALU_DEP_3)
	v_add_co_u32 v9, vcc_lo, v15, v9
	s_wait_alu 0xfffd
	v_add_co_ci_u32_e64 v10, null, 0, v10, vcc_lo
	s_delay_alu instid0(VALU_DEP_2) | instskip(SKIP_1) | instid1(VALU_DEP_2)
	v_add_co_u32 v9, vcc_lo, v9, v11
	s_wait_alu 0xfffd
	v_add_co_ci_u32_e32 v9, vcc_lo, v10, v12, vcc_lo
	s_wait_alu 0xfffd
	v_add_co_ci_u32_e32 v10, vcc_lo, 0, v14, vcc_lo
	s_delay_alu instid0(VALU_DEP_2) | instskip(SKIP_1) | instid1(VALU_DEP_2)
	v_add_co_u32 v11, vcc_lo, v9, v13
	s_wait_alu 0xfffd
	v_add_co_ci_u32_e64 v12, null, 0, v10, vcc_lo
	s_delay_alu instid0(VALU_DEP_2) | instskip(SKIP_1) | instid1(VALU_DEP_3)
	v_mul_lo_u32 v13, s37, v11
	v_mad_co_u64_u32 v[9:10], null, s36, v11, 0
	v_mul_lo_u32 v14, s36, v12
	s_delay_alu instid0(VALU_DEP_2) | instskip(NEXT) | instid1(VALU_DEP_2)
	v_sub_co_u32 v5, vcc_lo, v5, v9
	v_add3_u32 v10, v10, v14, v13
	s_delay_alu instid0(VALU_DEP_1) | instskip(SKIP_2) | instid1(VALU_DEP_2)
	v_sub_nc_u32_e32 v13, v7, v10
	s_wait_alu 0xfffd
	v_sub_co_ci_u32_e64 v7, null, v7, v10, vcc_lo
	v_subrev_co_ci_u32_e64 v9, null, s37, v13, vcc_lo
	v_add_co_u32 v13, s2, v11, 2
	s_wait_alu 0xf1ff
	v_add_co_ci_u32_e64 v14, null, 0, v12, s2
	v_sub_co_u32 v15, s2, v5, s36
	s_wait_alu 0xf1ff
	v_subrev_co_ci_u32_e64 v9, null, 0, v9, s2
	s_delay_alu instid0(VALU_DEP_2) | instskip(SKIP_2) | instid1(VALU_DEP_3)
	v_cmp_le_u32_e32 vcc_lo, s36, v15
	s_wait_alu 0xfffd
	v_cndmask_b32_e64 v10, 0, -1, vcc_lo
	v_cmp_le_u32_e32 vcc_lo, s37, v9
	s_wait_alu 0xfffd
	v_cndmask_b32_e64 v15, 0, -1, vcc_lo
	;; [unrolled: 3-line block ×4, first 2 shown]
	v_cmp_eq_u32_e32 vcc_lo, s37, v9
	s_wait_alu 0xfffd
	v_cndmask_b32_e32 v9, v15, v10, vcc_lo
	v_add_co_u32 v10, vcc_lo, v11, 1
	s_wait_alu 0xfffd
	v_add_co_ci_u32_e64 v15, null, 0, v12, vcc_lo
	v_cmp_eq_u32_e32 vcc_lo, s37, v7
	s_wait_alu 0xfffd
	v_cndmask_b32_e32 v5, v16, v5, vcc_lo
	v_cmp_ne_u32_e32 vcc_lo, 0, v9
	s_delay_alu instid0(VALU_DEP_2) | instskip(SKIP_4) | instid1(VALU_DEP_2)
	v_cmp_ne_u32_e64 s2, 0, v5
	s_wait_alu 0xfffd
	v_cndmask_b32_e32 v5, v10, v13, vcc_lo
	v_cndmask_b32_e32 v7, v15, v14, vcc_lo
	s_wait_alu 0xf1ff
	v_cndmask_b32_e64 v5, v11, v5, s2
	s_delay_alu instid0(VALU_DEP_2) | instskip(NEXT) | instid1(VALU_DEP_2)
	v_cndmask_b32_e64 v7, v12, v7, s2
	v_xor_b32_e32 v5, v5, v3
	s_delay_alu instid0(VALU_DEP_2) | instskip(NEXT) | instid1(VALU_DEP_2)
	v_xor_b32_e32 v7, v7, v3
	v_sub_co_u32 v10, vcc_lo, v5, v3
	s_wait_alu 0xfffd
	s_delay_alu instid0(VALU_DEP_2)
	v_sub_co_ci_u32_e64 v11, null, v7, v3, vcc_lo
.LBB101_22:                             ;   in Loop: Header=BB101_20 Depth=2
	s_wait_alu 0xfffe
	s_and_not1_saveexec_b32 s2, s3
	s_cbranch_execz .LBB101_24
; %bb.23:                               ;   in Loop: Header=BB101_20 Depth=2
	v_cvt_f32_u32_e32 v3, s4
	s_sub_co_i32 s3, 0, s4
	v_mov_b32_e32 v11, v2
	s_delay_alu instid0(VALU_DEP_2) | instskip(NEXT) | instid1(TRANS32_DEP_1)
	v_rcp_iflag_f32_e32 v3, v3
	v_mul_f32_e32 v3, 0x4f7ffffe, v3
	s_delay_alu instid0(VALU_DEP_1) | instskip(SKIP_1) | instid1(VALU_DEP_1)
	v_cvt_u32_f32_e32 v3, v3
	s_wait_alu 0xfffe
	v_mul_lo_u32 v5, s3, v3
	s_delay_alu instid0(VALU_DEP_1) | instskip(NEXT) | instid1(VALU_DEP_1)
	v_mul_hi_u32 v5, v3, v5
	v_add_nc_u32_e32 v3, v3, v5
	s_delay_alu instid0(VALU_DEP_1) | instskip(NEXT) | instid1(VALU_DEP_1)
	v_mul_hi_u32 v3, v8, v3
	v_mul_lo_u32 v5, v3, s4
	v_add_nc_u32_e32 v7, 1, v3
	s_delay_alu instid0(VALU_DEP_2) | instskip(NEXT) | instid1(VALU_DEP_1)
	v_sub_nc_u32_e32 v5, v8, v5
	v_cmp_le_u32_e32 vcc_lo, s4, v5
	v_subrev_nc_u32_e32 v9, s4, v5
	s_wait_alu 0xfffd
	v_cndmask_b32_e32 v3, v3, v7, vcc_lo
	s_delay_alu instid0(VALU_DEP_1) | instskip(NEXT) | instid1(VALU_DEP_3)
	v_add_nc_u32_e32 v7, 1, v3
	v_cndmask_b32_e32 v5, v5, v9, vcc_lo
	s_delay_alu instid0(VALU_DEP_1) | instskip(SKIP_1) | instid1(VALU_DEP_3)
	v_cmp_le_u32_e32 vcc_lo, s4, v5
	s_wait_alu 0xfffd
	v_cndmask_b32_e32 v10, v3, v7, vcc_lo
.LBB101_24:                             ;   in Loop: Header=BB101_20 Depth=2
	s_wait_alu 0xfffe
	s_or_b32 exec_lo, exec_lo, s2
	s_add_co_i32 s2, s26, -1
	s_mov_b32 s3, s27
	s_add_nc_u64 s[40:41], s[0:1], s[40:41]
	s_wait_alu 0xfffe
	s_lshl_b64 s[38:39], s[2:3], 2
                                        ; implicit-def: $vgpr12_vgpr13
	s_mov_b32 s2, exec_lo
	s_wait_alu 0xfffe
	s_add_nc_u64 s[36:37], s[18:19], s[38:39]
	s_clause 0x2
	s_load_b32 s6, s[36:37], 0x8
	s_load_b32 s3, s[34:35], 0x6c
	;; [unrolled: 1-line block ×3, first 2 shown]
	s_wait_kmcnt 0x0
	s_ashr_i32 s7, s6, 31
	s_wait_alu 0xfffe
	v_or_b32_e32 v3, s7, v11
	s_delay_alu instid0(VALU_DEP_1)
	v_cmpx_ne_u64_e32 0, v[2:3]
	s_xor_b32 s8, exec_lo, s2
	s_cbranch_execz .LBB101_26
; %bb.25:                               ;   in Loop: Header=BB101_20 Depth=2
	s_ashr_i32 s34, s7, 31
	s_mov_b32 s57, s27
	s_wait_alu 0xfffe
	s_mov_b32 s35, s34
	s_mov_b32 s61, s27
	s_wait_alu 0xfffe
	s_add_nc_u64 s[40:41], s[6:7], s[34:35]
	v_ashrrev_i32_e32 v3, 31, v11
	s_wait_alu 0xfffe
	s_xor_b64 s[40:41], s[40:41], s[34:35]
	s_wait_alu 0xfffe
	s_cvt_f32_u32 s2, s40
	s_cvt_f32_u32 s7, s41
	s_sub_nc_u64 s[44:45], 0, s[40:41]
	v_add_co_u32 v5, vcc_lo, v10, v3
	s_wait_alu 0xfffe
	s_fmamk_f32 s2, s7, 0x4f800000, s2
	s_wait_alu 0xfffd
	v_add_co_ci_u32_e64 v7, null, v11, v3, vcc_lo
	v_xor_b32_e32 v5, v5, v3
	s_wait_alu 0xfffe
	v_s_rcp_f32 s2, s2
	s_delay_alu instid0(VALU_DEP_2) | instskip(SKIP_1) | instid1(TRANS32_DEP_1)
	v_xor_b32_e32 v7, v7, v3
	v_xor_b32_e32 v3, s34, v3
	s_mul_f32 s2, s2, 0x5f7ffffc
	s_wait_alu 0xfffe
	s_delay_alu instid0(SALU_CYCLE_2) | instskip(SKIP_1) | instid1(SALU_CYCLE_2)
	s_mul_f32 s7, s2, 0x2f800000
	s_wait_alu 0xfffe
	s_trunc_f32 s7, s7
	s_wait_alu 0xfffe
	s_delay_alu instid0(SALU_CYCLE_2) | instskip(SKIP_2) | instid1(SALU_CYCLE_1)
	s_fmamk_f32 s2, s7, 0xcf800000, s2
	s_cvt_u32_f32 s43, s7
	s_wait_alu 0xfffe
	s_cvt_u32_f32 s42, s2
	s_wait_alu 0xfffe
	s_delay_alu instid0(SALU_CYCLE_2) | instskip(NEXT) | instid1(SALU_CYCLE_1)
	s_mul_u64 s[58:59], s[44:45], s[42:43]
	s_mul_hi_u32 s63, s42, s59
	s_mul_i32 s62, s42, s59
	s_mul_hi_u32 s56, s42, s58
	s_mul_i32 s7, s43, s58
	s_add_nc_u64 s[56:57], s[56:57], s[62:63]
	s_mul_hi_u32 s2, s43, s58
	s_mul_hi_u32 s31, s43, s59
	s_wait_alu 0xfffe
	s_add_co_u32 s7, s56, s7
	s_add_co_ci_u32 s60, s57, s2
	s_mul_i32 s58, s43, s59
	s_add_co_ci_u32 s59, s31, 0
	s_delay_alu instid0(SALU_CYCLE_1)
	s_add_nc_u64 s[56:57], s[60:61], s[58:59]
	s_mov_b32 s59, s27
	s_add_co_u32 s42, s42, s56
	s_cselect_b32 s2, -1, 0
	s_wait_alu 0xfffe
	s_cmp_lg_u32 s2, 0
	s_add_co_ci_u32 s43, s43, s57
	s_mov_b32 s57, s27
	s_wait_alu 0xfffe
	s_mul_u64 s[44:45], s[44:45], s[42:43]
	s_wait_alu 0xfffe
	s_mul_hi_u32 s61, s42, s45
	s_mul_i32 s60, s42, s45
	s_mul_hi_u32 s58, s42, s44
	s_mul_i32 s7, s43, s44
	s_add_nc_u64 s[58:59], s[58:59], s[60:61]
	s_mul_hi_u32 s2, s43, s44
	s_mul_hi_u32 s31, s43, s45
	s_wait_alu 0xfffe
	s_add_co_u32 s7, s58, s7
	s_add_co_ci_u32 s56, s59, s2
	s_mul_i32 s44, s43, s45
	s_add_co_ci_u32 s45, s31, 0
	s_wait_alu 0xfffe
	s_add_nc_u64 s[44:45], s[56:57], s[44:45]
	s_wait_alu 0xfffe
	s_add_co_u32 s2, s42, s44
	s_cselect_b32 s7, -1, 0
	s_wait_alu 0xfffe
	v_mul_hi_u32 v9, v5, s2
	s_cmp_lg_u32 s7, 0
	v_mad_co_u64_u32 v[13:14], null, v7, s2, 0
	s_add_co_ci_u32 s7, s43, s45
	s_wait_alu 0xfffe
	v_mad_co_u64_u32 v[11:12], null, v5, s7, 0
	v_mad_co_u64_u32 v[15:16], null, v7, s7, 0
	s_delay_alu instid0(VALU_DEP_2) | instskip(SKIP_1) | instid1(VALU_DEP_3)
	v_add_co_u32 v9, vcc_lo, v9, v11
	s_wait_alu 0xfffd
	v_add_co_ci_u32_e64 v11, null, 0, v12, vcc_lo
	s_delay_alu instid0(VALU_DEP_2) | instskip(SKIP_1) | instid1(VALU_DEP_2)
	v_add_co_u32 v9, vcc_lo, v9, v13
	s_wait_alu 0xfffd
	v_add_co_ci_u32_e32 v9, vcc_lo, v11, v14, vcc_lo
	s_wait_alu 0xfffd
	v_add_co_ci_u32_e32 v11, vcc_lo, 0, v16, vcc_lo
	s_delay_alu instid0(VALU_DEP_2) | instskip(SKIP_1) | instid1(VALU_DEP_2)
	v_add_co_u32 v9, vcc_lo, v9, v15
	s_wait_alu 0xfffd
	v_add_co_ci_u32_e64 v13, null, 0, v11, vcc_lo
	s_delay_alu instid0(VALU_DEP_2) | instskip(SKIP_1) | instid1(VALU_DEP_3)
	v_mul_lo_u32 v14, s41, v9
	v_mad_co_u64_u32 v[11:12], null, s40, v9, 0
	v_mul_lo_u32 v15, s40, v13
	s_delay_alu instid0(VALU_DEP_2) | instskip(NEXT) | instid1(VALU_DEP_2)
	v_sub_co_u32 v5, vcc_lo, v5, v11
	v_add3_u32 v12, v12, v15, v14
	s_delay_alu instid0(VALU_DEP_1) | instskip(SKIP_2) | instid1(VALU_DEP_2)
	v_sub_nc_u32_e32 v14, v7, v12
	s_wait_alu 0xfffd
	v_sub_co_ci_u32_e64 v7, null, v7, v12, vcc_lo
	v_subrev_co_ci_u32_e64 v11, null, s41, v14, vcc_lo
	v_add_co_u32 v14, s2, v9, 2
	s_wait_alu 0xf1ff
	v_add_co_ci_u32_e64 v15, null, 0, v13, s2
	v_sub_co_u32 v16, s2, v5, s40
	s_wait_alu 0xf1ff
	v_subrev_co_ci_u32_e64 v11, null, 0, v11, s2
	s_delay_alu instid0(VALU_DEP_2) | instskip(SKIP_2) | instid1(VALU_DEP_3)
	v_cmp_le_u32_e32 vcc_lo, s40, v16
	s_wait_alu 0xfffd
	v_cndmask_b32_e64 v12, 0, -1, vcc_lo
	v_cmp_le_u32_e32 vcc_lo, s41, v11
	s_wait_alu 0xfffd
	v_cndmask_b32_e64 v16, 0, -1, vcc_lo
	;; [unrolled: 3-line block ×4, first 2 shown]
	v_cmp_eq_u32_e32 vcc_lo, s41, v11
	s_wait_alu 0xfffd
	v_cndmask_b32_e32 v11, v16, v12, vcc_lo
	v_add_co_u32 v12, vcc_lo, v9, 1
	s_wait_alu 0xfffd
	v_add_co_ci_u32_e64 v16, null, 0, v13, vcc_lo
	v_cmp_eq_u32_e32 vcc_lo, s41, v7
	s_wait_alu 0xfffd
	v_cndmask_b32_e32 v5, v17, v5, vcc_lo
	v_cmp_ne_u32_e32 vcc_lo, 0, v11
	s_delay_alu instid0(VALU_DEP_2) | instskip(SKIP_4) | instid1(VALU_DEP_2)
	v_cmp_ne_u32_e64 s2, 0, v5
	s_wait_alu 0xfffd
	v_cndmask_b32_e32 v5, v12, v14, vcc_lo
	v_cndmask_b32_e32 v7, v16, v15, vcc_lo
	s_wait_alu 0xf1ff
	v_cndmask_b32_e64 v5, v9, v5, s2
	s_delay_alu instid0(VALU_DEP_2) | instskip(NEXT) | instid1(VALU_DEP_2)
	v_cndmask_b32_e64 v7, v13, v7, s2
	v_xor_b32_e32 v5, v5, v3
	s_delay_alu instid0(VALU_DEP_2) | instskip(NEXT) | instid1(VALU_DEP_2)
	v_xor_b32_e32 v7, v7, v3
	v_sub_co_u32 v12, vcc_lo, v5, v3
	s_wait_alu 0xfffd
	s_delay_alu instid0(VALU_DEP_2)
	v_sub_co_ci_u32_e64 v13, null, v7, v3, vcc_lo
.LBB101_26:                             ;   in Loop: Header=BB101_20 Depth=2
	s_wait_alu 0xfffe
	s_and_not1_saveexec_b32 s2, s8
	s_cbranch_execz .LBB101_28
; %bb.27:                               ;   in Loop: Header=BB101_20 Depth=2
	v_cvt_f32_u32_e32 v3, s6
	s_sub_co_i32 s7, 0, s6
	v_mov_b32_e32 v13, v2
	s_delay_alu instid0(VALU_DEP_2) | instskip(NEXT) | instid1(TRANS32_DEP_1)
	v_rcp_iflag_f32_e32 v3, v3
	v_mul_f32_e32 v3, 0x4f7ffffe, v3
	s_delay_alu instid0(VALU_DEP_1) | instskip(SKIP_1) | instid1(VALU_DEP_1)
	v_cvt_u32_f32_e32 v3, v3
	s_wait_alu 0xfffe
	v_mul_lo_u32 v5, s7, v3
	s_delay_alu instid0(VALU_DEP_1) | instskip(NEXT) | instid1(VALU_DEP_1)
	v_mul_hi_u32 v5, v3, v5
	v_add_nc_u32_e32 v3, v3, v5
	s_delay_alu instid0(VALU_DEP_1) | instskip(NEXT) | instid1(VALU_DEP_1)
	v_mul_hi_u32 v3, v10, v3
	v_mul_lo_u32 v5, v3, s6
	v_add_nc_u32_e32 v7, 1, v3
	s_delay_alu instid0(VALU_DEP_2) | instskip(NEXT) | instid1(VALU_DEP_1)
	v_sub_nc_u32_e32 v5, v10, v5
	v_cmp_le_u32_e32 vcc_lo, s6, v5
	v_subrev_nc_u32_e32 v9, s6, v5
	s_wait_alu 0xfffd
	v_cndmask_b32_e32 v3, v3, v7, vcc_lo
	s_delay_alu instid0(VALU_DEP_1) | instskip(NEXT) | instid1(VALU_DEP_3)
	v_add_nc_u32_e32 v7, 1, v3
	v_cndmask_b32_e32 v5, v5, v9, vcc_lo
	s_delay_alu instid0(VALU_DEP_1) | instskip(SKIP_1) | instid1(VALU_DEP_3)
	v_cmp_le_u32_e32 vcc_lo, s6, v5
	s_wait_alu 0xfffd
	v_cndmask_b32_e32 v12, v3, v7, vcc_lo
.LBB101_28:                             ;   in Loop: Header=BB101_20 Depth=2
	s_wait_alu 0xfffe
	s_or_b32 exec_lo, exec_lo, s2
	s_add_co_i32 s34, s26, -2
	s_mov_b32 s35, s27
	s_add_nc_u64 s[38:39], s[0:1], s[38:39]
	s_wait_alu 0xfffe
	s_lshl_b64 s[44:45], s[34:35], 2
                                        ; implicit-def: $vgpr14_vgpr15
	s_mov_b32 s2, exec_lo
	s_wait_alu 0xfffe
	s_add_nc_u64 s[42:43], s[18:19], s[44:45]
	s_clause 0x2
	s_load_b32 s34, s[42:43], 0x8
	s_load_b32 s7, s[36:37], 0x6c
	;; [unrolled: 1-line block ×3, first 2 shown]
	s_wait_kmcnt 0x0
	s_ashr_i32 s35, s34, 31
	s_wait_alu 0xfffe
	v_or_b32_e32 v3, s35, v13
	s_delay_alu instid0(VALU_DEP_1)
	v_cmpx_ne_u64_e32 0, v[2:3]
	s_xor_b32 s31, exec_lo, s2
	s_cbranch_execz .LBB101_30
; %bb.29:                               ;   in Loop: Header=BB101_20 Depth=2
	s_ashr_i32 s36, s35, 31
	s_mov_b32 s59, s27
	s_wait_alu 0xfffe
	s_mov_b32 s37, s36
	s_mov_b32 s63, s27
	s_wait_alu 0xfffe
	s_add_nc_u64 s[38:39], s[34:35], s[36:37]
	v_ashrrev_i32_e32 v3, 31, v13
	s_wait_alu 0xfffe
	s_xor_b64 s[38:39], s[38:39], s[36:37]
	s_wait_alu 0xfffe
	s_cvt_f32_u32 s2, s38
	s_cvt_f32_u32 s35, s39
	s_sub_nc_u64 s[56:57], 0, s[38:39]
	v_add_co_u32 v5, vcc_lo, v12, v3
	s_wait_alu 0xfffe
	s_fmamk_f32 s2, s35, 0x4f800000, s2
	s_wait_alu 0xfffd
	v_add_co_ci_u32_e64 v7, null, v13, v3, vcc_lo
	v_xor_b32_e32 v5, v5, v3
	s_wait_alu 0xfffe
	v_s_rcp_f32 s2, s2
	s_delay_alu instid0(VALU_DEP_2) | instskip(SKIP_1) | instid1(TRANS32_DEP_1)
	v_xor_b32_e32 v7, v7, v3
	v_xor_b32_e32 v3, s36, v3
	s_mul_f32 s2, s2, 0x5f7ffffc
	s_wait_alu 0xfffe
	s_delay_alu instid0(SALU_CYCLE_2) | instskip(SKIP_1) | instid1(SALU_CYCLE_2)
	s_mul_f32 s35, s2, 0x2f800000
	s_wait_alu 0xfffe
	s_trunc_f32 s35, s35
	s_wait_alu 0xfffe
	s_delay_alu instid0(SALU_CYCLE_2) | instskip(SKIP_2) | instid1(SALU_CYCLE_1)
	s_fmamk_f32 s2, s35, 0xcf800000, s2
	s_cvt_u32_f32 s41, s35
	s_wait_alu 0xfffe
	s_cvt_u32_f32 s40, s2
	s_wait_alu 0xfffe
	s_delay_alu instid0(SALU_CYCLE_2) | instskip(NEXT) | instid1(SALU_CYCLE_1)
	s_mul_u64 s[60:61], s[56:57], s[40:41]
	s_mul_hi_u32 s65, s40, s61
	s_mul_i32 s64, s40, s61
	s_mul_hi_u32 s58, s40, s60
	s_mul_i32 s35, s41, s60
	s_add_nc_u64 s[58:59], s[58:59], s[64:65]
	s_mul_hi_u32 s2, s41, s60
	s_mul_hi_u32 s37, s41, s61
	s_wait_alu 0xfffe
	s_add_co_u32 s35, s58, s35
	s_add_co_ci_u32 s62, s59, s2
	s_mul_i32 s60, s41, s61
	s_add_co_ci_u32 s61, s37, 0
	s_delay_alu instid0(SALU_CYCLE_1)
	s_add_nc_u64 s[58:59], s[62:63], s[60:61]
	s_mov_b32 s61, s27
	s_add_co_u32 s40, s40, s58
	s_cselect_b32 s2, -1, 0
	s_wait_alu 0xfffe
	s_cmp_lg_u32 s2, 0
	s_add_co_ci_u32 s41, s41, s59
	s_mov_b32 s59, s27
	s_wait_alu 0xfffe
	s_mul_u64 s[56:57], s[56:57], s[40:41]
	s_delay_alu instid0(SALU_CYCLE_1)
	s_mul_hi_u32 s63, s40, s57
	s_mul_i32 s62, s40, s57
	s_mul_hi_u32 s60, s40, s56
	s_mul_i32 s35, s41, s56
	s_add_nc_u64 s[60:61], s[60:61], s[62:63]
	s_mul_hi_u32 s2, s41, s56
	s_mul_hi_u32 s37, s41, s57
	s_wait_alu 0xfffe
	s_add_co_u32 s35, s60, s35
	s_add_co_ci_u32 s58, s61, s2
	s_mul_i32 s56, s41, s57
	s_add_co_ci_u32 s57, s37, 0
	s_delay_alu instid0(SALU_CYCLE_1) | instskip(NEXT) | instid1(SALU_CYCLE_1)
	s_add_nc_u64 s[56:57], s[58:59], s[56:57]
	s_add_co_u32 s2, s40, s56
	s_cselect_b32 s35, -1, 0
	s_wait_alu 0xfffe
	v_mul_hi_u32 v9, v5, s2
	s_cmp_lg_u32 s35, 0
	v_mad_co_u64_u32 v[15:16], null, v7, s2, 0
	s_add_co_ci_u32 s35, s41, s57
	s_wait_alu 0xfffe
	v_mad_co_u64_u32 v[13:14], null, v5, s35, 0
	v_mad_co_u64_u32 v[22:23], null, v7, s35, 0
	s_delay_alu instid0(VALU_DEP_2) | instskip(SKIP_1) | instid1(VALU_DEP_3)
	v_add_co_u32 v9, vcc_lo, v9, v13
	s_wait_alu 0xfffd
	v_add_co_ci_u32_e64 v11, null, 0, v14, vcc_lo
	s_delay_alu instid0(VALU_DEP_2) | instskip(SKIP_1) | instid1(VALU_DEP_2)
	v_add_co_u32 v9, vcc_lo, v9, v15
	s_wait_alu 0xfffd
	v_add_co_ci_u32_e32 v9, vcc_lo, v11, v16, vcc_lo
	s_wait_alu 0xfffd
	v_add_co_ci_u32_e32 v11, vcc_lo, 0, v23, vcc_lo
	s_delay_alu instid0(VALU_DEP_2) | instskip(SKIP_1) | instid1(VALU_DEP_2)
	v_add_co_u32 v9, vcc_lo, v9, v22
	s_wait_alu 0xfffd
	v_add_co_ci_u32_e64 v11, null, 0, v11, vcc_lo
	s_delay_alu instid0(VALU_DEP_2) | instskip(SKIP_1) | instid1(VALU_DEP_3)
	v_mul_lo_u32 v15, s39, v9
	v_mad_co_u64_u32 v[13:14], null, s38, v9, 0
	v_mul_lo_u32 v16, s38, v11
	s_delay_alu instid0(VALU_DEP_2) | instskip(NEXT) | instid1(VALU_DEP_2)
	v_sub_co_u32 v5, vcc_lo, v5, v13
	v_add3_u32 v14, v14, v16, v15
	s_delay_alu instid0(VALU_DEP_1) | instskip(SKIP_2) | instid1(VALU_DEP_2)
	v_sub_nc_u32_e32 v15, v7, v14
	s_wait_alu 0xfffd
	v_sub_co_ci_u32_e64 v7, null, v7, v14, vcc_lo
	v_subrev_co_ci_u32_e64 v13, null, s39, v15, vcc_lo
	v_add_co_u32 v15, s2, v9, 2
	s_wait_alu 0xf1ff
	v_add_co_ci_u32_e64 v16, null, 0, v11, s2
	v_sub_co_u32 v17, s2, v5, s38
	s_wait_alu 0xf1ff
	v_subrev_co_ci_u32_e64 v13, null, 0, v13, s2
	s_delay_alu instid0(VALU_DEP_2) | instskip(SKIP_2) | instid1(VALU_DEP_3)
	v_cmp_le_u32_e32 vcc_lo, s38, v17
	s_wait_alu 0xfffd
	v_cndmask_b32_e64 v14, 0, -1, vcc_lo
	v_cmp_le_u32_e32 vcc_lo, s39, v13
	s_wait_alu 0xfffd
	v_cndmask_b32_e64 v17, 0, -1, vcc_lo
	v_cmp_le_u32_e32 vcc_lo, s38, v5
	s_wait_alu 0xfffd
	v_cndmask_b32_e64 v5, 0, -1, vcc_lo
	v_cmp_le_u32_e32 vcc_lo, s39, v7
	s_wait_alu 0xfffd
	v_cndmask_b32_e64 v22, 0, -1, vcc_lo
	v_cmp_eq_u32_e32 vcc_lo, s39, v13
	s_wait_alu 0xfffd
	v_cndmask_b32_e32 v13, v17, v14, vcc_lo
	v_add_co_u32 v14, vcc_lo, v9, 1
	s_wait_alu 0xfffd
	v_add_co_ci_u32_e64 v17, null, 0, v11, vcc_lo
	v_cmp_eq_u32_e32 vcc_lo, s39, v7
	s_wait_alu 0xfffd
	v_cndmask_b32_e32 v5, v22, v5, vcc_lo
	v_cmp_ne_u32_e32 vcc_lo, 0, v13
	s_delay_alu instid0(VALU_DEP_2) | instskip(SKIP_4) | instid1(VALU_DEP_2)
	v_cmp_ne_u32_e64 s2, 0, v5
	s_wait_alu 0xfffd
	v_cndmask_b32_e32 v5, v14, v15, vcc_lo
	v_cndmask_b32_e32 v7, v17, v16, vcc_lo
	s_wait_alu 0xf1ff
	v_cndmask_b32_e64 v5, v9, v5, s2
	s_delay_alu instid0(VALU_DEP_2) | instskip(NEXT) | instid1(VALU_DEP_2)
	v_cndmask_b32_e64 v7, v11, v7, s2
	v_xor_b32_e32 v5, v5, v3
	s_delay_alu instid0(VALU_DEP_2) | instskip(NEXT) | instid1(VALU_DEP_2)
	v_xor_b32_e32 v7, v7, v3
	v_sub_co_u32 v14, vcc_lo, v5, v3
	s_wait_alu 0xfffd
	s_delay_alu instid0(VALU_DEP_2)
	v_sub_co_ci_u32_e64 v15, null, v7, v3, vcc_lo
.LBB101_30:                             ;   in Loop: Header=BB101_20 Depth=2
	s_wait_alu 0xfffe
	s_and_not1_saveexec_b32 s2, s31
	s_cbranch_execz .LBB101_32
; %bb.31:                               ;   in Loop: Header=BB101_20 Depth=2
	v_cvt_f32_u32_e32 v3, s34
	s_sub_co_i32 s31, 0, s34
	v_mov_b32_e32 v15, v2
	s_delay_alu instid0(VALU_DEP_2) | instskip(NEXT) | instid1(TRANS32_DEP_1)
	v_rcp_iflag_f32_e32 v3, v3
	v_mul_f32_e32 v3, 0x4f7ffffe, v3
	s_delay_alu instid0(VALU_DEP_1) | instskip(SKIP_1) | instid1(VALU_DEP_1)
	v_cvt_u32_f32_e32 v3, v3
	s_wait_alu 0xfffe
	v_mul_lo_u32 v5, s31, v3
	s_delay_alu instid0(VALU_DEP_1) | instskip(NEXT) | instid1(VALU_DEP_1)
	v_mul_hi_u32 v5, v3, v5
	v_add_nc_u32_e32 v3, v3, v5
	s_delay_alu instid0(VALU_DEP_1) | instskip(NEXT) | instid1(VALU_DEP_1)
	v_mul_hi_u32 v3, v12, v3
	v_mul_lo_u32 v5, v3, s34
	v_add_nc_u32_e32 v7, 1, v3
	s_delay_alu instid0(VALU_DEP_2) | instskip(NEXT) | instid1(VALU_DEP_1)
	v_sub_nc_u32_e32 v5, v12, v5
	v_cmp_le_u32_e32 vcc_lo, s34, v5
	v_subrev_nc_u32_e32 v9, s34, v5
	s_wait_alu 0xfffd
	v_cndmask_b32_e32 v3, v3, v7, vcc_lo
	s_delay_alu instid0(VALU_DEP_1) | instskip(NEXT) | instid1(VALU_DEP_3)
	v_add_nc_u32_e32 v7, 1, v3
	v_cndmask_b32_e32 v5, v5, v9, vcc_lo
	s_delay_alu instid0(VALU_DEP_1) | instskip(SKIP_1) | instid1(VALU_DEP_3)
	v_cmp_le_u32_e32 vcc_lo, s34, v5
	s_wait_alu 0xfffd
	v_cndmask_b32_e32 v14, v3, v7, vcc_lo
.LBB101_32:                             ;   in Loop: Header=BB101_20 Depth=2
	s_wait_alu 0xfffe
	s_or_b32 exec_lo, exec_lo, s2
	s_add_co_i32 s36, s26, -3
	s_mov_b32 s37, s27
	s_add_nc_u64 s[44:45], s[0:1], s[44:45]
	s_wait_alu 0xfffe
	s_lshl_b64 s[40:41], s[36:37], 2
                                        ; implicit-def: $vgpr16_vgpr17
	s_mov_b32 s2, exec_lo
	s_wait_alu 0xfffe
	s_add_nc_u64 s[38:39], s[18:19], s[40:41]
	s_clause 0x2
	s_load_b32 s36, s[38:39], 0x8
	s_load_b32 s31, s[42:43], 0x6c
	;; [unrolled: 1-line block ×3, first 2 shown]
	s_wait_kmcnt 0x0
	s_ashr_i32 s37, s36, 31
	s_wait_alu 0xfffe
	v_or_b32_e32 v3, s37, v15
	s_delay_alu instid0(VALU_DEP_1)
	v_cmpx_ne_u64_e32 0, v[2:3]
	s_xor_b32 s56, exec_lo, s2
	s_cbranch_execz .LBB101_34
; %bb.33:                               ;   in Loop: Header=BB101_20 Depth=2
	s_ashr_i32 s42, s37, 31
	s_mov_b32 s63, s27
	s_wait_alu 0xfffe
	s_mov_b32 s43, s42
	s_mov_b32 s67, s27
	s_wait_alu 0xfffe
	s_add_nc_u64 s[44:45], s[36:37], s[42:43]
	v_ashrrev_i32_e32 v3, 31, v15
	s_wait_alu 0xfffe
	s_xor_b64 s[44:45], s[44:45], s[42:43]
	s_wait_alu 0xfffe
	s_cvt_f32_u32 s2, s44
	s_cvt_f32_u32 s37, s45
	s_sub_nc_u64 s[60:61], 0, s[44:45]
	v_add_co_u32 v5, vcc_lo, v14, v3
	s_wait_alu 0xfffe
	s_fmamk_f32 s2, s37, 0x4f800000, s2
	s_wait_alu 0xfffd
	v_add_co_ci_u32_e64 v7, null, v15, v3, vcc_lo
	v_xor_b32_e32 v5, v5, v3
	s_wait_alu 0xfffe
	v_s_rcp_f32 s2, s2
	s_delay_alu instid0(VALU_DEP_2) | instskip(SKIP_1) | instid1(TRANS32_DEP_1)
	v_xor_b32_e32 v7, v7, v3
	v_xor_b32_e32 v3, s42, v3
	s_mul_f32 s2, s2, 0x5f7ffffc
	s_wait_alu 0xfffe
	s_delay_alu instid0(SALU_CYCLE_2) | instskip(SKIP_1) | instid1(SALU_CYCLE_2)
	s_mul_f32 s37, s2, 0x2f800000
	s_wait_alu 0xfffe
	s_trunc_f32 s37, s37
	s_wait_alu 0xfffe
	s_delay_alu instid0(SALU_CYCLE_2) | instskip(SKIP_2) | instid1(SALU_CYCLE_1)
	s_fmamk_f32 s2, s37, 0xcf800000, s2
	s_cvt_u32_f32 s59, s37
	s_wait_alu 0xfffe
	s_cvt_u32_f32 s58, s2
	s_delay_alu instid0(SALU_CYCLE_3) | instskip(NEXT) | instid1(SALU_CYCLE_1)
	s_mul_u64 s[64:65], s[60:61], s[58:59]
	s_mul_hi_u32 s69, s58, s65
	s_mul_i32 s68, s58, s65
	s_mul_hi_u32 s62, s58, s64
	s_mul_i32 s37, s59, s64
	s_add_nc_u64 s[62:63], s[62:63], s[68:69]
	s_mul_hi_u32 s2, s59, s64
	s_mul_hi_u32 s43, s59, s65
	s_wait_alu 0xfffe
	s_add_co_u32 s37, s62, s37
	s_add_co_ci_u32 s66, s63, s2
	s_mul_i32 s64, s59, s65
	s_add_co_ci_u32 s65, s43, 0
	s_delay_alu instid0(SALU_CYCLE_1)
	s_add_nc_u64 s[62:63], s[66:67], s[64:65]
	s_mov_b32 s65, s27
	s_add_co_u32 s58, s58, s62
	s_cselect_b32 s2, -1, 0
	s_wait_alu 0xfffe
	s_cmp_lg_u32 s2, 0
	s_add_co_ci_u32 s59, s59, s63
	s_mov_b32 s63, s27
	s_mul_u64 s[60:61], s[60:61], s[58:59]
	s_delay_alu instid0(SALU_CYCLE_1)
	s_mul_hi_u32 s67, s58, s61
	s_mul_i32 s66, s58, s61
	s_mul_hi_u32 s64, s58, s60
	s_mul_i32 s37, s59, s60
	s_add_nc_u64 s[64:65], s[64:65], s[66:67]
	s_mul_hi_u32 s2, s59, s60
	s_mul_hi_u32 s43, s59, s61
	s_wait_alu 0xfffe
	s_add_co_u32 s37, s64, s37
	s_add_co_ci_u32 s62, s65, s2
	s_mul_i32 s60, s59, s61
	s_add_co_ci_u32 s61, s43, 0
	s_delay_alu instid0(SALU_CYCLE_1) | instskip(NEXT) | instid1(SALU_CYCLE_1)
	s_add_nc_u64 s[60:61], s[62:63], s[60:61]
	s_add_co_u32 s2, s58, s60
	s_cselect_b32 s37, -1, 0
	s_wait_alu 0xfffe
	v_mul_hi_u32 v9, v5, s2
	s_cmp_lg_u32 s37, 0
	v_mad_co_u64_u32 v[22:23], null, v7, s2, 0
	s_add_co_ci_u32 s37, s59, s61
	s_wait_alu 0xfffe
	v_mad_co_u64_u32 v[15:16], null, v5, s37, 0
	v_mad_co_u64_u32 v[24:25], null, v7, s37, 0
	s_delay_alu instid0(VALU_DEP_2) | instskip(SKIP_1) | instid1(VALU_DEP_3)
	v_add_co_u32 v9, vcc_lo, v9, v15
	s_wait_alu 0xfffd
	v_add_co_ci_u32_e64 v11, null, 0, v16, vcc_lo
	s_delay_alu instid0(VALU_DEP_2) | instskip(SKIP_1) | instid1(VALU_DEP_2)
	v_add_co_u32 v9, vcc_lo, v9, v22
	s_wait_alu 0xfffd
	v_add_co_ci_u32_e32 v9, vcc_lo, v11, v23, vcc_lo
	s_wait_alu 0xfffd
	v_add_co_ci_u32_e32 v11, vcc_lo, 0, v25, vcc_lo
	s_delay_alu instid0(VALU_DEP_2) | instskip(SKIP_1) | instid1(VALU_DEP_2)
	v_add_co_u32 v9, vcc_lo, v9, v24
	s_wait_alu 0xfffd
	v_add_co_ci_u32_e64 v11, null, 0, v11, vcc_lo
	s_delay_alu instid0(VALU_DEP_2) | instskip(SKIP_1) | instid1(VALU_DEP_3)
	v_mul_lo_u32 v13, s45, v9
	v_mad_co_u64_u32 v[15:16], null, s44, v9, 0
	v_mul_lo_u32 v17, s44, v11
	s_delay_alu instid0(VALU_DEP_2) | instskip(NEXT) | instid1(VALU_DEP_2)
	v_sub_co_u32 v5, vcc_lo, v5, v15
	v_add3_u32 v13, v16, v17, v13
	s_delay_alu instid0(VALU_DEP_1) | instskip(SKIP_2) | instid1(VALU_DEP_2)
	v_sub_nc_u32_e32 v16, v7, v13
	s_wait_alu 0xfffd
	v_sub_co_ci_u32_e64 v7, null, v7, v13, vcc_lo
	v_subrev_co_ci_u32_e64 v15, null, s45, v16, vcc_lo
	v_add_co_u32 v16, s2, v9, 2
	s_wait_alu 0xf1ff
	v_add_co_ci_u32_e64 v17, null, 0, v11, s2
	v_sub_co_u32 v22, s2, v5, s44
	s_wait_alu 0xf1ff
	v_subrev_co_ci_u32_e64 v15, null, 0, v15, s2
	s_delay_alu instid0(VALU_DEP_2) | instskip(SKIP_2) | instid1(VALU_DEP_3)
	v_cmp_le_u32_e32 vcc_lo, s44, v22
	s_wait_alu 0xfffd
	v_cndmask_b32_e64 v13, 0, -1, vcc_lo
	v_cmp_le_u32_e32 vcc_lo, s45, v15
	s_wait_alu 0xfffd
	v_cndmask_b32_e64 v22, 0, -1, vcc_lo
	;; [unrolled: 3-line block ×4, first 2 shown]
	v_cmp_eq_u32_e32 vcc_lo, s45, v15
	s_wait_alu 0xfffd
	v_cndmask_b32_e32 v13, v22, v13, vcc_lo
	v_add_co_u32 v15, vcc_lo, v9, 1
	s_wait_alu 0xfffd
	v_add_co_ci_u32_e64 v22, null, 0, v11, vcc_lo
	v_cmp_eq_u32_e32 vcc_lo, s45, v7
	s_wait_alu 0xfffd
	v_cndmask_b32_e32 v5, v23, v5, vcc_lo
	v_cmp_ne_u32_e32 vcc_lo, 0, v13
	s_delay_alu instid0(VALU_DEP_2) | instskip(SKIP_4) | instid1(VALU_DEP_2)
	v_cmp_ne_u32_e64 s2, 0, v5
	s_wait_alu 0xfffd
	v_cndmask_b32_e32 v5, v15, v16, vcc_lo
	v_cndmask_b32_e32 v7, v22, v17, vcc_lo
	s_wait_alu 0xf1ff
	v_cndmask_b32_e64 v5, v9, v5, s2
	s_delay_alu instid0(VALU_DEP_2) | instskip(NEXT) | instid1(VALU_DEP_2)
	v_cndmask_b32_e64 v7, v11, v7, s2
	v_xor_b32_e32 v5, v5, v3
	s_delay_alu instid0(VALU_DEP_2) | instskip(NEXT) | instid1(VALU_DEP_2)
	v_xor_b32_e32 v7, v7, v3
	v_sub_co_u32 v16, vcc_lo, v5, v3
	s_wait_alu 0xfffd
	s_delay_alu instid0(VALU_DEP_2)
	v_sub_co_ci_u32_e64 v17, null, v7, v3, vcc_lo
.LBB101_34:                             ;   in Loop: Header=BB101_20 Depth=2
	s_and_not1_saveexec_b32 s2, s56
	s_cbranch_execz .LBB101_36
; %bb.35:                               ;   in Loop: Header=BB101_20 Depth=2
	v_cvt_f32_u32_e32 v3, s36
	s_sub_co_i32 s37, 0, s36
	v_mov_b32_e32 v17, v2
	s_delay_alu instid0(VALU_DEP_2) | instskip(NEXT) | instid1(TRANS32_DEP_1)
	v_rcp_iflag_f32_e32 v3, v3
	v_mul_f32_e32 v3, 0x4f7ffffe, v3
	s_delay_alu instid0(VALU_DEP_1) | instskip(SKIP_1) | instid1(VALU_DEP_1)
	v_cvt_u32_f32_e32 v3, v3
	s_wait_alu 0xfffe
	v_mul_lo_u32 v5, s37, v3
	s_delay_alu instid0(VALU_DEP_1) | instskip(NEXT) | instid1(VALU_DEP_1)
	v_mul_hi_u32 v5, v3, v5
	v_add_nc_u32_e32 v3, v3, v5
	s_delay_alu instid0(VALU_DEP_1) | instskip(NEXT) | instid1(VALU_DEP_1)
	v_mul_hi_u32 v3, v14, v3
	v_mul_lo_u32 v5, v3, s36
	v_add_nc_u32_e32 v7, 1, v3
	s_delay_alu instid0(VALU_DEP_2) | instskip(NEXT) | instid1(VALU_DEP_1)
	v_sub_nc_u32_e32 v5, v14, v5
	v_cmp_le_u32_e32 vcc_lo, s36, v5
	v_subrev_nc_u32_e32 v9, s36, v5
	s_wait_alu 0xfffd
	v_cndmask_b32_e32 v3, v3, v7, vcc_lo
	s_delay_alu instid0(VALU_DEP_1) | instskip(NEXT) | instid1(VALU_DEP_3)
	v_add_nc_u32_e32 v7, 1, v3
	v_cndmask_b32_e32 v5, v5, v9, vcc_lo
	s_delay_alu instid0(VALU_DEP_1) | instskip(SKIP_1) | instid1(VALU_DEP_3)
	v_cmp_le_u32_e32 vcc_lo, s36, v5
	s_wait_alu 0xfffd
	v_cndmask_b32_e32 v16, v3, v7, vcc_lo
.LBB101_36:                             ;   in Loop: Header=BB101_20 Depth=2
	s_wait_alu 0xfffe
	s_or_b32 exec_lo, exec_lo, s2
	s_add_nc_u64 s[40:41], s[0:1], s[40:41]
	v_mul_lo_u32 v3, v10, s4
	s_clause 0x1
	s_load_b32 s2, s[38:39], 0x6c
	s_load_b32 s4, s[40:41], 0x6c
	v_mul_lo_u32 v5, v12, s6
	v_mul_lo_u32 v7, v14, s34
	;; [unrolled: 1-line block ×3, first 2 shown]
	s_add_co_i32 s26, s26, -4
	s_delay_alu instid0(SALU_CYCLE_1) | instskip(SKIP_1) | instid1(VALU_DEP_4)
	s_cmp_eq_u32 s26, -1
	v_sub_nc_u32_e32 v3, v8, v3
	v_sub_nc_u32_e32 v5, v10, v5
	s_delay_alu instid0(VALU_DEP_4) | instskip(NEXT) | instid1(VALU_DEP_4)
	v_sub_nc_u32_e32 v7, v12, v7
	v_sub_nc_u32_e32 v8, v14, v9
	s_delay_alu instid0(VALU_DEP_4)
	v_mul_lo_u32 v9, s3, v3
	v_mul_lo_u32 v3, s5, v3
	;; [unrolled: 1-line block ×6, first 2 shown]
	s_wait_kmcnt 0x0
	v_mul_lo_u32 v12, s2, v8
	v_mul_lo_u32 v8, s4, v8
	v_add3_u32 v6, v9, v6, v10
	v_add3_u32 v3, v3, v4, v5
	s_delay_alu instid0(VALU_DEP_2) | instskip(NEXT) | instid1(VALU_DEP_2)
	v_add3_u32 v6, v11, v6, v12
	v_add3_u32 v4, v7, v3, v8
	s_cbranch_scc1 .LBB101_38
; %bb.37:                               ;   in Loop: Header=BB101_20 Depth=2
	v_dual_mov_b32 v8, v16 :: v_dual_mov_b32 v9, v17
	s_branch .LBB101_20
.LBB101_38:                             ;   in Loop: Header=BB101_3 Depth=1
	v_sub_nc_u32_e32 v5, v20, v21
	v_mov_b32_e32 v3, 0
	s_mov_b32 s26, exec_lo
	s_delay_alu instid0(VALU_DEP_2) | instskip(NEXT) | instid1(VALU_DEP_1)
	v_add_nc_u32_e32 v7, 4, v5
	v_ashrrev_i32_e32 v8, 31, v7
	s_delay_alu instid0(VALU_DEP_1)
	v_cmpx_le_i64_e64 s[12:13], v[7:8]
	s_cbranch_execz .LBB101_48
; %bb.39:                               ;   in Loop: Header=BB101_3 Depth=1
	v_dual_mov_b32 v3, 0 :: v_dual_mov_b32 v10, 0
	v_mov_b32_e32 v9, 0
	v_mov_b32_e32 v11, 0
	s_mov_b32 s2, exec_lo
	v_cmpx_gt_i32_e64 s9, v20
	s_cbranch_execz .LBB101_47
; %bb.40:                               ;   in Loop: Header=BB101_3 Depth=1
	v_ashrrev_i32_e32 v3, 31, v6
	v_add_co_u32 v7, vcc_lo, s16, v6
	v_dual_mov_b32 v9, 0 :: v_dual_add_nc_u32 v10, 1, v20
	s_wait_alu 0xfffd
	s_delay_alu instid0(VALU_DEP_3) | instskip(SKIP_1) | instid1(VALU_DEP_3)
	v_add_co_ci_u32_e64 v8, null, s17, v3, vcc_lo
	v_mov_b32_e32 v11, 0
	v_cmp_gt_i32_e32 vcc_lo, s9, v10
	v_mov_b32_e32 v10, 0
	global_load_u8 v3, v[7:8], off
	s_and_saveexec_b32 s3, vcc_lo
	s_wait_alu 0xfffe
	s_xor_b32 s3, exec_lo, s3
	s_cbranch_execz .LBB101_46
; %bb.41:                               ;   in Loop: Header=BB101_3 Depth=1
	v_add_co_u32 v7, vcc_lo, v7, s49
	s_wait_alu 0xfffd
	v_add_co_ci_u32_e64 v8, null, s53, v8, vcc_lo
	v_mov_b32_e32 v11, 0
	s_mov_b32 s4, exec_lo
	v_mov_b32_e32 v10, 0
	global_load_u8 v9, v[7:8], off
	v_add_nc_u32_e32 v7, 2, v20
	s_delay_alu instid0(VALU_DEP_1)
	v_cmpx_gt_i32_e64 s9, v7
	s_wait_alu 0xfffe
	s_xor_b32 s4, exec_lo, s4
	s_cbranch_execz .LBB101_45
; %bb.42:                               ;   in Loop: Header=BB101_3 Depth=1
	v_dual_mov_b32 v11, 0 :: v_dual_add_nc_u32 v6, s21, v6
	s_mov_b32 s5, exec_lo
	s_delay_alu instid0(VALU_DEP_1) | instskip(SKIP_2) | instid1(VALU_DEP_2)
	v_ashrrev_i32_e32 v8, 31, v6
	v_add_co_u32 v7, vcc_lo, s16, v6
	s_wait_alu 0xfffd
	v_add_co_ci_u32_e64 v8, null, s17, v8, vcc_lo
	global_load_u8 v10, v[7:8], off
	v_add_nc_u32_e32 v7, 3, v20
	s_delay_alu instid0(VALU_DEP_1)
	v_cmpx_gt_i32_e64 s9, v7
	s_wait_alu 0xfffe
	s_xor_b32 s5, exec_lo, s5
	s_cbranch_execz .LBB101_44
; %bb.43:                               ;   in Loop: Header=BB101_3 Depth=1
	v_add_nc_u32_e32 v6, s49, v6
	s_delay_alu instid0(VALU_DEP_1) | instskip(SKIP_2) | instid1(VALU_DEP_2)
	v_ashrrev_i32_e32 v7, 31, v6
	v_add_co_u32 v6, vcc_lo, s16, v6
	s_wait_alu 0xfffd
	v_add_co_ci_u32_e64 v7, null, s17, v7, vcc_lo
	global_load_u8 v11, v[6:7], off
.LBB101_44:                             ;   in Loop: Header=BB101_3 Depth=1
	s_wait_alu 0xfffe
	s_or_b32 exec_lo, exec_lo, s5
.LBB101_45:                             ;   in Loop: Header=BB101_3 Depth=1
	s_wait_alu 0xfffe
	s_or_b32 exec_lo, exec_lo, s4
.LBB101_46:                             ;   in Loop: Header=BB101_3 Depth=1
	s_wait_alu 0xfffe
	s_or_b32 exec_lo, exec_lo, s3
.LBB101_47:                             ;   in Loop: Header=BB101_3 Depth=1
	s_wait_alu 0xfffe
	s_or_b32 exec_lo, exec_lo, s2
	v_ashrrev_i32_e32 v6, 31, v5
	s_wait_loadcnt 0x0
	v_and_b32_e32 v8, 1, v11
	v_add_nc_u32_e32 v7, 1, v5
	v_add_nc_u32_e32 v11, 3, v5
	v_and_b32_e32 v9, 1, v9
	v_cmp_le_i64_e32 vcc_lo, s[12:13], v[5:6]
	v_cmp_eq_u32_e64 s2, 1, v8
	v_ashrrev_i32_e32 v8, 31, v7
	v_add_nc_u32_e32 v5, 2, v5
	v_ashrrev_i32_e32 v12, 31, v11
	v_and_b32_e32 v3, 1, v3
	v_and_b32_e32 v10, 1, v10
	v_cmp_le_i64_e64 s3, s[12:13], v[7:8]
	v_ashrrev_i32_e32 v6, 31, v5
	v_cmp_le_i64_e64 s5, s[12:13], v[11:12]
	v_cmp_eq_u32_e64 s4, 1, v9
	v_cmp_eq_u32_e64 s7, 1, v3
	;; [unrolled: 1-line block ×3, first 2 shown]
	v_cmp_le_i64_e64 s8, s[12:13], v[5:6]
	s_and_b32 s3, s3, s4
	s_and_b32 s2, s5, s2
	s_wait_alu 0xfffe
	v_cndmask_b32_e64 v3, 0, 1, s3
	v_cndmask_b32_e64 v5, 0, 1, s2
	s_and_b32 s2, vcc_lo, s7
	s_wait_alu 0xfffe
	v_cndmask_b32_e64 v6, 0, 1, s2
	s_and_b32 s2, s8, s6
	v_lshlrev_b16 v3, 8, v3
	s_wait_alu 0xfffe
	v_cndmask_b32_e64 v7, 0, 1, s2
	v_lshlrev_b16 v5, 8, v5
	s_delay_alu instid0(VALU_DEP_3) | instskip(NEXT) | instid1(VALU_DEP_2)
	v_or_b32_e32 v3, v6, v3
	v_or_b32_e32 v5, v7, v5
	s_delay_alu instid0(VALU_DEP_2) | instskip(NEXT) | instid1(VALU_DEP_2)
	v_and_b32_e32 v3, 0xffff, v3
	v_lshlrev_b32_e32 v5, 16, v5
	s_delay_alu instid0(VALU_DEP_1)
	v_or_b32_e32 v3, v3, v5
.LBB101_48:                             ;   in Loop: Header=BB101_3 Depth=1
	s_or_b32 exec_lo, exec_lo, s26
	s_delay_alu instid0(SALU_CYCLE_1)
	s_mov_b32 s2, exec_lo
	v_cmpx_gt_i32_e64 s9, v20
	s_cbranch_execz .LBB101_2
; %bb.49:                               ;   in Loop: Header=BB101_3 Depth=1
	v_ashrrev_i32_e32 v6, 31, v4
	v_add_co_u32 v5, vcc_lo, s24, v4
	v_add_nc_u32_e32 v7, 1, v20
	s_mov_b32 s3, exec_lo
	s_wait_alu 0xfffd
	v_add_co_ci_u32_e64 v6, null, s25, v6, vcc_lo
	global_store_b8 v[5:6], v3, off
	v_cmpx_gt_i32_e64 s9, v7
	s_wait_alu 0xfffe
	s_xor_b32 s3, exec_lo, s3
	s_cbranch_execz .LBB101_2
; %bb.50:                               ;   in Loop: Header=BB101_3 Depth=1
	v_add_co_u32 v5, vcc_lo, v5, s50
	v_lshrrev_b32_e32 v7, 8, v3
	v_add_nc_u32_e32 v8, 2, v20
	s_wait_alu 0xfffd
	v_add_co_ci_u32_e64 v6, null, s54, v6, vcc_lo
	s_mov_b32 s3, exec_lo
	global_store_b8 v[5:6], v7, off
	v_cmpx_gt_i32_e64 s9, v8
	s_wait_alu 0xfffe
	s_xor_b32 s3, exec_lo, s3
	s_cbranch_execz .LBB101_2
; %bb.51:                               ;   in Loop: Header=BB101_3 Depth=1
	v_add_nc_u32_e32 v4, s23, v4
	v_add_nc_u32_e32 v7, 3, v20
	s_mov_b32 s3, exec_lo
	s_delay_alu instid0(VALU_DEP_2) | instskip(SKIP_2) | instid1(VALU_DEP_2)
	v_ashrrev_i32_e32 v6, 31, v4
	v_add_co_u32 v5, vcc_lo, s24, v4
	s_wait_alu 0xfffd
	v_add_co_ci_u32_e64 v6, null, s25, v6, vcc_lo
	global_store_d16_hi_b8 v[5:6], v3, off
	v_cmpx_gt_i32_e64 s9, v7
	s_wait_alu 0xfffe
	s_xor_b32 s3, exec_lo, s3
	s_cbranch_execz .LBB101_2
; %bb.52:                               ;   in Loop: Header=BB101_3 Depth=1
	v_add_nc_u32_e32 v4, s50, v4
	v_lshrrev_b32_e32 v6, 24, v3
	s_delay_alu instid0(VALU_DEP_2) | instskip(SKIP_2) | instid1(VALU_DEP_2)
	v_ashrrev_i32_e32 v5, 31, v4
	v_add_co_u32 v3, vcc_lo, s24, v4
	s_wait_alu 0xfffd
	v_add_co_ci_u32_e64 v4, null, s25, v5, vcc_lo
	global_store_b8 v[3:4], v6, off
	s_branch .LBB101_2
.LBB101_53:
	s_endpgm
	.section	.rodata,"a",@progbits
	.p2align	6, 0x0
	.amdhsa_kernel _ZN2at6native16triu_tril_kernelIbiLb1ELi4ELb0EEEvNS_4cuda6detail10TensorInfoIT_T0_EENS4_IKS5_S6_EEllS6_
		.amdhsa_group_segment_fixed_size 0
		.amdhsa_private_segment_fixed_size 0
		.amdhsa_kernarg_size 712
		.amdhsa_user_sgpr_count 2
		.amdhsa_user_sgpr_dispatch_ptr 0
		.amdhsa_user_sgpr_queue_ptr 0
		.amdhsa_user_sgpr_kernarg_segment_ptr 1
		.amdhsa_user_sgpr_dispatch_id 0
		.amdhsa_user_sgpr_private_segment_size 0
		.amdhsa_wavefront_size32 1
		.amdhsa_uses_dynamic_stack 0
		.amdhsa_enable_private_segment 0
		.amdhsa_system_sgpr_workgroup_id_x 1
		.amdhsa_system_sgpr_workgroup_id_y 0
		.amdhsa_system_sgpr_workgroup_id_z 0
		.amdhsa_system_sgpr_workgroup_info 0
		.amdhsa_system_vgpr_workitem_id 0
		.amdhsa_next_free_vgpr 26
		.amdhsa_next_free_sgpr 70
		.amdhsa_reserve_vcc 1
		.amdhsa_float_round_mode_32 0
		.amdhsa_float_round_mode_16_64 0
		.amdhsa_float_denorm_mode_32 3
		.amdhsa_float_denorm_mode_16_64 3
		.amdhsa_fp16_overflow 0
		.amdhsa_workgroup_processor_mode 1
		.amdhsa_memory_ordered 1
		.amdhsa_forward_progress 1
		.amdhsa_inst_pref_size 69
		.amdhsa_round_robin_scheduling 0
		.amdhsa_exception_fp_ieee_invalid_op 0
		.amdhsa_exception_fp_denorm_src 0
		.amdhsa_exception_fp_ieee_div_zero 0
		.amdhsa_exception_fp_ieee_overflow 0
		.amdhsa_exception_fp_ieee_underflow 0
		.amdhsa_exception_fp_ieee_inexact 0
		.amdhsa_exception_int_div_zero 0
	.end_amdhsa_kernel
	.section	.text._ZN2at6native16triu_tril_kernelIbiLb1ELi4ELb0EEEvNS_4cuda6detail10TensorInfoIT_T0_EENS4_IKS5_S6_EEllS6_,"axG",@progbits,_ZN2at6native16triu_tril_kernelIbiLb1ELi4ELb0EEEvNS_4cuda6detail10TensorInfoIT_T0_EENS4_IKS5_S6_EEllS6_,comdat
.Lfunc_end101:
	.size	_ZN2at6native16triu_tril_kernelIbiLb1ELi4ELb0EEEvNS_4cuda6detail10TensorInfoIT_T0_EENS4_IKS5_S6_EEllS6_, .Lfunc_end101-_ZN2at6native16triu_tril_kernelIbiLb1ELi4ELb0EEEvNS_4cuda6detail10TensorInfoIT_T0_EENS4_IKS5_S6_EEllS6_
                                        ; -- End function
	.set _ZN2at6native16triu_tril_kernelIbiLb1ELi4ELb0EEEvNS_4cuda6detail10TensorInfoIT_T0_EENS4_IKS5_S6_EEllS6_.num_vgpr, 26
	.set _ZN2at6native16triu_tril_kernelIbiLb1ELi4ELb0EEEvNS_4cuda6detail10TensorInfoIT_T0_EENS4_IKS5_S6_EEllS6_.num_agpr, 0
	.set _ZN2at6native16triu_tril_kernelIbiLb1ELi4ELb0EEEvNS_4cuda6detail10TensorInfoIT_T0_EENS4_IKS5_S6_EEllS6_.numbered_sgpr, 70
	.set _ZN2at6native16triu_tril_kernelIbiLb1ELi4ELb0EEEvNS_4cuda6detail10TensorInfoIT_T0_EENS4_IKS5_S6_EEllS6_.num_named_barrier, 0
	.set _ZN2at6native16triu_tril_kernelIbiLb1ELi4ELb0EEEvNS_4cuda6detail10TensorInfoIT_T0_EENS4_IKS5_S6_EEllS6_.private_seg_size, 0
	.set _ZN2at6native16triu_tril_kernelIbiLb1ELi4ELb0EEEvNS_4cuda6detail10TensorInfoIT_T0_EENS4_IKS5_S6_EEllS6_.uses_vcc, 1
	.set _ZN2at6native16triu_tril_kernelIbiLb1ELi4ELb0EEEvNS_4cuda6detail10TensorInfoIT_T0_EENS4_IKS5_S6_EEllS6_.uses_flat_scratch, 0
	.set _ZN2at6native16triu_tril_kernelIbiLb1ELi4ELb0EEEvNS_4cuda6detail10TensorInfoIT_T0_EENS4_IKS5_S6_EEllS6_.has_dyn_sized_stack, 0
	.set _ZN2at6native16triu_tril_kernelIbiLb1ELi4ELb0EEEvNS_4cuda6detail10TensorInfoIT_T0_EENS4_IKS5_S6_EEllS6_.has_recursion, 0
	.set _ZN2at6native16triu_tril_kernelIbiLb1ELi4ELb0EEEvNS_4cuda6detail10TensorInfoIT_T0_EENS4_IKS5_S6_EEllS6_.has_indirect_call, 0
	.section	.AMDGPU.csdata,"",@progbits
; Kernel info:
; codeLenInByte = 8764
; TotalNumSgprs: 72
; NumVgprs: 26
; ScratchSize: 0
; MemoryBound: 0
; FloatMode: 240
; IeeeMode: 1
; LDSByteSize: 0 bytes/workgroup (compile time only)
; SGPRBlocks: 0
; VGPRBlocks: 3
; NumSGPRsForWavesPerEU: 72
; NumVGPRsForWavesPerEU: 26
; Occupancy: 16
; WaveLimiterHint : 1
; COMPUTE_PGM_RSRC2:SCRATCH_EN: 0
; COMPUTE_PGM_RSRC2:USER_SGPR: 2
; COMPUTE_PGM_RSRC2:TRAP_HANDLER: 0
; COMPUTE_PGM_RSRC2:TGID_X_EN: 1
; COMPUTE_PGM_RSRC2:TGID_Y_EN: 0
; COMPUTE_PGM_RSRC2:TGID_Z_EN: 0
; COMPUTE_PGM_RSRC2:TIDIG_COMP_CNT: 0
	.section	.text._ZN2at6native16triu_tril_kernelIblLb1ELi4ELb1EEEvNS_4cuda6detail10TensorInfoIT_T0_EENS4_IKS5_S6_EEllS6_,"axG",@progbits,_ZN2at6native16triu_tril_kernelIblLb1ELi4ELb1EEEvNS_4cuda6detail10TensorInfoIT_T0_EENS4_IKS5_S6_EEllS6_,comdat
	.protected	_ZN2at6native16triu_tril_kernelIblLb1ELi4ELb1EEEvNS_4cuda6detail10TensorInfoIT_T0_EENS4_IKS5_S6_EEllS6_ ; -- Begin function _ZN2at6native16triu_tril_kernelIblLb1ELi4ELb1EEEvNS_4cuda6detail10TensorInfoIT_T0_EENS4_IKS5_S6_EEllS6_
	.globl	_ZN2at6native16triu_tril_kernelIblLb1ELi4ELb1EEEvNS_4cuda6detail10TensorInfoIT_T0_EENS4_IKS5_S6_EEllS6_
	.p2align	8
	.type	_ZN2at6native16triu_tril_kernelIblLb1ELi4ELb1EEEvNS_4cuda6detail10TensorInfoIT_T0_EENS4_IKS5_S6_EEllS6_,@function
_ZN2at6native16triu_tril_kernelIblLb1ELi4ELb1EEEvNS_4cuda6detail10TensorInfoIT_T0_EENS4_IKS5_S6_EEllS6_: ; @_ZN2at6native16triu_tril_kernelIblLb1ELi4ELb1EEEvNS_4cuda6detail10TensorInfoIT_T0_EENS4_IKS5_S6_EEllS6_
; %bb.0:
	s_clause 0x1
	s_load_b32 s2, s[0:1], 0x364
	s_load_b128 s[4:7], s[0:1], 0x340
	v_mov_b32_e32 v2, 0
	s_mov_b32 s3, exec_lo
	s_delay_alu instid0(VALU_DEP_1)
	v_mov_b32_e32 v1, v2
	s_wait_kmcnt 0x0
	s_and_b32 s2, s2, 0xffff
	s_delay_alu instid0(VALU_DEP_1) | instid1(SALU_CYCLE_1)
	v_mad_co_u64_u32 v[0:1], null, s2, ttmp9, v[0:1]
	s_delay_alu instid0(VALU_DEP_1) | instskip(NEXT) | instid1(VALU_DEP_1)
	v_lshlrev_b64_e32 v[0:1], 2, v[0:1]
	v_cmpx_gt_i64_e64 s[6:7], v[0:1]
	s_cbranch_execz .LBB102_47
; %bb.1:
	s_load_b32 s22, s[0:1], 0x338
	s_add_nc_u64 s[12:13], s[0:1], 0x358
	s_clause 0x1
	s_load_b64 s[8:9], s[0:1], 0x350
	s_load_b64 s[10:11], s[0:1], 0x0
	s_add_nc_u64 s[28:29], s[0:1], 0x1a0
	s_load_b32 s3, s[12:13], 0x0
	s_movk_i32 s18, 0xffe0
	s_add_nc_u64 s[16:17], s[0:1], 0xb8
	s_mov_b32 s19, -1
	s_add_nc_u64 s[34:35], s[0:1], 0x190
	s_mov_b32 s65, 0
	s_wait_kmcnt 0x0
	s_add_co_i32 s14, s22, -2
	v_cvt_f32_u32_e32 v3, s8
	s_ashr_i32 s15, s14, 31
	s_add_co_i32 s20, s22, -3
	s_lshl_b64 s[12:13], s[14:15], 3
	s_ashr_i32 s23, s22, 31
	s_add_nc_u64 s[12:13], s[28:29], s[12:13]
	v_rcp_iflag_f32_e32 v3, v3
	s_load_b64 s[12:13], s[12:13], 0x8
	s_mul_i32 s24, s3, s2
	s_and_b32 s25, s20, 3
	s_lshl_b64 s[2:3], s[22:23], 3
	s_ashr_i32 s21, s20, 31
	s_and_b32 s14, s14, 3
	s_lshl_b32 s62, s24, 2
	s_cmp_lg_u32 s25, 3
	v_cmp_gt_i64_e64 s33, s[22:23], 2
	s_cselect_b32 s63, -1, 0
	s_cmp_gt_u32 s20, 2
	s_wait_alu 0xfffe
	s_add_nc_u64 s[22:23], s[0:1], s[2:3]
	s_add_nc_u64 s[24:25], s[28:29], s[2:3]
	s_cselect_b32 s64, -1, 0
	s_lshl_b64 s[2:3], s[20:21], 3
	s_mov_b32 s15, 0
	s_wait_alu 0xfffe
	s_add_nc_u64 s[30:31], s[0:1], s[2:3]
	s_add_nc_u64 s[2:3], s[28:29], s[2:3]
	s_mov_b64 s[26:27], s[14:15]
	s_add_nc_u64 s[28:29], s[30:31], 0xd0
	s_wait_kmcnt 0x0
	v_cvt_f32_u32_e32 v4, s12
	s_wait_alu 0xfffe
	s_add_nc_u64 s[30:31], s[2:3], 8
	s_ashr_i32 s36, s9, 31
	s_delay_alu instid0(VALU_DEP_1) | instskip(NEXT) | instid1(TRANS32_DEP_1)
	v_rcp_iflag_f32_e32 v4, v4
	v_dual_mul_f32 v3, 0x4f7ffffe, v3 :: v_dual_mul_f32 v4, 0x4f7ffffe, v4
	s_delay_alu instid0(VALU_DEP_1) | instskip(NEXT) | instid1(VALU_DEP_2)
	v_cvt_u32_f32_e32 v18, v3
	v_cvt_u32_f32_e32 v19, v4
	s_branch .LBB102_3
.LBB102_2:                              ;   in Loop: Header=BB102_3 Depth=1
	s_wait_alu 0xfffe
	s_or_b32 exec_lo, exec_lo, s37
	v_add_co_u32 v0, vcc_lo, v0, s62
	s_wait_alu 0xfffd
	v_add_co_ci_u32_e64 v1, null, 0, v1, vcc_lo
	s_delay_alu instid0(VALU_DEP_1) | instskip(SKIP_1) | instid1(SALU_CYCLE_1)
	v_cmp_le_i64_e32 vcc_lo, s[6:7], v[0:1]
	s_or_b32 s65, vcc_lo, s65
	s_and_not1_b32 exec_lo, exec_lo, s65
	s_cbranch_execz .LBB102_47
.LBB102_3:                              ; =>This Loop Header: Depth=1
                                        ;     Child Loop BB102_17 Depth 2
                                        ;     Child Loop BB102_22 Depth 2
	v_or_b32_e32 v3, s9, v1
                                        ; implicit-def: $vgpr6_vgpr7
	s_mov_b32 s0, exec_lo
	s_delay_alu instid0(VALU_DEP_1)
	v_cmpx_ne_u64_e32 0, v[2:3]
	s_wait_alu 0xfffe
	s_xor_b32 s1, exec_lo, s0
	s_cbranch_execz .LBB102_5
; %bb.4:                                ;   in Loop: Header=BB102_3 Depth=1
	s_mov_b32 s37, s36
	v_ashrrev_i32_e32 v9, 31, v1
	s_wait_alu 0xfffe
	s_add_nc_u64 s[2:3], s[8:9], s[36:37]
	s_wait_alu 0xfffe
	s_xor_b64 s[2:3], s[2:3], s[36:37]
	v_add_co_u32 v3, vcc_lo, v0, v9
	s_wait_alu 0xfffe
	s_cvt_f32_u32 s0, s2
	s_cvt_f32_u32 s14, s3
	s_sub_nc_u64 s[40:41], 0, s[2:3]
	s_wait_alu 0xfffd
	v_add_co_ci_u32_e64 v4, null, v1, v9, vcc_lo
	s_wait_alu 0xfffe
	s_fmamk_f32 s0, s14, 0x4f800000, s0
	v_xor_b32_e32 v10, v3, v9
	s_delay_alu instid0(VALU_DEP_2) | instskip(SKIP_2) | instid1(TRANS32_DEP_1)
	v_xor_b32_e32 v11, v4, v9
	s_wait_alu 0xfffe
	v_s_rcp_f32 s0, s0
	s_mul_f32 s0, s0, 0x5f7ffffc
	s_wait_alu 0xfffe
	s_delay_alu instid0(SALU_CYCLE_2) | instskip(SKIP_1) | instid1(SALU_CYCLE_2)
	s_mul_f32 s14, s0, 0x2f800000
	s_wait_alu 0xfffe
	s_trunc_f32 s14, s14
	s_wait_alu 0xfffe
	s_delay_alu instid0(SALU_CYCLE_2) | instskip(SKIP_2) | instid1(SALU_CYCLE_1)
	s_fmamk_f32 s0, s14, 0xcf800000, s0
	s_cvt_u32_f32 s39, s14
	s_wait_alu 0xfffe
	s_cvt_u32_f32 s38, s0
	s_wait_alu 0xfffe
	s_delay_alu instid0(SALU_CYCLE_2) | instskip(NEXT) | instid1(SALU_CYCLE_1)
	s_mul_u64 s[42:43], s[40:41], s[38:39]
	s_mul_hi_u32 s45, s38, s43
	s_mul_i32 s44, s38, s43
	s_mul_hi_u32 s14, s38, s42
	s_mul_i32 s37, s39, s42
	s_wait_alu 0xfffe
	s_add_nc_u64 s[44:45], s[14:15], s[44:45]
	s_mul_hi_u32 s0, s39, s42
	s_mul_hi_u32 s46, s39, s43
	s_wait_alu 0xfffe
	s_add_co_u32 s14, s44, s37
	s_add_co_ci_u32 s14, s45, s0
	s_mul_i32 s42, s39, s43
	s_add_co_ci_u32 s43, s46, 0
	s_wait_alu 0xfffe
	s_add_nc_u64 s[42:43], s[14:15], s[42:43]
	s_delay_alu instid0(SALU_CYCLE_1)
	s_add_co_u32 s38, s38, s42
	s_cselect_b32 s0, -1, 0
	s_wait_alu 0xfffe
	s_cmp_lg_u32 s0, 0
	s_add_co_ci_u32 s39, s39, s43
	s_wait_alu 0xfffe
	s_mul_u64 s[40:41], s[40:41], s[38:39]
	s_delay_alu instid0(SALU_CYCLE_1)
	s_mul_hi_u32 s43, s38, s41
	s_mul_i32 s42, s38, s41
	s_mul_hi_u32 s14, s38, s40
	s_mul_i32 s37, s39, s40
	s_wait_alu 0xfffe
	s_add_nc_u64 s[42:43], s[14:15], s[42:43]
	s_mul_hi_u32 s0, s39, s40
	s_mul_hi_u32 s44, s39, s41
	s_add_co_u32 s14, s42, s37
	s_wait_alu 0xfffe
	s_add_co_ci_u32 s14, s43, s0
	s_mul_i32 s40, s39, s41
	s_add_co_ci_u32 s41, s44, 0
	s_wait_alu 0xfffe
	s_add_nc_u64 s[40:41], s[14:15], s[40:41]
	s_delay_alu instid0(SALU_CYCLE_1)
	s_add_co_u32 s0, s38, s40
	s_cselect_b32 s14, -1, 0
	s_wait_alu 0xfffe
	v_mul_hi_u32 v12, v10, s0
	s_cmp_lg_u32 s14, 0
	v_mad_co_u64_u32 v[5:6], null, v11, s0, 0
	s_add_co_ci_u32 s14, s39, s41
	s_wait_alu 0xfffe
	v_mad_co_u64_u32 v[3:4], null, v10, s14, 0
	v_mad_co_u64_u32 v[7:8], null, v11, s14, 0
	s_delay_alu instid0(VALU_DEP_2) | instskip(SKIP_1) | instid1(VALU_DEP_3)
	v_add_co_u32 v3, vcc_lo, v12, v3
	s_wait_alu 0xfffd
	v_add_co_ci_u32_e64 v4, null, 0, v4, vcc_lo
	s_delay_alu instid0(VALU_DEP_2) | instskip(SKIP_1) | instid1(VALU_DEP_2)
	v_add_co_u32 v3, vcc_lo, v3, v5
	s_wait_alu 0xfffd
	v_add_co_ci_u32_e32 v3, vcc_lo, v4, v6, vcc_lo
	s_wait_alu 0xfffd
	v_add_co_ci_u32_e32 v4, vcc_lo, 0, v8, vcc_lo
	s_delay_alu instid0(VALU_DEP_2) | instskip(SKIP_1) | instid1(VALU_DEP_2)
	v_add_co_u32 v5, vcc_lo, v3, v7
	s_wait_alu 0xfffd
	v_add_co_ci_u32_e64 v6, null, 0, v4, vcc_lo
	s_delay_alu instid0(VALU_DEP_2) | instskip(SKIP_1) | instid1(VALU_DEP_3)
	v_mul_lo_u32 v7, s3, v5
	v_mad_co_u64_u32 v[3:4], null, s2, v5, 0
	v_mul_lo_u32 v8, s2, v6
	s_delay_alu instid0(VALU_DEP_2) | instskip(NEXT) | instid1(VALU_DEP_2)
	v_sub_co_u32 v3, vcc_lo, v10, v3
	v_add3_u32 v4, v4, v8, v7
	v_add_co_u32 v8, s0, v5, 2
	s_wait_alu 0xf1ff
	v_add_co_ci_u32_e64 v10, null, 0, v6, s0
	s_delay_alu instid0(VALU_DEP_3) | instskip(SKIP_3) | instid1(VALU_DEP_3)
	v_sub_nc_u32_e32 v7, v11, v4
	v_sub_co_u32 v12, s0, v3, s2
	s_wait_alu 0xfffd
	v_sub_co_ci_u32_e64 v4, null, v11, v4, vcc_lo
	v_subrev_co_ci_u32_e64 v7, null, s3, v7, vcc_lo
	s_delay_alu instid0(VALU_DEP_3) | instskip(SKIP_1) | instid1(VALU_DEP_2)
	v_cmp_le_u32_e32 vcc_lo, s2, v12
	s_wait_alu 0xf1ff
	v_subrev_co_ci_u32_e64 v7, null, 0, v7, s0
	s_wait_alu 0xfffd
	v_cndmask_b32_e64 v11, 0, -1, vcc_lo
	s_delay_alu instid0(VALU_DEP_2)
	v_cmp_le_u32_e32 vcc_lo, s3, v7
	s_wait_alu 0xfffd
	v_cndmask_b32_e64 v12, 0, -1, vcc_lo
	v_cmp_le_u32_e32 vcc_lo, s2, v3
	s_wait_alu 0xfffd
	v_cndmask_b32_e64 v3, 0, -1, vcc_lo
	v_cmp_le_u32_e32 vcc_lo, s3, v4
	s_wait_alu 0xfffd
	v_cndmask_b32_e64 v13, 0, -1, vcc_lo
	v_cmp_eq_u32_e32 vcc_lo, s3, v7
	s_wait_alu 0xfffd
	v_cndmask_b32_e32 v7, v12, v11, vcc_lo
	v_add_co_u32 v11, vcc_lo, v5, 1
	s_wait_alu 0xfffd
	v_add_co_ci_u32_e64 v12, null, 0, v6, vcc_lo
	v_cmp_eq_u32_e32 vcc_lo, s3, v4
	s_wait_alu 0xfffd
	v_cndmask_b32_e32 v3, v13, v3, vcc_lo
	v_cmp_ne_u32_e32 vcc_lo, 0, v7
	v_xor_b32_e32 v7, s36, v9
	s_wait_alu 0xfffd
	v_cndmask_b32_e32 v4, v12, v10, vcc_lo
	v_cmp_ne_u32_e64 s0, 0, v3
	v_cndmask_b32_e32 v3, v11, v8, vcc_lo
	s_wait_alu 0xf1ff
	s_delay_alu instid0(VALU_DEP_2) | instskip(NEXT) | instid1(VALU_DEP_2)
	v_cndmask_b32_e64 v4, v6, v4, s0
	v_cndmask_b32_e64 v3, v5, v3, s0
	s_delay_alu instid0(VALU_DEP_2) | instskip(NEXT) | instid1(VALU_DEP_2)
	v_xor_b32_e32 v4, v4, v7
	v_xor_b32_e32 v3, v3, v7
	s_delay_alu instid0(VALU_DEP_1) | instskip(SKIP_1) | instid1(VALU_DEP_3)
	v_sub_co_u32 v6, vcc_lo, v3, v7
	s_wait_alu 0xfffd
	v_sub_co_ci_u32_e64 v7, null, v4, v7, vcc_lo
.LBB102_5:                              ;   in Loop: Header=BB102_3 Depth=1
	s_wait_alu 0xfffe
	s_and_not1_saveexec_b32 s0, s1
	s_cbranch_execz .LBB102_7
; %bb.6:                                ;   in Loop: Header=BB102_3 Depth=1
	s_sub_co_i32 s1, 0, s8
	v_mov_b32_e32 v7, v2
	s_wait_alu 0xfffe
	v_mul_lo_u32 v3, s1, v18
	s_delay_alu instid0(VALU_DEP_1) | instskip(NEXT) | instid1(VALU_DEP_1)
	v_mul_hi_u32 v3, v18, v3
	v_add_nc_u32_e32 v3, v18, v3
	s_delay_alu instid0(VALU_DEP_1) | instskip(NEXT) | instid1(VALU_DEP_1)
	v_mul_hi_u32 v3, v0, v3
	v_mul_lo_u32 v4, v3, s8
	v_add_nc_u32_e32 v5, 1, v3
	s_delay_alu instid0(VALU_DEP_2) | instskip(NEXT) | instid1(VALU_DEP_1)
	v_sub_nc_u32_e32 v4, v0, v4
	v_subrev_nc_u32_e32 v6, s8, v4
	v_cmp_le_u32_e32 vcc_lo, s8, v4
	s_wait_alu 0xfffd
	s_delay_alu instid0(VALU_DEP_2) | instskip(NEXT) | instid1(VALU_DEP_1)
	v_dual_cndmask_b32 v4, v4, v6 :: v_dual_cndmask_b32 v3, v3, v5
	v_cmp_le_u32_e32 vcc_lo, s8, v4
	s_delay_alu instid0(VALU_DEP_2) | instskip(SKIP_1) | instid1(VALU_DEP_1)
	v_add_nc_u32_e32 v5, 1, v3
	s_wait_alu 0xfffd
	v_cndmask_b32_e32 v6, v3, v5, vcc_lo
.LBB102_7:                              ;   in Loop: Header=BB102_3 Depth=1
	s_wait_alu 0xfffe
	s_or_b32 exec_lo, exec_lo, s0
	v_or_b32_e32 v3, s13, v7
                                        ; implicit-def: $vgpr8_vgpr9
	s_mov_b32 s0, exec_lo
	s_delay_alu instid0(VALU_DEP_1)
	v_cmpx_ne_u64_e32 0, v[2:3]
	s_wait_alu 0xfffe
	s_xor_b32 s1, exec_lo, s0
	s_cbranch_execz .LBB102_9
; %bb.8:                                ;   in Loop: Header=BB102_3 Depth=1
	s_ashr_i32 s2, s13, 31
	v_ashrrev_i32_e32 v5, 31, v7
	s_wait_alu 0xfffe
	s_mov_b32 s3, s2
	s_wait_alu 0xfffe
	s_add_nc_u64 s[38:39], s[12:13], s[2:3]
	v_add_co_u32 v3, vcc_lo, v6, v5
	s_wait_alu 0xfffe
	s_xor_b64 s[38:39], s[38:39], s[2:3]
	s_wait_alu 0xfffd
	v_add_co_ci_u32_e64 v4, null, v7, v5, vcc_lo
	s_wait_alu 0xfffe
	s_cvt_f32_u32 s0, s38
	s_cvt_f32_u32 s3, s39
	s_sub_nc_u64 s[42:43], 0, s[38:39]
	v_xor_b32_e32 v12, v3, v5
	v_xor_b32_e32 v13, v4, v5
	s_wait_alu 0xfffe
	s_fmamk_f32 s0, s3, 0x4f800000, s0
	v_xor_b32_e32 v5, s2, v5
	s_wait_alu 0xfffe
	s_delay_alu instid0(SALU_CYCLE_1) | instskip(NEXT) | instid1(TRANS32_DEP_1)
	v_s_rcp_f32 s0, s0
	s_mul_f32 s0, s0, 0x5f7ffffc
	s_wait_alu 0xfffe
	s_delay_alu instid0(SALU_CYCLE_2) | instskip(SKIP_1) | instid1(SALU_CYCLE_2)
	s_mul_f32 s3, s0, 0x2f800000
	s_wait_alu 0xfffe
	s_trunc_f32 s3, s3
	s_wait_alu 0xfffe
	s_delay_alu instid0(SALU_CYCLE_2) | instskip(SKIP_2) | instid1(SALU_CYCLE_1)
	s_fmamk_f32 s0, s3, 0xcf800000, s0
	s_cvt_u32_f32 s41, s3
	s_wait_alu 0xfffe
	s_cvt_u32_f32 s40, s0
	s_delay_alu instid0(SALU_CYCLE_3)
	s_mul_u64 s[44:45], s[42:43], s[40:41]
	s_wait_alu 0xfffe
	s_mul_hi_u32 s47, s40, s45
	s_mul_i32 s46, s40, s45
	s_mul_hi_u32 s14, s40, s44
	s_mul_i32 s3, s41, s44
	s_wait_alu 0xfffe
	s_add_nc_u64 s[46:47], s[14:15], s[46:47]
	s_mul_hi_u32 s0, s41, s44
	s_mul_hi_u32 s37, s41, s45
	s_wait_alu 0xfffe
	s_add_co_u32 s3, s46, s3
	s_add_co_ci_u32 s14, s47, s0
	s_mul_i32 s44, s41, s45
	s_add_co_ci_u32 s45, s37, 0
	s_wait_alu 0xfffe
	s_add_nc_u64 s[44:45], s[14:15], s[44:45]
	s_wait_alu 0xfffe
	s_add_co_u32 s40, s40, s44
	s_cselect_b32 s0, -1, 0
	s_wait_alu 0xfffe
	s_cmp_lg_u32 s0, 0
	s_add_co_ci_u32 s41, s41, s45
	s_delay_alu instid0(SALU_CYCLE_1) | instskip(NEXT) | instid1(SALU_CYCLE_1)
	s_mul_u64 s[42:43], s[42:43], s[40:41]
	s_mul_hi_u32 s45, s40, s43
	s_mul_i32 s44, s40, s43
	s_mul_hi_u32 s14, s40, s42
	s_mul_i32 s3, s41, s42
	s_wait_alu 0xfffe
	s_add_nc_u64 s[44:45], s[14:15], s[44:45]
	s_mul_hi_u32 s0, s41, s42
	s_mul_hi_u32 s37, s41, s43
	s_wait_alu 0xfffe
	s_add_co_u32 s3, s44, s3
	s_add_co_ci_u32 s14, s45, s0
	s_mul_i32 s42, s41, s43
	s_add_co_ci_u32 s43, s37, 0
	s_wait_alu 0xfffe
	s_add_nc_u64 s[42:43], s[14:15], s[42:43]
	s_delay_alu instid0(SALU_CYCLE_1)
	s_add_co_u32 s0, s40, s42
	s_cselect_b32 s3, -1, 0
	s_wait_alu 0xfffe
	v_mul_hi_u32 v14, v12, s0
	s_cmp_lg_u32 s3, 0
	v_mad_co_u64_u32 v[8:9], null, v13, s0, 0
	s_add_co_ci_u32 s3, s41, s43
	s_wait_alu 0xfffe
	v_mad_co_u64_u32 v[3:4], null, v12, s3, 0
	v_mad_co_u64_u32 v[10:11], null, v13, s3, 0
	s_delay_alu instid0(VALU_DEP_2) | instskip(SKIP_1) | instid1(VALU_DEP_3)
	v_add_co_u32 v3, vcc_lo, v14, v3
	s_wait_alu 0xfffd
	v_add_co_ci_u32_e64 v4, null, 0, v4, vcc_lo
	s_delay_alu instid0(VALU_DEP_2) | instskip(SKIP_1) | instid1(VALU_DEP_2)
	v_add_co_u32 v3, vcc_lo, v3, v8
	s_wait_alu 0xfffd
	v_add_co_ci_u32_e32 v3, vcc_lo, v4, v9, vcc_lo
	s_wait_alu 0xfffd
	v_add_co_ci_u32_e32 v4, vcc_lo, 0, v11, vcc_lo
	s_delay_alu instid0(VALU_DEP_2) | instskip(SKIP_1) | instid1(VALU_DEP_2)
	v_add_co_u32 v8, vcc_lo, v3, v10
	s_wait_alu 0xfffd
	v_add_co_ci_u32_e64 v9, null, 0, v4, vcc_lo
	s_delay_alu instid0(VALU_DEP_2) | instskip(SKIP_1) | instid1(VALU_DEP_3)
	v_mul_lo_u32 v10, s39, v8
	v_mad_co_u64_u32 v[3:4], null, s38, v8, 0
	v_mul_lo_u32 v11, s38, v9
	s_delay_alu instid0(VALU_DEP_2) | instskip(NEXT) | instid1(VALU_DEP_2)
	v_sub_co_u32 v3, vcc_lo, v12, v3
	v_add3_u32 v4, v4, v11, v10
	v_add_co_u32 v11, s0, v8, 2
	s_wait_alu 0xf1ff
	v_add_co_ci_u32_e64 v12, null, 0, v9, s0
	s_delay_alu instid0(VALU_DEP_3) | instskip(SKIP_3) | instid1(VALU_DEP_3)
	v_sub_nc_u32_e32 v10, v13, v4
	v_sub_co_u32 v14, s0, v3, s38
	s_wait_alu 0xfffd
	v_sub_co_ci_u32_e64 v4, null, v13, v4, vcc_lo
	v_subrev_co_ci_u32_e64 v10, null, s39, v10, vcc_lo
	s_delay_alu instid0(VALU_DEP_3) | instskip(SKIP_1) | instid1(VALU_DEP_2)
	v_cmp_le_u32_e32 vcc_lo, s38, v14
	s_wait_alu 0xf1ff
	v_subrev_co_ci_u32_e64 v10, null, 0, v10, s0
	s_wait_alu 0xfffd
	v_cndmask_b32_e64 v13, 0, -1, vcc_lo
	s_delay_alu instid0(VALU_DEP_2)
	v_cmp_le_u32_e32 vcc_lo, s39, v10
	s_wait_alu 0xfffd
	v_cndmask_b32_e64 v14, 0, -1, vcc_lo
	v_cmp_le_u32_e32 vcc_lo, s38, v3
	s_wait_alu 0xfffd
	v_cndmask_b32_e64 v3, 0, -1, vcc_lo
	;; [unrolled: 3-line block ×3, first 2 shown]
	v_cmp_eq_u32_e32 vcc_lo, s39, v10
	s_wait_alu 0xfffd
	v_cndmask_b32_e32 v10, v14, v13, vcc_lo
	v_add_co_u32 v13, vcc_lo, v8, 1
	s_wait_alu 0xfffd
	v_add_co_ci_u32_e64 v14, null, 0, v9, vcc_lo
	v_cmp_eq_u32_e32 vcc_lo, s39, v4
	s_wait_alu 0xfffd
	v_cndmask_b32_e32 v3, v15, v3, vcc_lo
	v_cmp_ne_u32_e32 vcc_lo, 0, v10
	s_delay_alu instid0(VALU_DEP_2) | instskip(SKIP_3) | instid1(VALU_DEP_1)
	v_cmp_ne_u32_e64 s0, 0, v3
	s_wait_alu 0xfffd
	v_dual_cndmask_b32 v4, v14, v12 :: v_dual_cndmask_b32 v3, v13, v11
	s_wait_alu 0xf1ff
	v_cndmask_b32_e64 v4, v9, v4, s0
	s_delay_alu instid0(VALU_DEP_2) | instskip(NEXT) | instid1(VALU_DEP_2)
	v_cndmask_b32_e64 v3, v8, v3, s0
	v_xor_b32_e32 v4, v4, v5
	s_delay_alu instid0(VALU_DEP_2) | instskip(NEXT) | instid1(VALU_DEP_1)
	v_xor_b32_e32 v3, v3, v5
	v_sub_co_u32 v8, vcc_lo, v3, v5
	s_wait_alu 0xfffd
	s_delay_alu instid0(VALU_DEP_3)
	v_sub_co_ci_u32_e64 v9, null, v4, v5, vcc_lo
.LBB102_9:                              ;   in Loop: Header=BB102_3 Depth=1
	s_wait_alu 0xfffe
	s_and_not1_saveexec_b32 s0, s1
	s_cbranch_execz .LBB102_11
; %bb.10:                               ;   in Loop: Header=BB102_3 Depth=1
	s_sub_co_i32 s1, 0, s12
	v_mov_b32_e32 v9, v2
	s_wait_alu 0xfffe
	v_mul_lo_u32 v3, s1, v19
	s_delay_alu instid0(VALU_DEP_1) | instskip(NEXT) | instid1(VALU_DEP_1)
	v_mul_hi_u32 v3, v19, v3
	v_add_nc_u32_e32 v3, v19, v3
	s_delay_alu instid0(VALU_DEP_1) | instskip(NEXT) | instid1(VALU_DEP_1)
	v_mul_hi_u32 v3, v6, v3
	v_mul_lo_u32 v4, v3, s12
	v_add_nc_u32_e32 v5, 1, v3
	s_delay_alu instid0(VALU_DEP_2) | instskip(NEXT) | instid1(VALU_DEP_1)
	v_sub_nc_u32_e32 v4, v6, v4
	v_subrev_nc_u32_e32 v8, s12, v4
	v_cmp_le_u32_e32 vcc_lo, s12, v4
	s_wait_alu 0xfffd
	s_delay_alu instid0(VALU_DEP_2) | instskip(NEXT) | instid1(VALU_DEP_1)
	v_dual_cndmask_b32 v4, v4, v8 :: v_dual_cndmask_b32 v3, v3, v5
	v_cmp_le_u32_e32 vcc_lo, s12, v4
	s_delay_alu instid0(VALU_DEP_2) | instskip(SKIP_1) | instid1(VALU_DEP_1)
	v_add_nc_u32_e32 v5, 1, v3
	s_wait_alu 0xfffd
	v_cndmask_b32_e32 v8, v3, v5, vcc_lo
.LBB102_11:                             ;   in Loop: Header=BB102_3 Depth=1
	s_wait_alu 0xfffe
	s_or_b32 exec_lo, exec_lo, s0
	v_mul_lo_u32 v5, v7, s8
	v_mul_lo_u32 v12, v6, s9
	v_mad_co_u64_u32 v[3:4], null, v6, s8, 0
	v_mul_lo_u32 v13, v9, s12
	v_mul_lo_u32 v14, v8, s13
	v_mad_co_u64_u32 v[10:11], null, v8, s12, 0
	s_mov_b32 s37, exec_lo
	v_add3_u32 v5, v4, v12, v5
	v_sub_co_u32 v4, vcc_lo, v0, v3
	v_add3_u32 v11, v11, v14, v13
	s_wait_alu 0xfffd
	s_delay_alu instid0(VALU_DEP_3) | instskip(SKIP_3) | instid1(VALU_DEP_2)
	v_sub_co_ci_u32_e64 v5, null, v1, v5, vcc_lo
	v_sub_co_u32 v20, vcc_lo, v6, v10
	s_wait_alu 0xfffd
	v_sub_co_ci_u32_e64 v21, null, v7, v11, vcc_lo
	v_sub_co_u32 v6, vcc_lo, v4, v20
	s_wait_alu 0xfffd
	s_delay_alu instid0(VALU_DEP_2) | instskip(NEXT) | instid1(VALU_DEP_1)
	v_sub_co_ci_u32_e64 v7, null, v5, v21, vcc_lo
	v_cmpx_gt_i64_e64 s[4:5], v[6:7]
	s_cbranch_execz .LBB102_2
; %bb.12:                               ;   in Loop: Header=BB102_3 Depth=1
	s_load_b128 s[0:3], s[22:23], 0xc0
	s_and_not1_b32 vcc_lo, exec_lo, s33
	s_wait_kmcnt 0x0
	v_mul_lo_u32 v3, s3, v4
	v_mul_lo_u32 v10, s2, v5
	v_mad_co_u64_u32 v[6:7], null, s2, v4, 0
	s_delay_alu instid0(VALU_DEP_1) | instskip(SKIP_2) | instid1(VALU_DEP_3)
	v_add3_u32 v7, v7, v10, v3
	v_mul_lo_u32 v3, s0, v21
	v_mul_lo_u32 v10, s1, v20
	v_mad_co_u64_u32 v[6:7], null, s0, v20, v[6:7]
	s_delay_alu instid0(VALU_DEP_1)
	v_add3_u32 v7, v10, v7, v3
	s_wait_alu 0xfffe
	s_cbranch_vccnz .LBB102_38
; %bb.13:                               ;   in Loop: Header=BB102_3 Depth=1
	s_mov_b64 s[38:39], s[26:27]
	s_mov_b64 s[40:41], s[30:31]
	s_and_not1_b32 vcc_lo, exec_lo, s63
	s_mov_b64 s[44:45], s[28:29]
	s_mov_b64 s[42:43], s[20:21]
	s_wait_alu 0xfffe
	s_cbranch_vccz .LBB102_17
.LBB102_14:                             ;   in Loop: Header=BB102_3 Depth=1
	s_and_not1_b32 vcc_lo, exec_lo, s64
	s_wait_alu 0xfffe
	s_cbranch_vccnz .LBB102_38
; %bb.15:                               ;   in Loop: Header=BB102_3 Depth=1
	s_lshl_b64 s[0:1], s[42:43], 3
	s_add_nc_u64 s[42:43], s[42:43], 1
	s_wait_alu 0xfffe
	s_add_nc_u64 s[38:39], s[16:17], s[0:1]
	s_add_nc_u64 s[40:41], s[34:35], s[0:1]
	s_branch .LBB102_22
.LBB102_16:                             ;   in Loop: Header=BB102_17 Depth=2
	s_wait_alu 0xfffe
	s_or_b32 exec_lo, exec_lo, s0
	s_load_b64 s[0:1], s[44:45], 0x0
	v_mul_lo_u32 v3, v11, s46
	v_mul_lo_u32 v14, v10, s47
	v_mad_co_u64_u32 v[12:13], null, v10, s46, 0
	s_add_nc_u64 s[38:39], s[38:39], -1
	s_add_nc_u64 s[42:43], s[42:43], -1
	;; [unrolled: 1-line block ×3, first 2 shown]
	s_wait_alu 0xfffe
	s_cmp_lg_u64 s[38:39], 0
	s_add_nc_u64 s[40:41], s[40:41], -8
	v_add3_u32 v3, v13, v14, v3
	v_sub_co_u32 v8, vcc_lo, v8, v12
	s_wait_alu 0xfffd
	s_delay_alu instid0(VALU_DEP_2) | instskip(SKIP_1) | instid1(VALU_DEP_2)
	v_sub_co_ci_u32_e64 v3, null, v9, v3, vcc_lo
	s_wait_kmcnt 0x0
	v_mul_lo_u32 v9, s1, v8
	s_delay_alu instid0(VALU_DEP_2) | instskip(SKIP_1) | instid1(VALU_DEP_1)
	v_mul_lo_u32 v3, s0, v3
	v_mad_co_u64_u32 v[6:7], null, s0, v8, v[6:7]
	v_add3_u32 v7, v9, v7, v3
	v_dual_mov_b32 v8, v10 :: v_dual_mov_b32 v9, v11
	s_cbranch_scc0 .LBB102_14
.LBB102_17:                             ;   Parent Loop BB102_3 Depth=1
                                        ; =>  This Inner Loop Header: Depth=2
	s_load_b64 s[46:47], s[40:41], 0x0
                                        ; implicit-def: $vgpr10_vgpr11
	s_mov_b32 s0, exec_lo
	s_wait_kmcnt 0x0
	v_or_b32_e32 v3, s47, v9
	s_delay_alu instid0(VALU_DEP_1)
	v_cmpx_ne_u64_e32 0, v[2:3]
	s_wait_alu 0xfffe
	s_xor_b32 s1, exec_lo, s0
	s_cbranch_execz .LBB102_19
; %bb.18:                               ;   in Loop: Header=BB102_17 Depth=2
	s_ashr_i32 s48, s47, 31
	v_ashrrev_i32_e32 v3, 31, v9
	s_wait_alu 0xfffe
	s_mov_b32 s49, s48
	s_wait_alu 0xfffe
	s_add_nc_u64 s[50:51], s[46:47], s[48:49]
	v_add_co_u32 v10, vcc_lo, v8, v3
	s_wait_alu 0xfffe
	s_xor_b64 s[50:51], s[50:51], s[48:49]
	s_wait_alu 0xfffd
	v_add_co_ci_u32_e64 v11, null, v9, v3, vcc_lo
	s_wait_alu 0xfffe
	s_cvt_f32_u32 s0, s50
	s_cvt_f32_u32 s14, s51
	s_sub_nc_u64 s[54:55], 0, s[50:51]
	v_xor_b32_e32 v16, v10, v3
	v_xor_b32_e32 v17, v11, v3
	s_wait_alu 0xfffe
	s_fmamk_f32 s0, s14, 0x4f800000, s0
	v_xor_b32_e32 v3, s48, v3
	s_wait_alu 0xfffe
	s_delay_alu instid0(SALU_CYCLE_1) | instskip(NEXT) | instid1(TRANS32_DEP_1)
	v_s_rcp_f32 s0, s0
	s_mul_f32 s0, s0, 0x5f7ffffc
	s_wait_alu 0xfffe
	s_delay_alu instid0(SALU_CYCLE_2) | instskip(SKIP_1) | instid1(SALU_CYCLE_2)
	s_mul_f32 s14, s0, 0x2f800000
	s_wait_alu 0xfffe
	s_trunc_f32 s14, s14
	s_wait_alu 0xfffe
	s_delay_alu instid0(SALU_CYCLE_2) | instskip(SKIP_2) | instid1(SALU_CYCLE_1)
	s_fmamk_f32 s0, s14, 0xcf800000, s0
	s_cvt_u32_f32 s53, s14
	s_wait_alu 0xfffe
	s_cvt_u32_f32 s52, s0
	s_wait_alu 0xfffe
	s_delay_alu instid0(SALU_CYCLE_2)
	s_mul_u64 s[56:57], s[54:55], s[52:53]
	s_wait_alu 0xfffe
	s_mul_hi_u32 s59, s52, s57
	s_mul_i32 s58, s52, s57
	s_mul_hi_u32 s14, s52, s56
	s_mul_i32 s49, s53, s56
	s_wait_alu 0xfffe
	s_add_nc_u64 s[58:59], s[14:15], s[58:59]
	s_mul_hi_u32 s0, s53, s56
	s_mul_hi_u32 s60, s53, s57
	s_wait_alu 0xfffe
	s_add_co_u32 s14, s58, s49
	s_add_co_ci_u32 s14, s59, s0
	s_mul_i32 s56, s53, s57
	s_add_co_ci_u32 s57, s60, 0
	s_wait_alu 0xfffe
	s_add_nc_u64 s[56:57], s[14:15], s[56:57]
	s_wait_alu 0xfffe
	s_add_co_u32 s52, s52, s56
	s_cselect_b32 s0, -1, 0
	s_wait_alu 0xfffe
	s_cmp_lg_u32 s0, 0
	s_add_co_ci_u32 s53, s53, s57
	s_wait_alu 0xfffe
	s_mul_u64 s[54:55], s[54:55], s[52:53]
	s_wait_alu 0xfffe
	s_mul_hi_u32 s57, s52, s55
	s_mul_i32 s56, s52, s55
	s_mul_hi_u32 s14, s52, s54
	s_mul_i32 s49, s53, s54
	s_wait_alu 0xfffe
	s_add_nc_u64 s[56:57], s[14:15], s[56:57]
	s_mul_hi_u32 s0, s53, s54
	s_mul_hi_u32 s58, s53, s55
	s_wait_alu 0xfffe
	s_add_co_u32 s14, s56, s49
	s_add_co_ci_u32 s14, s57, s0
	s_mul_i32 s54, s53, s55
	s_add_co_ci_u32 s55, s58, 0
	s_wait_alu 0xfffe
	s_add_nc_u64 s[54:55], s[14:15], s[54:55]
	s_wait_alu 0xfffe
	s_add_co_u32 s0, s52, s54
	s_cselect_b32 s14, -1, 0
	s_wait_alu 0xfffe
	v_mul_hi_u32 v22, v16, s0
	s_cmp_lg_u32 s14, 0
	v_mad_co_u64_u32 v[12:13], null, v17, s0, 0
	s_add_co_ci_u32 s14, s53, s55
	s_wait_alu 0xfffe
	v_mad_co_u64_u32 v[10:11], null, v16, s14, 0
	v_mad_co_u64_u32 v[14:15], null, v17, s14, 0
	s_delay_alu instid0(VALU_DEP_2) | instskip(SKIP_1) | instid1(VALU_DEP_3)
	v_add_co_u32 v10, vcc_lo, v22, v10
	s_wait_alu 0xfffd
	v_add_co_ci_u32_e64 v11, null, 0, v11, vcc_lo
	s_delay_alu instid0(VALU_DEP_2) | instskip(SKIP_1) | instid1(VALU_DEP_2)
	v_add_co_u32 v10, vcc_lo, v10, v12
	s_wait_alu 0xfffd
	v_add_co_ci_u32_e32 v10, vcc_lo, v11, v13, vcc_lo
	s_wait_alu 0xfffd
	v_add_co_ci_u32_e32 v11, vcc_lo, 0, v15, vcc_lo
	s_delay_alu instid0(VALU_DEP_2) | instskip(SKIP_1) | instid1(VALU_DEP_2)
	v_add_co_u32 v12, vcc_lo, v10, v14
	s_wait_alu 0xfffd
	v_add_co_ci_u32_e64 v13, null, 0, v11, vcc_lo
	s_delay_alu instid0(VALU_DEP_2) | instskip(SKIP_1) | instid1(VALU_DEP_3)
	v_mul_lo_u32 v14, s51, v12
	v_mad_co_u64_u32 v[10:11], null, s50, v12, 0
	v_mul_lo_u32 v15, s50, v13
	s_delay_alu instid0(VALU_DEP_2) | instskip(NEXT) | instid1(VALU_DEP_2)
	v_sub_co_u32 v10, vcc_lo, v16, v10
	v_add3_u32 v11, v11, v15, v14
	v_add_co_u32 v15, s0, v12, 2
	s_wait_alu 0xf1ff
	v_add_co_ci_u32_e64 v16, null, 0, v13, s0
	s_delay_alu instid0(VALU_DEP_3) | instskip(SKIP_3) | instid1(VALU_DEP_3)
	v_sub_nc_u32_e32 v14, v17, v11
	v_sub_co_u32 v22, s0, v10, s50
	s_wait_alu 0xfffd
	v_sub_co_ci_u32_e64 v11, null, v17, v11, vcc_lo
	v_subrev_co_ci_u32_e64 v14, null, s51, v14, vcc_lo
	s_delay_alu instid0(VALU_DEP_3) | instskip(SKIP_1) | instid1(VALU_DEP_2)
	v_cmp_le_u32_e32 vcc_lo, s50, v22
	s_wait_alu 0xf1ff
	v_subrev_co_ci_u32_e64 v14, null, 0, v14, s0
	s_wait_alu 0xfffd
	v_cndmask_b32_e64 v17, 0, -1, vcc_lo
	s_delay_alu instid0(VALU_DEP_2)
	v_cmp_le_u32_e32 vcc_lo, s51, v14
	s_wait_alu 0xfffd
	v_cndmask_b32_e64 v22, 0, -1, vcc_lo
	v_cmp_le_u32_e32 vcc_lo, s50, v10
	s_wait_alu 0xfffd
	v_cndmask_b32_e64 v10, 0, -1, vcc_lo
	;; [unrolled: 3-line block ×3, first 2 shown]
	v_cmp_eq_u32_e32 vcc_lo, s51, v14
	s_wait_alu 0xfffd
	v_cndmask_b32_e32 v14, v22, v17, vcc_lo
	v_add_co_u32 v17, vcc_lo, v12, 1
	s_wait_alu 0xfffd
	v_add_co_ci_u32_e64 v22, null, 0, v13, vcc_lo
	v_cmp_eq_u32_e32 vcc_lo, s51, v11
	s_wait_alu 0xfffd
	v_cndmask_b32_e32 v10, v23, v10, vcc_lo
	v_cmp_ne_u32_e32 vcc_lo, 0, v14
	s_wait_alu 0xfffd
	v_cndmask_b32_e32 v11, v22, v16, vcc_lo
	s_delay_alu instid0(VALU_DEP_3) | instskip(SKIP_2) | instid1(VALU_DEP_2)
	v_cmp_ne_u32_e64 s0, 0, v10
	v_cndmask_b32_e32 v10, v17, v15, vcc_lo
	s_wait_alu 0xf1ff
	v_cndmask_b32_e64 v11, v13, v11, s0
	s_delay_alu instid0(VALU_DEP_2) | instskip(NEXT) | instid1(VALU_DEP_2)
	v_cndmask_b32_e64 v10, v12, v10, s0
	v_xor_b32_e32 v11, v11, v3
	s_delay_alu instid0(VALU_DEP_2) | instskip(NEXT) | instid1(VALU_DEP_1)
	v_xor_b32_e32 v10, v10, v3
	v_sub_co_u32 v10, vcc_lo, v10, v3
	s_wait_alu 0xfffd
	s_delay_alu instid0(VALU_DEP_3)
	v_sub_co_ci_u32_e64 v11, null, v11, v3, vcc_lo
.LBB102_19:                             ;   in Loop: Header=BB102_17 Depth=2
	s_wait_alu 0xfffe
	s_and_not1_saveexec_b32 s0, s1
	s_cbranch_execz .LBB102_16
; %bb.20:                               ;   in Loop: Header=BB102_17 Depth=2
	v_cvt_f32_u32_e32 v3, s46
	s_sub_co_i32 s1, 0, s46
	s_delay_alu instid0(VALU_DEP_1) | instskip(NEXT) | instid1(TRANS32_DEP_1)
	v_rcp_iflag_f32_e32 v3, v3
	v_mul_f32_e32 v3, 0x4f7ffffe, v3
	s_delay_alu instid0(VALU_DEP_1) | instskip(SKIP_1) | instid1(VALU_DEP_1)
	v_cvt_u32_f32_e32 v3, v3
	s_wait_alu 0xfffe
	v_mul_lo_u32 v10, s1, v3
	s_delay_alu instid0(VALU_DEP_1) | instskip(NEXT) | instid1(VALU_DEP_1)
	v_mul_hi_u32 v10, v3, v10
	v_add_nc_u32_e32 v3, v3, v10
	s_delay_alu instid0(VALU_DEP_1) | instskip(NEXT) | instid1(VALU_DEP_1)
	v_mul_hi_u32 v3, v8, v3
	v_mul_lo_u32 v10, v3, s46
	v_add_nc_u32_e32 v11, 1, v3
	s_delay_alu instid0(VALU_DEP_2) | instskip(NEXT) | instid1(VALU_DEP_1)
	v_sub_nc_u32_e32 v10, v8, v10
	v_subrev_nc_u32_e32 v12, s46, v10
	v_cmp_le_u32_e32 vcc_lo, s46, v10
	s_wait_alu 0xfffd
	s_delay_alu instid0(VALU_DEP_2) | instskip(NEXT) | instid1(VALU_DEP_1)
	v_dual_cndmask_b32 v10, v10, v12 :: v_dual_cndmask_b32 v3, v3, v11
	v_cmp_le_u32_e32 vcc_lo, s46, v10
	s_delay_alu instid0(VALU_DEP_2) | instskip(SKIP_1) | instid1(VALU_DEP_1)
	v_add_nc_u32_e32 v11, 1, v3
	s_wait_alu 0xfffd
	v_dual_cndmask_b32 v10, v3, v11 :: v_dual_mov_b32 v11, v2
	s_branch .LBB102_16
.LBB102_21:                             ;   in Loop: Header=BB102_22 Depth=2
	s_wait_alu 0xfffe
	s_or_b32 exec_lo, exec_lo, s0
	v_mul_lo_u32 v3, v11, s44
	v_mul_lo_u32 v26, v10, s45
	v_mad_co_u64_u32 v[22:23], null, v10, s44, 0
	v_mul_lo_u32 v27, v13, s48
	v_mul_lo_u32 v28, v12, s49
	v_mad_co_u64_u32 v[24:25], null, v12, s48, 0
	s_load_b64 s[0:1], s[38:39], 0x0
	s_add_nc_u64 s[42:43], s[42:43], -4
	v_add3_u32 v3, v23, v26, v3
	v_sub_co_u32 v8, vcc_lo, v8, v22
	v_mul_lo_u32 v22, v15, s52
	v_add3_u32 v23, v25, v28, v27
	s_wait_alu 0xfffd
	v_sub_co_ci_u32_e64 v3, null, v9, v3, vcc_lo
	v_mul_lo_u32 v25, s47, v8
	v_mad_co_u64_u32 v[6:7], null, s46, v8, v[6:7]
	s_delay_alu instid0(VALU_DEP_3)
	v_mul_lo_u32 v3, s46, v3
	v_mul_lo_u32 v26, v14, s53
	v_mad_co_u64_u32 v[8:9], null, v14, s52, 0
	v_sub_co_u32 v10, vcc_lo, v10, v24
	s_wait_alu 0xfffd
	v_sub_co_ci_u32_e64 v11, null, v11, v23, vcc_lo
	v_add3_u32 v7, v25, v7, v3
	s_add_nc_u64 s[38:39], s[38:39], s[18:19]
	s_delay_alu instid0(VALU_DEP_4)
	v_add3_u32 v3, v9, v26, v22
	v_mul_lo_u32 v22, s51, v10
	v_mul_lo_u32 v11, s50, v11
	v_mad_co_u64_u32 v[6:7], null, s50, v10, v[6:7]
	v_sub_co_u32 v10, vcc_lo, v12, v8
	s_wait_alu 0xfffd
	v_sub_co_ci_u32_e64 v3, null, v13, v3, vcc_lo
	v_mul_lo_u32 v12, v17, s56
	v_mul_lo_u32 v13, v16, s57
	v_mad_co_u64_u32 v[8:9], null, v16, s56, 0
	v_add3_u32 v7, v22, v7, v11
	v_mul_lo_u32 v3, s54, v3
	s_cmp_eq_u64 s[42:43], 0
	s_add_nc_u64 s[40:41], s[40:41], s[18:19]
	s_delay_alu instid0(VALU_DEP_2) | instskip(SKIP_4) | instid1(VALU_DEP_2)
	v_mad_co_u64_u32 v[6:7], null, s54, v10, v[6:7]
	v_mul_lo_u32 v10, s55, v10
	v_add3_u32 v9, v9, v13, v12
	v_sub_co_u32 v8, vcc_lo, v14, v8
	s_wait_alu 0xfffd
	v_sub_co_ci_u32_e64 v9, null, v15, v9, vcc_lo
	s_delay_alu instid0(VALU_DEP_4) | instskip(SKIP_1) | instid1(VALU_DEP_2)
	v_add3_u32 v7, v10, v7, v3
	s_wait_kmcnt 0x0
	v_mul_lo_u32 v3, s0, v9
	v_mul_lo_u32 v9, s1, v8
	s_delay_alu instid0(VALU_DEP_3) | instskip(NEXT) | instid1(VALU_DEP_1)
	v_mad_co_u64_u32 v[6:7], null, s0, v8, v[6:7]
	v_add3_u32 v7, v9, v7, v3
	v_dual_mov_b32 v8, v16 :: v_dual_mov_b32 v9, v17
	s_cbranch_scc1 .LBB102_38
.LBB102_22:                             ;   Parent Loop BB102_3 Depth=1
                                        ; =>  This Inner Loop Header: Depth=2
	s_load_b64 s[44:45], s[40:41], 0x18
                                        ; implicit-def: $vgpr10_vgpr11
	s_mov_b32 s0, exec_lo
	s_wait_kmcnt 0x0
	v_or_b32_e32 v3, s45, v9
	s_delay_alu instid0(VALU_DEP_1)
	v_cmpx_ne_u64_e32 0, v[2:3]
	s_wait_alu 0xfffe
	s_xor_b32 s1, exec_lo, s0
	s_cbranch_execz .LBB102_24
; %bb.23:                               ;   in Loop: Header=BB102_22 Depth=2
	s_ashr_i32 s46, s45, 31
	v_ashrrev_i32_e32 v3, 31, v9
	s_wait_alu 0xfffe
	s_mov_b32 s47, s46
	s_wait_alu 0xfffe
	s_add_nc_u64 s[48:49], s[44:45], s[46:47]
	v_add_co_u32 v10, vcc_lo, v8, v3
	s_wait_alu 0xfffe
	s_xor_b64 s[48:49], s[48:49], s[46:47]
	s_wait_alu 0xfffd
	v_add_co_ci_u32_e64 v11, null, v9, v3, vcc_lo
	s_wait_alu 0xfffe
	s_cvt_f32_u32 s0, s48
	s_cvt_f32_u32 s14, s49
	s_sub_nc_u64 s[52:53], 0, s[48:49]
	v_xor_b32_e32 v16, v10, v3
	v_xor_b32_e32 v17, v11, v3
	s_wait_alu 0xfffe
	s_fmamk_f32 s0, s14, 0x4f800000, s0
	v_xor_b32_e32 v3, s46, v3
	s_wait_alu 0xfffe
	s_delay_alu instid0(SALU_CYCLE_1) | instskip(NEXT) | instid1(TRANS32_DEP_1)
	v_s_rcp_f32 s0, s0
	s_mul_f32 s0, s0, 0x5f7ffffc
	s_wait_alu 0xfffe
	s_delay_alu instid0(SALU_CYCLE_2) | instskip(SKIP_1) | instid1(SALU_CYCLE_2)
	s_mul_f32 s14, s0, 0x2f800000
	s_wait_alu 0xfffe
	s_trunc_f32 s14, s14
	s_wait_alu 0xfffe
	s_delay_alu instid0(SALU_CYCLE_2) | instskip(SKIP_2) | instid1(SALU_CYCLE_1)
	s_fmamk_f32 s0, s14, 0xcf800000, s0
	s_cvt_u32_f32 s51, s14
	s_wait_alu 0xfffe
	s_cvt_u32_f32 s50, s0
	s_wait_alu 0xfffe
	s_delay_alu instid0(SALU_CYCLE_2)
	s_mul_u64 s[54:55], s[52:53], s[50:51]
	s_wait_alu 0xfffe
	s_mul_hi_u32 s57, s50, s55
	s_mul_i32 s56, s50, s55
	s_mul_hi_u32 s14, s50, s54
	s_mul_i32 s47, s51, s54
	s_wait_alu 0xfffe
	s_add_nc_u64 s[56:57], s[14:15], s[56:57]
	s_mul_hi_u32 s0, s51, s54
	s_mul_hi_u32 s58, s51, s55
	s_wait_alu 0xfffe
	s_add_co_u32 s14, s56, s47
	s_add_co_ci_u32 s14, s57, s0
	s_mul_i32 s54, s51, s55
	s_add_co_ci_u32 s55, s58, 0
	s_wait_alu 0xfffe
	s_add_nc_u64 s[54:55], s[14:15], s[54:55]
	s_wait_alu 0xfffe
	s_add_co_u32 s50, s50, s54
	s_cselect_b32 s0, -1, 0
	s_wait_alu 0xfffe
	s_cmp_lg_u32 s0, 0
	s_add_co_ci_u32 s51, s51, s55
	s_wait_alu 0xfffe
	s_mul_u64 s[52:53], s[52:53], s[50:51]
	s_wait_alu 0xfffe
	s_mul_hi_u32 s55, s50, s53
	s_mul_i32 s54, s50, s53
	s_mul_hi_u32 s14, s50, s52
	s_mul_i32 s47, s51, s52
	s_wait_alu 0xfffe
	s_add_nc_u64 s[54:55], s[14:15], s[54:55]
	s_mul_hi_u32 s0, s51, s52
	s_mul_hi_u32 s56, s51, s53
	s_wait_alu 0xfffe
	s_add_co_u32 s14, s54, s47
	s_add_co_ci_u32 s14, s55, s0
	s_mul_i32 s52, s51, s53
	s_add_co_ci_u32 s53, s56, 0
	s_wait_alu 0xfffe
	s_add_nc_u64 s[52:53], s[14:15], s[52:53]
	s_wait_alu 0xfffe
	s_add_co_u32 s0, s50, s52
	s_cselect_b32 s14, -1, 0
	s_wait_alu 0xfffe
	v_mul_hi_u32 v22, v16, s0
	s_cmp_lg_u32 s14, 0
	v_mad_co_u64_u32 v[12:13], null, v17, s0, 0
	s_add_co_ci_u32 s14, s51, s53
	s_wait_alu 0xfffe
	v_mad_co_u64_u32 v[10:11], null, v16, s14, 0
	v_mad_co_u64_u32 v[14:15], null, v17, s14, 0
	s_delay_alu instid0(VALU_DEP_2) | instskip(SKIP_1) | instid1(VALU_DEP_3)
	v_add_co_u32 v10, vcc_lo, v22, v10
	s_wait_alu 0xfffd
	v_add_co_ci_u32_e64 v11, null, 0, v11, vcc_lo
	s_delay_alu instid0(VALU_DEP_2) | instskip(SKIP_1) | instid1(VALU_DEP_2)
	v_add_co_u32 v10, vcc_lo, v10, v12
	s_wait_alu 0xfffd
	v_add_co_ci_u32_e32 v10, vcc_lo, v11, v13, vcc_lo
	s_wait_alu 0xfffd
	v_add_co_ci_u32_e32 v11, vcc_lo, 0, v15, vcc_lo
	s_delay_alu instid0(VALU_DEP_2) | instskip(SKIP_1) | instid1(VALU_DEP_2)
	v_add_co_u32 v12, vcc_lo, v10, v14
	s_wait_alu 0xfffd
	v_add_co_ci_u32_e64 v13, null, 0, v11, vcc_lo
	s_delay_alu instid0(VALU_DEP_2) | instskip(SKIP_1) | instid1(VALU_DEP_3)
	v_mul_lo_u32 v14, s49, v12
	v_mad_co_u64_u32 v[10:11], null, s48, v12, 0
	v_mul_lo_u32 v15, s48, v13
	s_delay_alu instid0(VALU_DEP_2) | instskip(NEXT) | instid1(VALU_DEP_2)
	v_sub_co_u32 v10, vcc_lo, v16, v10
	v_add3_u32 v11, v11, v15, v14
	v_add_co_u32 v15, s0, v12, 2
	s_wait_alu 0xf1ff
	v_add_co_ci_u32_e64 v16, null, 0, v13, s0
	s_delay_alu instid0(VALU_DEP_3) | instskip(SKIP_3) | instid1(VALU_DEP_3)
	v_sub_nc_u32_e32 v14, v17, v11
	v_sub_co_u32 v22, s0, v10, s48
	s_wait_alu 0xfffd
	v_sub_co_ci_u32_e64 v11, null, v17, v11, vcc_lo
	v_subrev_co_ci_u32_e64 v14, null, s49, v14, vcc_lo
	s_delay_alu instid0(VALU_DEP_3) | instskip(SKIP_1) | instid1(VALU_DEP_2)
	v_cmp_le_u32_e32 vcc_lo, s48, v22
	s_wait_alu 0xf1ff
	v_subrev_co_ci_u32_e64 v14, null, 0, v14, s0
	s_wait_alu 0xfffd
	v_cndmask_b32_e64 v17, 0, -1, vcc_lo
	s_delay_alu instid0(VALU_DEP_2)
	v_cmp_le_u32_e32 vcc_lo, s49, v14
	s_wait_alu 0xfffd
	v_cndmask_b32_e64 v22, 0, -1, vcc_lo
	v_cmp_le_u32_e32 vcc_lo, s48, v10
	s_wait_alu 0xfffd
	v_cndmask_b32_e64 v10, 0, -1, vcc_lo
	;; [unrolled: 3-line block ×3, first 2 shown]
	v_cmp_eq_u32_e32 vcc_lo, s49, v14
	s_wait_alu 0xfffd
	v_cndmask_b32_e32 v14, v22, v17, vcc_lo
	v_add_co_u32 v17, vcc_lo, v12, 1
	s_wait_alu 0xfffd
	v_add_co_ci_u32_e64 v22, null, 0, v13, vcc_lo
	v_cmp_eq_u32_e32 vcc_lo, s49, v11
	s_wait_alu 0xfffd
	v_cndmask_b32_e32 v10, v23, v10, vcc_lo
	v_cmp_ne_u32_e32 vcc_lo, 0, v14
	s_wait_alu 0xfffd
	v_cndmask_b32_e32 v11, v22, v16, vcc_lo
	s_delay_alu instid0(VALU_DEP_3) | instskip(SKIP_2) | instid1(VALU_DEP_2)
	v_cmp_ne_u32_e64 s0, 0, v10
	v_cndmask_b32_e32 v10, v17, v15, vcc_lo
	s_wait_alu 0xf1ff
	v_cndmask_b32_e64 v11, v13, v11, s0
	s_delay_alu instid0(VALU_DEP_2) | instskip(NEXT) | instid1(VALU_DEP_2)
	v_cndmask_b32_e64 v10, v12, v10, s0
	v_xor_b32_e32 v11, v11, v3
	s_delay_alu instid0(VALU_DEP_2) | instskip(NEXT) | instid1(VALU_DEP_1)
	v_xor_b32_e32 v10, v10, v3
	v_sub_co_u32 v10, vcc_lo, v10, v3
	s_wait_alu 0xfffd
	s_delay_alu instid0(VALU_DEP_3)
	v_sub_co_ci_u32_e64 v11, null, v11, v3, vcc_lo
.LBB102_24:                             ;   in Loop: Header=BB102_22 Depth=2
	s_wait_alu 0xfffe
	s_and_not1_saveexec_b32 s0, s1
	s_cbranch_execz .LBB102_26
; %bb.25:                               ;   in Loop: Header=BB102_22 Depth=2
	v_cvt_f32_u32_e32 v3, s44
	s_sub_co_i32 s1, 0, s44
	s_delay_alu instid0(VALU_DEP_1) | instskip(NEXT) | instid1(TRANS32_DEP_1)
	v_rcp_iflag_f32_e32 v3, v3
	v_mul_f32_e32 v3, 0x4f7ffffe, v3
	s_delay_alu instid0(VALU_DEP_1) | instskip(SKIP_1) | instid1(VALU_DEP_1)
	v_cvt_u32_f32_e32 v3, v3
	s_wait_alu 0xfffe
	v_mul_lo_u32 v10, s1, v3
	s_delay_alu instid0(VALU_DEP_1) | instskip(NEXT) | instid1(VALU_DEP_1)
	v_mul_hi_u32 v10, v3, v10
	v_add_nc_u32_e32 v3, v3, v10
	s_delay_alu instid0(VALU_DEP_1) | instskip(NEXT) | instid1(VALU_DEP_1)
	v_mul_hi_u32 v3, v8, v3
	v_mul_lo_u32 v10, v3, s44
	v_add_nc_u32_e32 v11, 1, v3
	s_delay_alu instid0(VALU_DEP_2) | instskip(NEXT) | instid1(VALU_DEP_1)
	v_sub_nc_u32_e32 v10, v8, v10
	v_subrev_nc_u32_e32 v12, s44, v10
	v_cmp_le_u32_e32 vcc_lo, s44, v10
	s_wait_alu 0xfffd
	s_delay_alu instid0(VALU_DEP_2) | instskip(NEXT) | instid1(VALU_DEP_1)
	v_dual_cndmask_b32 v10, v10, v12 :: v_dual_cndmask_b32 v3, v3, v11
	v_cmp_le_u32_e32 vcc_lo, s44, v10
	s_delay_alu instid0(VALU_DEP_2) | instskip(SKIP_1) | instid1(VALU_DEP_1)
	v_add_nc_u32_e32 v11, 1, v3
	s_wait_alu 0xfffd
	v_dual_cndmask_b32 v10, v3, v11 :: v_dual_mov_b32 v11, v2
.LBB102_26:                             ;   in Loop: Header=BB102_22 Depth=2
	s_wait_alu 0xfffe
	s_or_b32 exec_lo, exec_lo, s0
	s_load_b64 s[48:49], s[40:41], 0x10
	s_load_b64 s[46:47], s[38:39], 0x18
                                        ; implicit-def: $vgpr12_vgpr13
	s_mov_b32 s0, exec_lo
	s_wait_kmcnt 0x0
	v_or_b32_e32 v3, s49, v11
	s_delay_alu instid0(VALU_DEP_1)
	v_cmpx_ne_u64_e32 0, v[2:3]
	s_wait_alu 0xfffe
	s_xor_b32 s1, exec_lo, s0
	s_cbranch_execz .LBB102_28
; %bb.27:                               ;   in Loop: Header=BB102_22 Depth=2
	s_ashr_i32 s50, s49, 31
	v_ashrrev_i32_e32 v3, 31, v11
	s_wait_alu 0xfffe
	s_mov_b32 s51, s50
	s_wait_alu 0xfffe
	s_add_nc_u64 s[52:53], s[48:49], s[50:51]
	v_add_co_u32 v12, vcc_lo, v10, v3
	s_wait_alu 0xfffe
	s_xor_b64 s[52:53], s[52:53], s[50:51]
	s_wait_alu 0xfffd
	v_add_co_ci_u32_e64 v13, null, v11, v3, vcc_lo
	s_wait_alu 0xfffe
	s_cvt_f32_u32 s0, s52
	s_cvt_f32_u32 s14, s53
	s_sub_nc_u64 s[56:57], 0, s[52:53]
	v_xor_b32_e32 v22, v12, v3
	v_xor_b32_e32 v23, v13, v3
	s_wait_alu 0xfffe
	s_fmamk_f32 s0, s14, 0x4f800000, s0
	v_xor_b32_e32 v3, s50, v3
	s_wait_alu 0xfffe
	s_delay_alu instid0(SALU_CYCLE_1) | instskip(NEXT) | instid1(TRANS32_DEP_1)
	v_s_rcp_f32 s0, s0
	s_mul_f32 s0, s0, 0x5f7ffffc
	s_wait_alu 0xfffe
	s_delay_alu instid0(SALU_CYCLE_2) | instskip(SKIP_1) | instid1(SALU_CYCLE_2)
	s_mul_f32 s14, s0, 0x2f800000
	s_wait_alu 0xfffe
	s_trunc_f32 s14, s14
	s_wait_alu 0xfffe
	s_delay_alu instid0(SALU_CYCLE_2) | instskip(SKIP_2) | instid1(SALU_CYCLE_1)
	s_fmamk_f32 s0, s14, 0xcf800000, s0
	s_cvt_u32_f32 s55, s14
	s_wait_alu 0xfffe
	s_cvt_u32_f32 s54, s0
	s_wait_alu 0xfffe
	s_delay_alu instid0(SALU_CYCLE_2)
	s_mul_u64 s[58:59], s[56:57], s[54:55]
	s_wait_alu 0xfffe
	s_mul_hi_u32 s61, s54, s59
	s_mul_i32 s60, s54, s59
	s_mul_hi_u32 s14, s54, s58
	s_mul_i32 s51, s55, s58
	s_wait_alu 0xfffe
	s_add_nc_u64 s[60:61], s[14:15], s[60:61]
	s_mul_hi_u32 s0, s55, s58
	s_mul_hi_u32 s66, s55, s59
	s_wait_alu 0xfffe
	s_add_co_u32 s14, s60, s51
	s_add_co_ci_u32 s14, s61, s0
	s_mul_i32 s58, s55, s59
	s_add_co_ci_u32 s59, s66, 0
	s_wait_alu 0xfffe
	s_add_nc_u64 s[58:59], s[14:15], s[58:59]
	s_wait_alu 0xfffe
	s_add_co_u32 s54, s54, s58
	s_cselect_b32 s0, -1, 0
	s_wait_alu 0xfffe
	s_cmp_lg_u32 s0, 0
	s_add_co_ci_u32 s55, s55, s59
	s_wait_alu 0xfffe
	s_mul_u64 s[56:57], s[56:57], s[54:55]
	s_wait_alu 0xfffe
	s_mul_hi_u32 s59, s54, s57
	s_mul_i32 s58, s54, s57
	s_mul_hi_u32 s14, s54, s56
	s_mul_i32 s51, s55, s56
	s_wait_alu 0xfffe
	s_add_nc_u64 s[58:59], s[14:15], s[58:59]
	s_mul_hi_u32 s0, s55, s56
	s_mul_hi_u32 s60, s55, s57
	s_wait_alu 0xfffe
	s_add_co_u32 s14, s58, s51
	s_add_co_ci_u32 s14, s59, s0
	s_mul_i32 s56, s55, s57
	s_add_co_ci_u32 s57, s60, 0
	s_wait_alu 0xfffe
	s_add_nc_u64 s[56:57], s[14:15], s[56:57]
	s_wait_alu 0xfffe
	s_add_co_u32 s0, s54, s56
	s_cselect_b32 s14, -1, 0
	s_wait_alu 0xfffe
	v_mul_hi_u32 v24, v22, s0
	s_cmp_lg_u32 s14, 0
	v_mad_co_u64_u32 v[14:15], null, v23, s0, 0
	s_add_co_ci_u32 s14, s55, s57
	s_wait_alu 0xfffe
	v_mad_co_u64_u32 v[12:13], null, v22, s14, 0
	v_mad_co_u64_u32 v[16:17], null, v23, s14, 0
	s_delay_alu instid0(VALU_DEP_2) | instskip(SKIP_1) | instid1(VALU_DEP_3)
	v_add_co_u32 v12, vcc_lo, v24, v12
	s_wait_alu 0xfffd
	v_add_co_ci_u32_e64 v13, null, 0, v13, vcc_lo
	s_delay_alu instid0(VALU_DEP_2) | instskip(SKIP_1) | instid1(VALU_DEP_2)
	v_add_co_u32 v12, vcc_lo, v12, v14
	s_wait_alu 0xfffd
	v_add_co_ci_u32_e32 v12, vcc_lo, v13, v15, vcc_lo
	s_wait_alu 0xfffd
	v_add_co_ci_u32_e32 v13, vcc_lo, 0, v17, vcc_lo
	s_delay_alu instid0(VALU_DEP_2) | instskip(SKIP_1) | instid1(VALU_DEP_2)
	v_add_co_u32 v14, vcc_lo, v12, v16
	s_wait_alu 0xfffd
	v_add_co_ci_u32_e64 v15, null, 0, v13, vcc_lo
	s_delay_alu instid0(VALU_DEP_2) | instskip(SKIP_1) | instid1(VALU_DEP_3)
	v_mul_lo_u32 v16, s53, v14
	v_mad_co_u64_u32 v[12:13], null, s52, v14, 0
	v_mul_lo_u32 v17, s52, v15
	s_delay_alu instid0(VALU_DEP_2) | instskip(NEXT) | instid1(VALU_DEP_2)
	v_sub_co_u32 v12, vcc_lo, v22, v12
	v_add3_u32 v13, v13, v17, v16
	v_add_co_u32 v17, s0, v14, 2
	s_wait_alu 0xf1ff
	v_add_co_ci_u32_e64 v22, null, 0, v15, s0
	s_delay_alu instid0(VALU_DEP_3) | instskip(SKIP_3) | instid1(VALU_DEP_3)
	v_sub_nc_u32_e32 v16, v23, v13
	v_sub_co_u32 v24, s0, v12, s52
	s_wait_alu 0xfffd
	v_sub_co_ci_u32_e64 v13, null, v23, v13, vcc_lo
	v_subrev_co_ci_u32_e64 v16, null, s53, v16, vcc_lo
	s_delay_alu instid0(VALU_DEP_3) | instskip(SKIP_1) | instid1(VALU_DEP_2)
	v_cmp_le_u32_e32 vcc_lo, s52, v24
	s_wait_alu 0xf1ff
	v_subrev_co_ci_u32_e64 v16, null, 0, v16, s0
	s_wait_alu 0xfffd
	v_cndmask_b32_e64 v23, 0, -1, vcc_lo
	s_delay_alu instid0(VALU_DEP_2)
	v_cmp_le_u32_e32 vcc_lo, s53, v16
	s_wait_alu 0xfffd
	v_cndmask_b32_e64 v24, 0, -1, vcc_lo
	v_cmp_le_u32_e32 vcc_lo, s52, v12
	s_wait_alu 0xfffd
	v_cndmask_b32_e64 v12, 0, -1, vcc_lo
	;; [unrolled: 3-line block ×3, first 2 shown]
	v_cmp_eq_u32_e32 vcc_lo, s53, v16
	s_wait_alu 0xfffd
	v_cndmask_b32_e32 v16, v24, v23, vcc_lo
	v_add_co_u32 v23, vcc_lo, v14, 1
	s_wait_alu 0xfffd
	v_add_co_ci_u32_e64 v24, null, 0, v15, vcc_lo
	v_cmp_eq_u32_e32 vcc_lo, s53, v13
	s_wait_alu 0xfffd
	v_cndmask_b32_e32 v12, v25, v12, vcc_lo
	v_cmp_ne_u32_e32 vcc_lo, 0, v16
	s_wait_alu 0xfffd
	v_cndmask_b32_e32 v13, v24, v22, vcc_lo
	s_delay_alu instid0(VALU_DEP_3) | instskip(SKIP_2) | instid1(VALU_DEP_2)
	v_cmp_ne_u32_e64 s0, 0, v12
	v_cndmask_b32_e32 v12, v23, v17, vcc_lo
	s_wait_alu 0xf1ff
	v_cndmask_b32_e64 v13, v15, v13, s0
	s_delay_alu instid0(VALU_DEP_2) | instskip(NEXT) | instid1(VALU_DEP_2)
	v_cndmask_b32_e64 v12, v14, v12, s0
	v_xor_b32_e32 v13, v13, v3
	s_delay_alu instid0(VALU_DEP_2) | instskip(NEXT) | instid1(VALU_DEP_1)
	v_xor_b32_e32 v12, v12, v3
	v_sub_co_u32 v12, vcc_lo, v12, v3
	s_wait_alu 0xfffd
	s_delay_alu instid0(VALU_DEP_3)
	v_sub_co_ci_u32_e64 v13, null, v13, v3, vcc_lo
.LBB102_28:                             ;   in Loop: Header=BB102_22 Depth=2
	s_wait_alu 0xfffe
	s_and_not1_saveexec_b32 s0, s1
	s_cbranch_execz .LBB102_30
; %bb.29:                               ;   in Loop: Header=BB102_22 Depth=2
	v_cvt_f32_u32_e32 v3, s48
	s_sub_co_i32 s1, 0, s48
	s_delay_alu instid0(VALU_DEP_1) | instskip(NEXT) | instid1(TRANS32_DEP_1)
	v_rcp_iflag_f32_e32 v3, v3
	v_mul_f32_e32 v3, 0x4f7ffffe, v3
	s_delay_alu instid0(VALU_DEP_1) | instskip(SKIP_1) | instid1(VALU_DEP_1)
	v_cvt_u32_f32_e32 v3, v3
	s_wait_alu 0xfffe
	v_mul_lo_u32 v12, s1, v3
	s_delay_alu instid0(VALU_DEP_1) | instskip(NEXT) | instid1(VALU_DEP_1)
	v_mul_hi_u32 v12, v3, v12
	v_add_nc_u32_e32 v3, v3, v12
	s_delay_alu instid0(VALU_DEP_1) | instskip(NEXT) | instid1(VALU_DEP_1)
	v_mul_hi_u32 v3, v10, v3
	v_mul_lo_u32 v12, v3, s48
	v_add_nc_u32_e32 v13, 1, v3
	s_delay_alu instid0(VALU_DEP_2) | instskip(NEXT) | instid1(VALU_DEP_1)
	v_sub_nc_u32_e32 v12, v10, v12
	v_subrev_nc_u32_e32 v14, s48, v12
	v_cmp_le_u32_e32 vcc_lo, s48, v12
	s_wait_alu 0xfffd
	s_delay_alu instid0(VALU_DEP_2) | instskip(NEXT) | instid1(VALU_DEP_1)
	v_dual_cndmask_b32 v12, v12, v14 :: v_dual_cndmask_b32 v3, v3, v13
	v_cmp_le_u32_e32 vcc_lo, s48, v12
	s_delay_alu instid0(VALU_DEP_2) | instskip(SKIP_1) | instid1(VALU_DEP_1)
	v_add_nc_u32_e32 v13, 1, v3
	s_wait_alu 0xfffd
	v_dual_cndmask_b32 v12, v3, v13 :: v_dual_mov_b32 v13, v2
.LBB102_30:                             ;   in Loop: Header=BB102_22 Depth=2
	s_wait_alu 0xfffe
	s_or_b32 exec_lo, exec_lo, s0
	s_load_b64 s[52:53], s[40:41], 0x8
	s_load_b64 s[50:51], s[38:39], 0x10
                                        ; implicit-def: $vgpr14_vgpr15
	s_mov_b32 s0, exec_lo
	s_wait_kmcnt 0x0
	v_or_b32_e32 v3, s53, v13
	s_delay_alu instid0(VALU_DEP_1)
	v_cmpx_ne_u64_e32 0, v[2:3]
	s_wait_alu 0xfffe
	s_xor_b32 s1, exec_lo, s0
	s_cbranch_execz .LBB102_32
; %bb.31:                               ;   in Loop: Header=BB102_22 Depth=2
	s_ashr_i32 s54, s53, 31
	v_ashrrev_i32_e32 v3, 31, v13
	s_wait_alu 0xfffe
	s_mov_b32 s55, s54
	s_wait_alu 0xfffe
	s_add_nc_u64 s[56:57], s[52:53], s[54:55]
	v_add_co_u32 v14, vcc_lo, v12, v3
	s_wait_alu 0xfffe
	s_xor_b64 s[56:57], s[56:57], s[54:55]
	s_wait_alu 0xfffd
	v_add_co_ci_u32_e64 v15, null, v13, v3, vcc_lo
	s_wait_alu 0xfffe
	s_cvt_f32_u32 s0, s56
	s_cvt_f32_u32 s14, s57
	s_sub_nc_u64 s[60:61], 0, s[56:57]
	v_xor_b32_e32 v24, v14, v3
	v_xor_b32_e32 v25, v15, v3
	s_wait_alu 0xfffe
	s_fmamk_f32 s0, s14, 0x4f800000, s0
	v_xor_b32_e32 v3, s54, v3
	s_wait_alu 0xfffe
	s_delay_alu instid0(SALU_CYCLE_1) | instskip(NEXT) | instid1(TRANS32_DEP_1)
	v_s_rcp_f32 s0, s0
	s_mul_f32 s0, s0, 0x5f7ffffc
	s_wait_alu 0xfffe
	s_delay_alu instid0(SALU_CYCLE_2) | instskip(SKIP_1) | instid1(SALU_CYCLE_2)
	s_mul_f32 s14, s0, 0x2f800000
	s_wait_alu 0xfffe
	s_trunc_f32 s14, s14
	s_wait_alu 0xfffe
	s_delay_alu instid0(SALU_CYCLE_2) | instskip(SKIP_2) | instid1(SALU_CYCLE_1)
	s_fmamk_f32 s0, s14, 0xcf800000, s0
	s_cvt_u32_f32 s59, s14
	s_wait_alu 0xfffe
	s_cvt_u32_f32 s58, s0
	s_wait_alu 0xfffe
	s_delay_alu instid0(SALU_CYCLE_2) | instskip(NEXT) | instid1(SALU_CYCLE_1)
	s_mul_u64 s[66:67], s[60:61], s[58:59]
	s_mul_hi_u32 s69, s58, s67
	s_mul_i32 s68, s58, s67
	s_mul_hi_u32 s14, s58, s66
	s_mul_i32 s55, s59, s66
	s_wait_alu 0xfffe
	s_add_nc_u64 s[68:69], s[14:15], s[68:69]
	s_mul_hi_u32 s0, s59, s66
	s_mul_hi_u32 s70, s59, s67
	s_add_co_u32 s14, s68, s55
	s_wait_alu 0xfffe
	s_add_co_ci_u32 s14, s69, s0
	s_mul_i32 s66, s59, s67
	s_add_co_ci_u32 s67, s70, 0
	s_wait_alu 0xfffe
	s_add_nc_u64 s[66:67], s[14:15], s[66:67]
	s_delay_alu instid0(SALU_CYCLE_1)
	s_add_co_u32 s58, s58, s66
	s_cselect_b32 s0, -1, 0
	s_wait_alu 0xfffe
	s_cmp_lg_u32 s0, 0
	s_add_co_ci_u32 s59, s59, s67
	s_wait_alu 0xfffe
	s_mul_u64 s[60:61], s[60:61], s[58:59]
	s_wait_alu 0xfffe
	s_mul_hi_u32 s67, s58, s61
	s_mul_i32 s66, s58, s61
	s_mul_hi_u32 s14, s58, s60
	s_mul_i32 s55, s59, s60
	s_wait_alu 0xfffe
	s_add_nc_u64 s[66:67], s[14:15], s[66:67]
	s_mul_hi_u32 s0, s59, s60
	s_mul_hi_u32 s68, s59, s61
	s_add_co_u32 s14, s66, s55
	s_wait_alu 0xfffe
	s_add_co_ci_u32 s14, s67, s0
	s_mul_i32 s60, s59, s61
	s_add_co_ci_u32 s61, s68, 0
	s_wait_alu 0xfffe
	s_add_nc_u64 s[60:61], s[14:15], s[60:61]
	s_wait_alu 0xfffe
	s_add_co_u32 s0, s58, s60
	s_cselect_b32 s14, -1, 0
	s_wait_alu 0xfffe
	v_mul_hi_u32 v26, v24, s0
	s_cmp_lg_u32 s14, 0
	v_mad_co_u64_u32 v[16:17], null, v25, s0, 0
	s_add_co_ci_u32 s14, s59, s61
	s_wait_alu 0xfffe
	v_mad_co_u64_u32 v[14:15], null, v24, s14, 0
	v_mad_co_u64_u32 v[22:23], null, v25, s14, 0
	s_delay_alu instid0(VALU_DEP_2) | instskip(SKIP_1) | instid1(VALU_DEP_3)
	v_add_co_u32 v14, vcc_lo, v26, v14
	s_wait_alu 0xfffd
	v_add_co_ci_u32_e64 v15, null, 0, v15, vcc_lo
	s_delay_alu instid0(VALU_DEP_2) | instskip(SKIP_1) | instid1(VALU_DEP_2)
	v_add_co_u32 v14, vcc_lo, v14, v16
	s_wait_alu 0xfffd
	v_add_co_ci_u32_e32 v14, vcc_lo, v15, v17, vcc_lo
	s_wait_alu 0xfffd
	v_add_co_ci_u32_e32 v15, vcc_lo, 0, v23, vcc_lo
	s_delay_alu instid0(VALU_DEP_2) | instskip(SKIP_1) | instid1(VALU_DEP_2)
	v_add_co_u32 v16, vcc_lo, v14, v22
	s_wait_alu 0xfffd
	v_add_co_ci_u32_e64 v17, null, 0, v15, vcc_lo
	s_delay_alu instid0(VALU_DEP_2) | instskip(SKIP_1) | instid1(VALU_DEP_3)
	v_mul_lo_u32 v22, s57, v16
	v_mad_co_u64_u32 v[14:15], null, s56, v16, 0
	v_mul_lo_u32 v23, s56, v17
	s_delay_alu instid0(VALU_DEP_2) | instskip(NEXT) | instid1(VALU_DEP_2)
	v_sub_co_u32 v14, vcc_lo, v24, v14
	v_add3_u32 v15, v15, v23, v22
	v_add_co_u32 v23, s0, v16, 2
	s_wait_alu 0xf1ff
	v_add_co_ci_u32_e64 v24, null, 0, v17, s0
	s_delay_alu instid0(VALU_DEP_3) | instskip(SKIP_3) | instid1(VALU_DEP_3)
	v_sub_nc_u32_e32 v22, v25, v15
	v_sub_co_u32 v26, s0, v14, s56
	s_wait_alu 0xfffd
	v_sub_co_ci_u32_e64 v15, null, v25, v15, vcc_lo
	v_subrev_co_ci_u32_e64 v22, null, s57, v22, vcc_lo
	s_delay_alu instid0(VALU_DEP_3) | instskip(SKIP_1) | instid1(VALU_DEP_2)
	v_cmp_le_u32_e32 vcc_lo, s56, v26
	s_wait_alu 0xf1ff
	v_subrev_co_ci_u32_e64 v22, null, 0, v22, s0
	s_wait_alu 0xfffd
	v_cndmask_b32_e64 v25, 0, -1, vcc_lo
	s_delay_alu instid0(VALU_DEP_2)
	v_cmp_le_u32_e32 vcc_lo, s57, v22
	s_wait_alu 0xfffd
	v_cndmask_b32_e64 v26, 0, -1, vcc_lo
	v_cmp_le_u32_e32 vcc_lo, s56, v14
	s_wait_alu 0xfffd
	v_cndmask_b32_e64 v14, 0, -1, vcc_lo
	v_cmp_le_u32_e32 vcc_lo, s57, v15
	s_wait_alu 0xfffd
	v_cndmask_b32_e64 v27, 0, -1, vcc_lo
	v_cmp_eq_u32_e32 vcc_lo, s57, v22
	s_wait_alu 0xfffd
	v_cndmask_b32_e32 v22, v26, v25, vcc_lo
	v_add_co_u32 v25, vcc_lo, v16, 1
	s_wait_alu 0xfffd
	v_add_co_ci_u32_e64 v26, null, 0, v17, vcc_lo
	v_cmp_eq_u32_e32 vcc_lo, s57, v15
	s_wait_alu 0xfffd
	v_cndmask_b32_e32 v14, v27, v14, vcc_lo
	v_cmp_ne_u32_e32 vcc_lo, 0, v22
	s_wait_alu 0xfffd
	v_cndmask_b32_e32 v15, v26, v24, vcc_lo
	s_delay_alu instid0(VALU_DEP_3) | instskip(SKIP_2) | instid1(VALU_DEP_2)
	v_cmp_ne_u32_e64 s0, 0, v14
	v_cndmask_b32_e32 v14, v25, v23, vcc_lo
	s_wait_alu 0xf1ff
	v_cndmask_b32_e64 v15, v17, v15, s0
	s_delay_alu instid0(VALU_DEP_2) | instskip(NEXT) | instid1(VALU_DEP_2)
	v_cndmask_b32_e64 v14, v16, v14, s0
	v_xor_b32_e32 v15, v15, v3
	s_delay_alu instid0(VALU_DEP_2) | instskip(NEXT) | instid1(VALU_DEP_1)
	v_xor_b32_e32 v14, v14, v3
	v_sub_co_u32 v14, vcc_lo, v14, v3
	s_wait_alu 0xfffd
	s_delay_alu instid0(VALU_DEP_3)
	v_sub_co_ci_u32_e64 v15, null, v15, v3, vcc_lo
.LBB102_32:                             ;   in Loop: Header=BB102_22 Depth=2
	s_wait_alu 0xfffe
	s_and_not1_saveexec_b32 s0, s1
	s_cbranch_execz .LBB102_34
; %bb.33:                               ;   in Loop: Header=BB102_22 Depth=2
	v_cvt_f32_u32_e32 v3, s52
	s_sub_co_i32 s1, 0, s52
	s_delay_alu instid0(VALU_DEP_1) | instskip(NEXT) | instid1(TRANS32_DEP_1)
	v_rcp_iflag_f32_e32 v3, v3
	v_mul_f32_e32 v3, 0x4f7ffffe, v3
	s_delay_alu instid0(VALU_DEP_1) | instskip(SKIP_1) | instid1(VALU_DEP_1)
	v_cvt_u32_f32_e32 v3, v3
	s_wait_alu 0xfffe
	v_mul_lo_u32 v14, s1, v3
	s_delay_alu instid0(VALU_DEP_1) | instskip(NEXT) | instid1(VALU_DEP_1)
	v_mul_hi_u32 v14, v3, v14
	v_add_nc_u32_e32 v3, v3, v14
	s_delay_alu instid0(VALU_DEP_1) | instskip(NEXT) | instid1(VALU_DEP_1)
	v_mul_hi_u32 v3, v12, v3
	v_mul_lo_u32 v14, v3, s52
	v_add_nc_u32_e32 v15, 1, v3
	s_delay_alu instid0(VALU_DEP_2) | instskip(NEXT) | instid1(VALU_DEP_1)
	v_sub_nc_u32_e32 v14, v12, v14
	v_subrev_nc_u32_e32 v16, s52, v14
	v_cmp_le_u32_e32 vcc_lo, s52, v14
	s_wait_alu 0xfffd
	s_delay_alu instid0(VALU_DEP_2) | instskip(NEXT) | instid1(VALU_DEP_1)
	v_dual_cndmask_b32 v14, v14, v16 :: v_dual_cndmask_b32 v3, v3, v15
	v_cmp_le_u32_e32 vcc_lo, s52, v14
	s_delay_alu instid0(VALU_DEP_2) | instskip(SKIP_1) | instid1(VALU_DEP_1)
	v_add_nc_u32_e32 v15, 1, v3
	s_wait_alu 0xfffd
	v_dual_cndmask_b32 v14, v3, v15 :: v_dual_mov_b32 v15, v2
.LBB102_34:                             ;   in Loop: Header=BB102_22 Depth=2
	s_wait_alu 0xfffe
	s_or_b32 exec_lo, exec_lo, s0
	s_load_b64 s[56:57], s[40:41], 0x0
	s_load_b64 s[54:55], s[38:39], 0x8
                                        ; implicit-def: $vgpr16_vgpr17
	s_mov_b32 s0, exec_lo
	s_wait_kmcnt 0x0
	v_or_b32_e32 v3, s57, v15
	s_delay_alu instid0(VALU_DEP_1)
	v_cmpx_ne_u64_e32 0, v[2:3]
	s_wait_alu 0xfffe
	s_xor_b32 s1, exec_lo, s0
	s_cbranch_execz .LBB102_36
; %bb.35:                               ;   in Loop: Header=BB102_22 Depth=2
	s_ashr_i32 s58, s57, 31
	v_ashrrev_i32_e32 v3, 31, v15
	s_wait_alu 0xfffe
	s_mov_b32 s59, s58
	s_wait_alu 0xfffe
	s_add_nc_u64 s[60:61], s[56:57], s[58:59]
	v_add_co_u32 v16, vcc_lo, v14, v3
	s_wait_alu 0xfffe
	s_xor_b64 s[60:61], s[60:61], s[58:59]
	s_wait_alu 0xfffd
	v_add_co_ci_u32_e64 v17, null, v15, v3, vcc_lo
	s_wait_alu 0xfffe
	s_cvt_f32_u32 s0, s60
	s_cvt_f32_u32 s14, s61
	s_sub_nc_u64 s[68:69], 0, s[60:61]
	v_xor_b32_e32 v26, v16, v3
	v_xor_b32_e32 v27, v17, v3
	s_wait_alu 0xfffe
	s_fmamk_f32 s0, s14, 0x4f800000, s0
	v_xor_b32_e32 v3, s58, v3
	s_wait_alu 0xfffe
	s_delay_alu instid0(SALU_CYCLE_1) | instskip(NEXT) | instid1(TRANS32_DEP_1)
	v_s_rcp_f32 s0, s0
	s_mul_f32 s0, s0, 0x5f7ffffc
	s_wait_alu 0xfffe
	s_delay_alu instid0(SALU_CYCLE_2) | instskip(SKIP_1) | instid1(SALU_CYCLE_2)
	s_mul_f32 s14, s0, 0x2f800000
	s_wait_alu 0xfffe
	s_trunc_f32 s14, s14
	s_wait_alu 0xfffe
	s_delay_alu instid0(SALU_CYCLE_2) | instskip(SKIP_2) | instid1(SALU_CYCLE_1)
	s_fmamk_f32 s0, s14, 0xcf800000, s0
	s_cvt_u32_f32 s67, s14
	s_wait_alu 0xfffe
	s_cvt_u32_f32 s66, s0
	s_delay_alu instid0(SALU_CYCLE_3) | instskip(NEXT) | instid1(SALU_CYCLE_1)
	s_mul_u64 s[70:71], s[68:69], s[66:67]
	s_mul_hi_u32 s73, s66, s71
	s_mul_i32 s72, s66, s71
	s_mul_hi_u32 s14, s66, s70
	s_mul_i32 s59, s67, s70
	s_wait_alu 0xfffe
	s_add_nc_u64 s[72:73], s[14:15], s[72:73]
	s_mul_hi_u32 s0, s67, s70
	s_mul_hi_u32 s74, s67, s71
	s_add_co_u32 s14, s72, s59
	s_wait_alu 0xfffe
	s_add_co_ci_u32 s14, s73, s0
	s_mul_i32 s70, s67, s71
	s_add_co_ci_u32 s71, s74, 0
	s_wait_alu 0xfffe
	s_add_nc_u64 s[70:71], s[14:15], s[70:71]
	s_delay_alu instid0(SALU_CYCLE_1) | instskip(SKIP_4) | instid1(SALU_CYCLE_1)
	s_add_co_u32 s66, s66, s70
	s_cselect_b32 s0, -1, 0
	s_wait_alu 0xfffe
	s_cmp_lg_u32 s0, 0
	s_add_co_ci_u32 s67, s67, s71
	s_mul_u64 s[68:69], s[68:69], s[66:67]
	s_delay_alu instid0(SALU_CYCLE_1)
	s_mul_hi_u32 s71, s66, s69
	s_mul_i32 s70, s66, s69
	s_mul_hi_u32 s14, s66, s68
	s_mul_i32 s59, s67, s68
	s_wait_alu 0xfffe
	s_add_nc_u64 s[70:71], s[14:15], s[70:71]
	s_mul_hi_u32 s0, s67, s68
	s_mul_hi_u32 s72, s67, s69
	s_add_co_u32 s14, s70, s59
	s_wait_alu 0xfffe
	s_add_co_ci_u32 s14, s71, s0
	s_mul_i32 s68, s67, s69
	s_add_co_ci_u32 s69, s72, 0
	s_wait_alu 0xfffe
	s_add_nc_u64 s[68:69], s[14:15], s[68:69]
	s_delay_alu instid0(SALU_CYCLE_1)
	s_add_co_u32 s0, s66, s68
	s_cselect_b32 s14, -1, 0
	s_wait_alu 0xfffe
	v_mul_hi_u32 v28, v26, s0
	s_cmp_lg_u32 s14, 0
	v_mad_co_u64_u32 v[22:23], null, v27, s0, 0
	s_add_co_ci_u32 s14, s67, s69
	s_wait_alu 0xfffe
	v_mad_co_u64_u32 v[16:17], null, v26, s14, 0
	v_mad_co_u64_u32 v[24:25], null, v27, s14, 0
	s_delay_alu instid0(VALU_DEP_2) | instskip(SKIP_1) | instid1(VALU_DEP_3)
	v_add_co_u32 v16, vcc_lo, v28, v16
	s_wait_alu 0xfffd
	v_add_co_ci_u32_e64 v17, null, 0, v17, vcc_lo
	s_delay_alu instid0(VALU_DEP_2) | instskip(SKIP_1) | instid1(VALU_DEP_2)
	v_add_co_u32 v16, vcc_lo, v16, v22
	s_wait_alu 0xfffd
	v_add_co_ci_u32_e32 v16, vcc_lo, v17, v23, vcc_lo
	s_wait_alu 0xfffd
	v_add_co_ci_u32_e32 v17, vcc_lo, 0, v25, vcc_lo
	s_delay_alu instid0(VALU_DEP_2) | instskip(SKIP_1) | instid1(VALU_DEP_2)
	v_add_co_u32 v22, vcc_lo, v16, v24
	s_wait_alu 0xfffd
	v_add_co_ci_u32_e64 v23, null, 0, v17, vcc_lo
	s_delay_alu instid0(VALU_DEP_2) | instskip(SKIP_1) | instid1(VALU_DEP_3)
	v_mul_lo_u32 v24, s61, v22
	v_mad_co_u64_u32 v[16:17], null, s60, v22, 0
	v_mul_lo_u32 v25, s60, v23
	s_delay_alu instid0(VALU_DEP_2) | instskip(NEXT) | instid1(VALU_DEP_2)
	v_sub_co_u32 v16, vcc_lo, v26, v16
	v_add3_u32 v17, v17, v25, v24
	v_add_co_u32 v25, s0, v22, 2
	s_wait_alu 0xf1ff
	v_add_co_ci_u32_e64 v26, null, 0, v23, s0
	s_delay_alu instid0(VALU_DEP_3) | instskip(SKIP_3) | instid1(VALU_DEP_3)
	v_sub_nc_u32_e32 v24, v27, v17
	v_sub_co_u32 v28, s0, v16, s60
	s_wait_alu 0xfffd
	v_sub_co_ci_u32_e64 v17, null, v27, v17, vcc_lo
	v_subrev_co_ci_u32_e64 v24, null, s61, v24, vcc_lo
	s_delay_alu instid0(VALU_DEP_3) | instskip(SKIP_1) | instid1(VALU_DEP_2)
	v_cmp_le_u32_e32 vcc_lo, s60, v28
	s_wait_alu 0xf1ff
	v_subrev_co_ci_u32_e64 v24, null, 0, v24, s0
	s_wait_alu 0xfffd
	v_cndmask_b32_e64 v27, 0, -1, vcc_lo
	s_delay_alu instid0(VALU_DEP_2)
	v_cmp_le_u32_e32 vcc_lo, s61, v24
	s_wait_alu 0xfffd
	v_cndmask_b32_e64 v28, 0, -1, vcc_lo
	v_cmp_le_u32_e32 vcc_lo, s60, v16
	s_wait_alu 0xfffd
	v_cndmask_b32_e64 v16, 0, -1, vcc_lo
	;; [unrolled: 3-line block ×3, first 2 shown]
	v_cmp_eq_u32_e32 vcc_lo, s61, v24
	s_wait_alu 0xfffd
	v_cndmask_b32_e32 v24, v28, v27, vcc_lo
	v_add_co_u32 v27, vcc_lo, v22, 1
	s_wait_alu 0xfffd
	v_add_co_ci_u32_e64 v28, null, 0, v23, vcc_lo
	v_cmp_eq_u32_e32 vcc_lo, s61, v17
	s_wait_alu 0xfffd
	v_cndmask_b32_e32 v16, v29, v16, vcc_lo
	v_cmp_ne_u32_e32 vcc_lo, 0, v24
	s_wait_alu 0xfffd
	v_cndmask_b32_e32 v17, v28, v26, vcc_lo
	s_delay_alu instid0(VALU_DEP_3) | instskip(SKIP_2) | instid1(VALU_DEP_2)
	v_cmp_ne_u32_e64 s0, 0, v16
	v_cndmask_b32_e32 v16, v27, v25, vcc_lo
	s_wait_alu 0xf1ff
	v_cndmask_b32_e64 v17, v23, v17, s0
	s_delay_alu instid0(VALU_DEP_2) | instskip(NEXT) | instid1(VALU_DEP_2)
	v_cndmask_b32_e64 v16, v22, v16, s0
	v_xor_b32_e32 v17, v17, v3
	s_delay_alu instid0(VALU_DEP_2) | instskip(NEXT) | instid1(VALU_DEP_1)
	v_xor_b32_e32 v16, v16, v3
	v_sub_co_u32 v16, vcc_lo, v16, v3
	s_wait_alu 0xfffd
	s_delay_alu instid0(VALU_DEP_3)
	v_sub_co_ci_u32_e64 v17, null, v17, v3, vcc_lo
.LBB102_36:                             ;   in Loop: Header=BB102_22 Depth=2
	s_wait_alu 0xfffe
	s_and_not1_saveexec_b32 s0, s1
	s_cbranch_execz .LBB102_21
; %bb.37:                               ;   in Loop: Header=BB102_22 Depth=2
	v_cvt_f32_u32_e32 v3, s56
	s_sub_co_i32 s1, 0, s56
	s_delay_alu instid0(VALU_DEP_1) | instskip(NEXT) | instid1(TRANS32_DEP_1)
	v_rcp_iflag_f32_e32 v3, v3
	v_mul_f32_e32 v3, 0x4f7ffffe, v3
	s_delay_alu instid0(VALU_DEP_1) | instskip(SKIP_1) | instid1(VALU_DEP_1)
	v_cvt_u32_f32_e32 v3, v3
	s_wait_alu 0xfffe
	v_mul_lo_u32 v16, s1, v3
	s_delay_alu instid0(VALU_DEP_1) | instskip(NEXT) | instid1(VALU_DEP_1)
	v_mul_hi_u32 v16, v3, v16
	v_add_nc_u32_e32 v3, v3, v16
	s_delay_alu instid0(VALU_DEP_1) | instskip(NEXT) | instid1(VALU_DEP_1)
	v_mul_hi_u32 v3, v14, v3
	v_mul_lo_u32 v16, v3, s56
	v_add_nc_u32_e32 v17, 1, v3
	s_delay_alu instid0(VALU_DEP_2) | instskip(NEXT) | instid1(VALU_DEP_1)
	v_sub_nc_u32_e32 v16, v14, v16
	v_subrev_nc_u32_e32 v22, s56, v16
	v_cmp_le_u32_e32 vcc_lo, s56, v16
	s_wait_alu 0xfffd
	s_delay_alu instid0(VALU_DEP_2) | instskip(NEXT) | instid1(VALU_DEP_1)
	v_dual_cndmask_b32 v16, v16, v22 :: v_dual_cndmask_b32 v3, v3, v17
	v_cmp_le_u32_e32 vcc_lo, s56, v16
	s_delay_alu instid0(VALU_DEP_2) | instskip(SKIP_1) | instid1(VALU_DEP_1)
	v_add_nc_u32_e32 v17, 1, v3
	s_wait_alu 0xfffd
	v_dual_cndmask_b32 v16, v3, v17 :: v_dual_mov_b32 v17, v2
	s_branch .LBB102_21
.LBB102_38:                             ;   in Loop: Header=BB102_3 Depth=1
	s_load_b64 s[0:1], s[24:25], 0x0
	s_wait_kmcnt 0x0
	v_cmp_gt_i64_e32 vcc_lo, s[0:1], v[4:5]
	s_and_b32 exec_lo, exec_lo, vcc_lo
	s_cbranch_execz .LBB102_2
; %bb.39:                               ;   in Loop: Header=BB102_3 Depth=1
	v_add_co_u32 v8, vcc_lo, v4, 1
	s_wait_alu 0xfffd
	v_add_co_ci_u32_e64 v9, null, 0, v5, vcc_lo
	v_add_co_u32 v6, vcc_lo, s10, v6
	s_wait_alu 0xfffd
	v_add_co_ci_u32_e64 v7, null, s11, v7, vcc_lo
	s_delay_alu instid0(VALU_DEP_3)
	v_cmp_gt_i64_e32 vcc_lo, s[0:1], v[8:9]
	global_store_b8 v[6:7], v2, off
	s_and_b32 exec_lo, exec_lo, vcc_lo
	s_cbranch_execz .LBB102_2
; %bb.40:                               ;   in Loop: Header=BB102_3 Depth=1
	v_sub_co_u32 v8, vcc_lo, v8, v20
	s_wait_alu 0xfffd
	v_sub_co_ci_u32_e64 v9, null, v9, v21, vcc_lo
	s_mov_b32 s14, exec_lo
	v_cmpx_gt_i64_e64 s[4:5], v[8:9]
	s_cbranch_execz .LBB102_42
; %bb.41:                               ;   in Loop: Header=BB102_3 Depth=1
	v_add_co_u32 v8, vcc_lo, v6, s2
	s_wait_alu 0xfffd
	v_add_co_ci_u32_e64 v9, null, s3, v7, vcc_lo
	global_store_b8 v[8:9], v2, off
.LBB102_42:                             ;   in Loop: Header=BB102_3 Depth=1
	s_wait_alu 0xfffe
	s_or_b32 exec_lo, exec_lo, s14
	v_add_co_u32 v8, vcc_lo, v4, 2
	s_wait_alu 0xfffd
	v_add_co_ci_u32_e64 v9, null, 0, v5, vcc_lo
	s_delay_alu instid0(VALU_DEP_1)
	v_cmp_gt_i64_e32 vcc_lo, s[0:1], v[8:9]
	s_and_b32 exec_lo, exec_lo, vcc_lo
	s_cbranch_execz .LBB102_2
; %bb.43:                               ;   in Loop: Header=BB102_3 Depth=1
	v_sub_co_u32 v8, vcc_lo, v8, v20
	s_wait_alu 0xfffd
	v_sub_co_ci_u32_e64 v9, null, v9, v21, vcc_lo
	s_mov_b32 s14, exec_lo
	v_cmpx_gt_i64_e64 s[4:5], v[8:9]
	s_cbranch_execz .LBB102_45
; %bb.44:                               ;   in Loop: Header=BB102_3 Depth=1
	s_lshl_b64 s[38:39], s[2:3], 1
	s_wait_alu 0xfffe
	v_add_co_u32 v8, vcc_lo, v6, s38
	s_wait_alu 0xfffd
	v_add_co_ci_u32_e64 v9, null, s39, v7, vcc_lo
	global_store_b8 v[8:9], v2, off
.LBB102_45:                             ;   in Loop: Header=BB102_3 Depth=1
	s_wait_alu 0xfffe
	s_or_b32 exec_lo, exec_lo, s14
	v_add_co_u32 v3, vcc_lo, v4, 3
	s_wait_alu 0xfffd
	v_add_co_ci_u32_e64 v4, null, 0, v5, vcc_lo
	s_delay_alu instid0(VALU_DEP_2) | instskip(SKIP_1) | instid1(VALU_DEP_2)
	v_sub_co_u32 v8, vcc_lo, v3, v20
	s_wait_alu 0xfffd
	v_sub_co_ci_u32_e64 v9, null, v4, v21, vcc_lo
	v_cmp_gt_i64_e32 vcc_lo, s[0:1], v[3:4]
	s_delay_alu instid0(VALU_DEP_2)
	v_cmp_gt_i64_e64 s0, s[4:5], v[8:9]
	s_and_b32 s0, vcc_lo, s0
	s_wait_alu 0xfffe
	s_and_b32 exec_lo, exec_lo, s0
	s_cbranch_execz .LBB102_2
; %bb.46:                               ;   in Loop: Header=BB102_3 Depth=1
	v_mad_co_u64_u32 v[3:4], null, s2, 3, v[6:7]
	s_delay_alu instid0(VALU_DEP_1)
	v_mad_co_u64_u32 v[4:5], null, s3, 3, v[4:5]
	global_store_b8 v[3:4], v2, off
	s_branch .LBB102_2
.LBB102_47:
	s_endpgm
	.section	.rodata,"a",@progbits
	.p2align	6, 0x0
	.amdhsa_kernel _ZN2at6native16triu_tril_kernelIblLb1ELi4ELb1EEEvNS_4cuda6detail10TensorInfoIT_T0_EENS4_IKS5_S6_EEllS6_
		.amdhsa_group_segment_fixed_size 0
		.amdhsa_private_segment_fixed_size 0
		.amdhsa_kernarg_size 1112
		.amdhsa_user_sgpr_count 2
		.amdhsa_user_sgpr_dispatch_ptr 0
		.amdhsa_user_sgpr_queue_ptr 0
		.amdhsa_user_sgpr_kernarg_segment_ptr 1
		.amdhsa_user_sgpr_dispatch_id 0
		.amdhsa_user_sgpr_private_segment_size 0
		.amdhsa_wavefront_size32 1
		.amdhsa_uses_dynamic_stack 0
		.amdhsa_enable_private_segment 0
		.amdhsa_system_sgpr_workgroup_id_x 1
		.amdhsa_system_sgpr_workgroup_id_y 0
		.amdhsa_system_sgpr_workgroup_id_z 0
		.amdhsa_system_sgpr_workgroup_info 0
		.amdhsa_system_vgpr_workitem_id 0
		.amdhsa_next_free_vgpr 30
		.amdhsa_next_free_sgpr 75
		.amdhsa_reserve_vcc 1
		.amdhsa_float_round_mode_32 0
		.amdhsa_float_round_mode_16_64 0
		.amdhsa_float_denorm_mode_32 3
		.amdhsa_float_denorm_mode_16_64 3
		.amdhsa_fp16_overflow 0
		.amdhsa_workgroup_processor_mode 1
		.amdhsa_memory_ordered 1
		.amdhsa_forward_progress 1
		.amdhsa_inst_pref_size 67
		.amdhsa_round_robin_scheduling 0
		.amdhsa_exception_fp_ieee_invalid_op 0
		.amdhsa_exception_fp_denorm_src 0
		.amdhsa_exception_fp_ieee_div_zero 0
		.amdhsa_exception_fp_ieee_overflow 0
		.amdhsa_exception_fp_ieee_underflow 0
		.amdhsa_exception_fp_ieee_inexact 0
		.amdhsa_exception_int_div_zero 0
	.end_amdhsa_kernel
	.section	.text._ZN2at6native16triu_tril_kernelIblLb1ELi4ELb1EEEvNS_4cuda6detail10TensorInfoIT_T0_EENS4_IKS5_S6_EEllS6_,"axG",@progbits,_ZN2at6native16triu_tril_kernelIblLb1ELi4ELb1EEEvNS_4cuda6detail10TensorInfoIT_T0_EENS4_IKS5_S6_EEllS6_,comdat
.Lfunc_end102:
	.size	_ZN2at6native16triu_tril_kernelIblLb1ELi4ELb1EEEvNS_4cuda6detail10TensorInfoIT_T0_EENS4_IKS5_S6_EEllS6_, .Lfunc_end102-_ZN2at6native16triu_tril_kernelIblLb1ELi4ELb1EEEvNS_4cuda6detail10TensorInfoIT_T0_EENS4_IKS5_S6_EEllS6_
                                        ; -- End function
	.set _ZN2at6native16triu_tril_kernelIblLb1ELi4ELb1EEEvNS_4cuda6detail10TensorInfoIT_T0_EENS4_IKS5_S6_EEllS6_.num_vgpr, 30
	.set _ZN2at6native16triu_tril_kernelIblLb1ELi4ELb1EEEvNS_4cuda6detail10TensorInfoIT_T0_EENS4_IKS5_S6_EEllS6_.num_agpr, 0
	.set _ZN2at6native16triu_tril_kernelIblLb1ELi4ELb1EEEvNS_4cuda6detail10TensorInfoIT_T0_EENS4_IKS5_S6_EEllS6_.numbered_sgpr, 75
	.set _ZN2at6native16triu_tril_kernelIblLb1ELi4ELb1EEEvNS_4cuda6detail10TensorInfoIT_T0_EENS4_IKS5_S6_EEllS6_.num_named_barrier, 0
	.set _ZN2at6native16triu_tril_kernelIblLb1ELi4ELb1EEEvNS_4cuda6detail10TensorInfoIT_T0_EENS4_IKS5_S6_EEllS6_.private_seg_size, 0
	.set _ZN2at6native16triu_tril_kernelIblLb1ELi4ELb1EEEvNS_4cuda6detail10TensorInfoIT_T0_EENS4_IKS5_S6_EEllS6_.uses_vcc, 1
	.set _ZN2at6native16triu_tril_kernelIblLb1ELi4ELb1EEEvNS_4cuda6detail10TensorInfoIT_T0_EENS4_IKS5_S6_EEllS6_.uses_flat_scratch, 0
	.set _ZN2at6native16triu_tril_kernelIblLb1ELi4ELb1EEEvNS_4cuda6detail10TensorInfoIT_T0_EENS4_IKS5_S6_EEllS6_.has_dyn_sized_stack, 0
	.set _ZN2at6native16triu_tril_kernelIblLb1ELi4ELb1EEEvNS_4cuda6detail10TensorInfoIT_T0_EENS4_IKS5_S6_EEllS6_.has_recursion, 0
	.set _ZN2at6native16triu_tril_kernelIblLb1ELi4ELb1EEEvNS_4cuda6detail10TensorInfoIT_T0_EENS4_IKS5_S6_EEllS6_.has_indirect_call, 0
	.section	.AMDGPU.csdata,"",@progbits
; Kernel info:
; codeLenInByte = 8532
; TotalNumSgprs: 77
; NumVgprs: 30
; ScratchSize: 0
; MemoryBound: 0
; FloatMode: 240
; IeeeMode: 1
; LDSByteSize: 0 bytes/workgroup (compile time only)
; SGPRBlocks: 0
; VGPRBlocks: 3
; NumSGPRsForWavesPerEU: 77
; NumVGPRsForWavesPerEU: 30
; Occupancy: 16
; WaveLimiterHint : 0
; COMPUTE_PGM_RSRC2:SCRATCH_EN: 0
; COMPUTE_PGM_RSRC2:USER_SGPR: 2
; COMPUTE_PGM_RSRC2:TRAP_HANDLER: 0
; COMPUTE_PGM_RSRC2:TGID_X_EN: 1
; COMPUTE_PGM_RSRC2:TGID_Y_EN: 0
; COMPUTE_PGM_RSRC2:TGID_Z_EN: 0
; COMPUTE_PGM_RSRC2:TIDIG_COMP_CNT: 0
	.section	.text._ZN2at6native16triu_tril_kernelIblLb1ELi4ELb0EEEvNS_4cuda6detail10TensorInfoIT_T0_EENS4_IKS5_S6_EEllS6_,"axG",@progbits,_ZN2at6native16triu_tril_kernelIblLb1ELi4ELb0EEEvNS_4cuda6detail10TensorInfoIT_T0_EENS4_IKS5_S6_EEllS6_,comdat
	.protected	_ZN2at6native16triu_tril_kernelIblLb1ELi4ELb0EEEvNS_4cuda6detail10TensorInfoIT_T0_EENS4_IKS5_S6_EEllS6_ ; -- Begin function _ZN2at6native16triu_tril_kernelIblLb1ELi4ELb0EEEvNS_4cuda6detail10TensorInfoIT_T0_EENS4_IKS5_S6_EEllS6_
	.globl	_ZN2at6native16triu_tril_kernelIblLb1ELi4ELb0EEEvNS_4cuda6detail10TensorInfoIT_T0_EENS4_IKS5_S6_EEllS6_
	.p2align	8
	.type	_ZN2at6native16triu_tril_kernelIblLb1ELi4ELb0EEEvNS_4cuda6detail10TensorInfoIT_T0_EENS4_IKS5_S6_EEllS6_,@function
_ZN2at6native16triu_tril_kernelIblLb1ELi4ELb0EEEvNS_4cuda6detail10TensorInfoIT_T0_EENS4_IKS5_S6_EEllS6_: ; @_ZN2at6native16triu_tril_kernelIblLb1ELi4ELb0EEEvNS_4cuda6detail10TensorInfoIT_T0_EENS4_IKS5_S6_EEllS6_
; %bb.0:
	s_clause 0x1
	s_load_b32 s2, s[0:1], 0x364
	s_load_b128 s[8:11], s[0:1], 0x340
	v_mov_b32_e32 v2, 0
	s_mov_b32 s3, exec_lo
	s_delay_alu instid0(VALU_DEP_1)
	v_mov_b32_e32 v1, v2
	s_wait_kmcnt 0x0
	s_and_b32 s2, s2, 0xffff
	s_delay_alu instid0(VALU_DEP_1) | instid1(SALU_CYCLE_1)
	v_mad_co_u64_u32 v[0:1], null, s2, ttmp9, v[0:1]
	s_delay_alu instid0(VALU_DEP_1) | instskip(NEXT) | instid1(VALU_DEP_1)
	v_lshlrev_b64_e32 v[0:1], 2, v[0:1]
	v_cmpx_gt_i64_e64 s[10:11], v[0:1]
	s_cbranch_execz .LBB103_44
; %bb.1:
	s_clause 0x1
	s_load_b32 s4, s[0:1], 0x338
	s_load_b64 s[24:25], s[0:1], 0x1a0
	s_add_nc_u64 s[26:27], s[0:1], 0x1a0
	s_add_nc_u64 s[18:19], s[0:1], 0x358
	s_load_b64 s[28:29], s[0:1], 0x350
	s_add_nc_u64 s[42:43], s[0:1], 0xc8
	s_mov_b32 s63, 0
	s_wait_kmcnt 0x0
	s_ashr_i32 s5, s4, 31
	s_add_co_i32 s34, s4, -3
	s_lshl_b64 s[20:21], s[4:5], 3
	s_ashr_i32 s35, s34, 31
	s_add_nc_u64 s[16:17], s[26:27], s[20:21]
	v_cmp_gt_i64_e64 s62, s[4:5], 2
	s_add_nc_u64 s[6:7], s[16:17], -8
	s_add_nc_u64 s[36:37], s[34:35], -1
	s_load_b128 s[12:15], s[6:7], 0x0
	s_load_b32 s3, s[18:19], 0x0
	s_clause 0x1
	s_load_b64 s[30:31], s[0:1], 0x0
	s_load_b128 s[16:19], s[16:17], 0xc0
	s_mov_b32 s7, 0
	s_wait_kmcnt 0x0
	v_cvt_f32_u32_e32 v4, s12
	s_mul_i32 s6, s3, s2
	s_add_nc_u64 s[2:3], s[0:1], s[20:21]
	s_lshl_b32 s33, s6, 2
	s_load_b128 s[20:23], s[2:3], 0xc0
	v_cvt_f32_u32_e32 v3, s28
	v_rcp_iflag_f32_e32 v4, v4
	s_bitcmp0_b32 s34, 0
	s_cselect_b32 s60, -1, 0
	s_delay_alu instid0(VALU_DEP_1)
	v_rcp_iflag_f32_e32 v3, v3
	s_lshl_b64 s[2:3], s[34:35], 3
	s_cmp_lg_u32 s34, 0
	s_wait_alu 0xfffe
	s_add_nc_u64 s[38:39], s[26:27], s[2:3]
	s_add_nc_u64 s[40:41], s[0:1], s[2:3]
	s_cselect_b32 s61, -1, 0
	s_ashr_i32 s44, s29, 31
	s_delay_alu instid0(TRANS32_DEP_1) | instskip(NEXT) | instid1(VALU_DEP_1)
	v_dual_mul_f32 v4, 0x4f7ffffe, v4 :: v_dual_mul_f32 v3, 0x4f7ffffe, v3
	v_cvt_u32_f32_e32 v17, v4
	s_delay_alu instid0(VALU_DEP_2)
	v_cvt_u32_f32_e32 v16, v3
	s_branch .LBB103_3
.LBB103_2:                              ;   in Loop: Header=BB103_3 Depth=1
	s_wait_alu 0xfffe
	s_or_b32 exec_lo, exec_lo, s0
	v_add_co_u32 v0, vcc_lo, v0, s33
	s_wait_alu 0xfffd
	v_add_co_ci_u32_e64 v1, null, 0, v1, vcc_lo
	s_delay_alu instid0(VALU_DEP_1) | instskip(SKIP_1) | instid1(SALU_CYCLE_1)
	v_cmp_le_i64_e32 vcc_lo, s[10:11], v[0:1]
	s_or_b32 s63, vcc_lo, s63
	s_and_not1_b32 exec_lo, exec_lo, s63
	s_cbranch_execz .LBB103_44
.LBB103_3:                              ; =>This Loop Header: Depth=1
                                        ;     Child Loop BB103_21 Depth 2
	v_or_b32_e32 v3, s29, v1
                                        ; implicit-def: $vgpr6_vgpr7
	s_mov_b32 s0, exec_lo
	s_delay_alu instid0(VALU_DEP_1)
	v_cmpx_ne_u64_e32 0, v[2:3]
	s_wait_alu 0xfffe
	s_xor_b32 s1, exec_lo, s0
	s_cbranch_execz .LBB103_5
; %bb.4:                                ;   in Loop: Header=BB103_3 Depth=1
	s_mov_b32 s45, s44
	v_ashrrev_i32_e32 v9, 31, v1
	s_wait_alu 0xfffe
	s_add_nc_u64 s[2:3], s[28:29], s[44:45]
	s_wait_alu 0xfffe
	s_xor_b64 s[2:3], s[2:3], s[44:45]
	v_add_co_u32 v3, vcc_lo, v0, v9
	s_wait_alu 0xfffe
	s_cvt_f32_u32 s0, s2
	s_cvt_f32_u32 s4, s3
	s_sub_nc_u64 s[46:47], 0, s[2:3]
	s_wait_alu 0xfffd
	v_add_co_ci_u32_e64 v4, null, v1, v9, vcc_lo
	s_wait_alu 0xfffe
	s_fmamk_f32 s0, s4, 0x4f800000, s0
	v_xor_b32_e32 v10, v3, v9
	s_delay_alu instid0(VALU_DEP_2) | instskip(SKIP_2) | instid1(TRANS32_DEP_1)
	v_xor_b32_e32 v11, v4, v9
	s_wait_alu 0xfffe
	v_s_rcp_f32 s0, s0
	s_mul_f32 s0, s0, 0x5f7ffffc
	s_wait_alu 0xfffe
	s_delay_alu instid0(SALU_CYCLE_2) | instskip(SKIP_1) | instid1(SALU_CYCLE_2)
	s_mul_f32 s4, s0, 0x2f800000
	s_wait_alu 0xfffe
	s_trunc_f32 s4, s4
	s_wait_alu 0xfffe
	s_delay_alu instid0(SALU_CYCLE_2) | instskip(SKIP_2) | instid1(SALU_CYCLE_1)
	s_fmamk_f32 s0, s4, 0xcf800000, s0
	s_cvt_u32_f32 s5, s4
	s_wait_alu 0xfffe
	s_cvt_u32_f32 s4, s0
	s_wait_alu 0xfffe
	s_delay_alu instid0(SALU_CYCLE_2)
	s_mul_u64 s[48:49], s[46:47], s[4:5]
	s_wait_alu 0xfffe
	s_mul_hi_u32 s51, s4, s49
	s_mul_i32 s50, s4, s49
	s_mul_hi_u32 s6, s4, s48
	s_mul_i32 s45, s5, s48
	s_wait_alu 0xfffe
	s_add_nc_u64 s[50:51], s[6:7], s[50:51]
	s_mul_hi_u32 s0, s5, s48
	s_mul_hi_u32 s52, s5, s49
	s_wait_alu 0xfffe
	s_add_co_u32 s6, s50, s45
	s_add_co_ci_u32 s6, s51, s0
	s_mul_i32 s48, s5, s49
	s_add_co_ci_u32 s49, s52, 0
	s_wait_alu 0xfffe
	s_add_nc_u64 s[48:49], s[6:7], s[48:49]
	s_wait_alu 0xfffe
	s_add_co_u32 s4, s4, s48
	s_cselect_b32 s0, -1, 0
	s_wait_alu 0xfffe
	s_cmp_lg_u32 s0, 0
	s_add_co_ci_u32 s5, s5, s49
	s_wait_alu 0xfffe
	s_mul_u64 s[46:47], s[46:47], s[4:5]
	s_wait_alu 0xfffe
	s_mul_hi_u32 s49, s4, s47
	s_mul_i32 s48, s4, s47
	s_mul_hi_u32 s6, s4, s46
	s_mul_i32 s45, s5, s46
	s_wait_alu 0xfffe
	s_add_nc_u64 s[48:49], s[6:7], s[48:49]
	s_mul_hi_u32 s0, s5, s46
	s_mul_hi_u32 s50, s5, s47
	s_wait_alu 0xfffe
	s_add_co_u32 s6, s48, s45
	s_add_co_ci_u32 s6, s49, s0
	s_mul_i32 s46, s5, s47
	s_add_co_ci_u32 s47, s50, 0
	s_wait_alu 0xfffe
	s_add_nc_u64 s[46:47], s[6:7], s[46:47]
	s_wait_alu 0xfffe
	s_add_co_u32 s0, s4, s46
	s_cselect_b32 s4, -1, 0
	s_wait_alu 0xfffe
	v_mul_hi_u32 v12, v10, s0
	s_cmp_lg_u32 s4, 0
	v_mad_co_u64_u32 v[5:6], null, v11, s0, 0
	s_add_co_ci_u32 s4, s5, s47
	s_wait_alu 0xfffe
	v_mad_co_u64_u32 v[3:4], null, v10, s4, 0
	v_mad_co_u64_u32 v[7:8], null, v11, s4, 0
	s_delay_alu instid0(VALU_DEP_2) | instskip(SKIP_1) | instid1(VALU_DEP_3)
	v_add_co_u32 v3, vcc_lo, v12, v3
	s_wait_alu 0xfffd
	v_add_co_ci_u32_e64 v4, null, 0, v4, vcc_lo
	s_delay_alu instid0(VALU_DEP_2) | instskip(SKIP_1) | instid1(VALU_DEP_2)
	v_add_co_u32 v3, vcc_lo, v3, v5
	s_wait_alu 0xfffd
	v_add_co_ci_u32_e32 v3, vcc_lo, v4, v6, vcc_lo
	s_wait_alu 0xfffd
	v_add_co_ci_u32_e32 v4, vcc_lo, 0, v8, vcc_lo
	s_delay_alu instid0(VALU_DEP_2) | instskip(SKIP_1) | instid1(VALU_DEP_2)
	v_add_co_u32 v5, vcc_lo, v3, v7
	s_wait_alu 0xfffd
	v_add_co_ci_u32_e64 v6, null, 0, v4, vcc_lo
	s_delay_alu instid0(VALU_DEP_2) | instskip(SKIP_1) | instid1(VALU_DEP_3)
	v_mul_lo_u32 v7, s3, v5
	v_mad_co_u64_u32 v[3:4], null, s2, v5, 0
	v_mul_lo_u32 v8, s2, v6
	s_delay_alu instid0(VALU_DEP_2) | instskip(NEXT) | instid1(VALU_DEP_2)
	v_sub_co_u32 v3, vcc_lo, v10, v3
	v_add3_u32 v4, v4, v8, v7
	v_add_co_u32 v8, s0, v5, 2
	s_wait_alu 0xf1ff
	v_add_co_ci_u32_e64 v10, null, 0, v6, s0
	s_delay_alu instid0(VALU_DEP_3) | instskip(SKIP_3) | instid1(VALU_DEP_3)
	v_sub_nc_u32_e32 v7, v11, v4
	v_sub_co_u32 v12, s0, v3, s2
	s_wait_alu 0xfffd
	v_sub_co_ci_u32_e64 v4, null, v11, v4, vcc_lo
	v_subrev_co_ci_u32_e64 v7, null, s3, v7, vcc_lo
	s_delay_alu instid0(VALU_DEP_3) | instskip(SKIP_1) | instid1(VALU_DEP_2)
	v_cmp_le_u32_e32 vcc_lo, s2, v12
	s_wait_alu 0xf1ff
	v_subrev_co_ci_u32_e64 v7, null, 0, v7, s0
	s_wait_alu 0xfffd
	v_cndmask_b32_e64 v11, 0, -1, vcc_lo
	s_delay_alu instid0(VALU_DEP_2)
	v_cmp_le_u32_e32 vcc_lo, s3, v7
	s_wait_alu 0xfffd
	v_cndmask_b32_e64 v12, 0, -1, vcc_lo
	v_cmp_le_u32_e32 vcc_lo, s2, v3
	s_wait_alu 0xfffd
	v_cndmask_b32_e64 v3, 0, -1, vcc_lo
	;; [unrolled: 3-line block ×3, first 2 shown]
	v_cmp_eq_u32_e32 vcc_lo, s3, v7
	s_wait_alu 0xfffd
	v_cndmask_b32_e32 v7, v12, v11, vcc_lo
	v_add_co_u32 v11, vcc_lo, v5, 1
	s_wait_alu 0xfffd
	v_add_co_ci_u32_e64 v12, null, 0, v6, vcc_lo
	v_cmp_eq_u32_e32 vcc_lo, s3, v4
	s_wait_alu 0xfffd
	v_cndmask_b32_e32 v3, v13, v3, vcc_lo
	v_cmp_ne_u32_e32 vcc_lo, 0, v7
	v_xor_b32_e32 v7, s44, v9
	s_wait_alu 0xfffd
	v_cndmask_b32_e32 v4, v12, v10, vcc_lo
	v_cmp_ne_u32_e64 s0, 0, v3
	v_cndmask_b32_e32 v3, v11, v8, vcc_lo
	s_wait_alu 0xf1ff
	s_delay_alu instid0(VALU_DEP_2) | instskip(NEXT) | instid1(VALU_DEP_2)
	v_cndmask_b32_e64 v4, v6, v4, s0
	v_cndmask_b32_e64 v3, v5, v3, s0
	s_delay_alu instid0(VALU_DEP_2) | instskip(NEXT) | instid1(VALU_DEP_2)
	v_xor_b32_e32 v4, v4, v7
	v_xor_b32_e32 v3, v3, v7
	s_delay_alu instid0(VALU_DEP_1) | instskip(SKIP_1) | instid1(VALU_DEP_3)
	v_sub_co_u32 v6, vcc_lo, v3, v7
	s_wait_alu 0xfffd
	v_sub_co_ci_u32_e64 v7, null, v4, v7, vcc_lo
.LBB103_5:                              ;   in Loop: Header=BB103_3 Depth=1
	s_wait_alu 0xfffe
	s_and_not1_saveexec_b32 s0, s1
	s_cbranch_execz .LBB103_7
; %bb.6:                                ;   in Loop: Header=BB103_3 Depth=1
	s_sub_co_i32 s1, 0, s28
	v_mov_b32_e32 v7, v2
	s_wait_alu 0xfffe
	v_mul_lo_u32 v3, s1, v16
	s_delay_alu instid0(VALU_DEP_1) | instskip(NEXT) | instid1(VALU_DEP_1)
	v_mul_hi_u32 v3, v16, v3
	v_add_nc_u32_e32 v3, v16, v3
	s_delay_alu instid0(VALU_DEP_1) | instskip(NEXT) | instid1(VALU_DEP_1)
	v_mul_hi_u32 v3, v0, v3
	v_mul_lo_u32 v4, v3, s28
	s_delay_alu instid0(VALU_DEP_1) | instskip(NEXT) | instid1(VALU_DEP_1)
	v_sub_nc_u32_e32 v4, v0, v4
	v_subrev_nc_u32_e32 v6, s28, v4
	v_cmp_le_u32_e32 vcc_lo, s28, v4
	s_wait_alu 0xfffd
	s_delay_alu instid0(VALU_DEP_2) | instskip(NEXT) | instid1(VALU_DEP_1)
	v_dual_cndmask_b32 v4, v4, v6 :: v_dual_add_nc_u32 v5, 1, v3
	v_cndmask_b32_e32 v3, v3, v5, vcc_lo
	s_delay_alu instid0(VALU_DEP_2) | instskip(NEXT) | instid1(VALU_DEP_2)
	v_cmp_le_u32_e32 vcc_lo, s28, v4
	v_add_nc_u32_e32 v5, 1, v3
	s_wait_alu 0xfffd
	s_delay_alu instid0(VALU_DEP_1)
	v_cndmask_b32_e32 v6, v3, v5, vcc_lo
.LBB103_7:                              ;   in Loop: Header=BB103_3 Depth=1
	s_wait_alu 0xfffe
	s_or_b32 exec_lo, exec_lo, s0
	v_or_b32_e32 v3, s13, v7
                                        ; implicit-def: $vgpr10_vgpr11
	s_mov_b32 s0, exec_lo
	s_delay_alu instid0(VALU_DEP_1)
	v_cmpx_ne_u64_e32 0, v[2:3]
	s_wait_alu 0xfffe
	s_xor_b32 s1, exec_lo, s0
	s_cbranch_execz .LBB103_9
; %bb.8:                                ;   in Loop: Header=BB103_3 Depth=1
	s_ashr_i32 s2, s13, 31
	v_ashrrev_i32_e32 v5, 31, v7
	s_wait_alu 0xfffe
	s_mov_b32 s3, s2
	s_wait_alu 0xfffe
	s_add_nc_u64 s[4:5], s[12:13], s[2:3]
	v_add_co_u32 v3, vcc_lo, v6, v5
	s_wait_alu 0xfffe
	s_xor_b64 s[4:5], s[4:5], s[2:3]
	s_wait_alu 0xfffd
	v_add_co_ci_u32_e64 v4, null, v7, v5, vcc_lo
	s_wait_alu 0xfffe
	s_cvt_f32_u32 s0, s4
	s_cvt_f32_u32 s3, s5
	s_sub_nc_u64 s[48:49], 0, s[4:5]
	v_xor_b32_e32 v12, v3, v5
	v_xor_b32_e32 v13, v4, v5
	s_wait_alu 0xfffe
	s_fmamk_f32 s0, s3, 0x4f800000, s0
	v_xor_b32_e32 v5, s2, v5
	s_wait_alu 0xfffe
	s_delay_alu instid0(SALU_CYCLE_1) | instskip(NEXT) | instid1(TRANS32_DEP_1)
	v_s_rcp_f32 s0, s0
	s_mul_f32 s0, s0, 0x5f7ffffc
	s_wait_alu 0xfffe
	s_delay_alu instid0(SALU_CYCLE_2) | instskip(SKIP_1) | instid1(SALU_CYCLE_2)
	s_mul_f32 s3, s0, 0x2f800000
	s_wait_alu 0xfffe
	s_trunc_f32 s3, s3
	s_wait_alu 0xfffe
	s_delay_alu instid0(SALU_CYCLE_2) | instskip(SKIP_2) | instid1(SALU_CYCLE_1)
	s_fmamk_f32 s0, s3, 0xcf800000, s0
	s_cvt_u32_f32 s47, s3
	s_wait_alu 0xfffe
	s_cvt_u32_f32 s46, s0
	s_wait_alu 0xfffe
	s_delay_alu instid0(SALU_CYCLE_2)
	s_mul_u64 s[50:51], s[48:49], s[46:47]
	s_wait_alu 0xfffe
	s_mul_hi_u32 s53, s46, s51
	s_mul_i32 s52, s46, s51
	s_mul_hi_u32 s6, s46, s50
	s_mul_i32 s3, s47, s50
	s_wait_alu 0xfffe
	s_add_nc_u64 s[52:53], s[6:7], s[52:53]
	s_mul_hi_u32 s0, s47, s50
	s_mul_hi_u32 s45, s47, s51
	s_wait_alu 0xfffe
	s_add_co_u32 s3, s52, s3
	s_add_co_ci_u32 s6, s53, s0
	s_mul_i32 s50, s47, s51
	s_add_co_ci_u32 s51, s45, 0
	s_wait_alu 0xfffe
	s_add_nc_u64 s[50:51], s[6:7], s[50:51]
	s_wait_alu 0xfffe
	s_add_co_u32 s46, s46, s50
	s_cselect_b32 s0, -1, 0
	s_wait_alu 0xfffe
	s_cmp_lg_u32 s0, 0
	s_add_co_ci_u32 s47, s47, s51
	s_wait_alu 0xfffe
	s_mul_u64 s[48:49], s[48:49], s[46:47]
	s_wait_alu 0xfffe
	s_mul_hi_u32 s51, s46, s49
	s_mul_i32 s50, s46, s49
	s_mul_hi_u32 s6, s46, s48
	s_mul_i32 s3, s47, s48
	s_wait_alu 0xfffe
	s_add_nc_u64 s[50:51], s[6:7], s[50:51]
	s_mul_hi_u32 s0, s47, s48
	s_mul_hi_u32 s45, s47, s49
	s_wait_alu 0xfffe
	s_add_co_u32 s3, s50, s3
	s_add_co_ci_u32 s6, s51, s0
	s_mul_i32 s48, s47, s49
	s_add_co_ci_u32 s49, s45, 0
	s_wait_alu 0xfffe
	s_add_nc_u64 s[48:49], s[6:7], s[48:49]
	s_wait_alu 0xfffe
	s_add_co_u32 s0, s46, s48
	s_cselect_b32 s3, -1, 0
	s_wait_alu 0xfffe
	v_mul_hi_u32 v14, v12, s0
	s_cmp_lg_u32 s3, 0
	v_mad_co_u64_u32 v[8:9], null, v13, s0, 0
	s_add_co_ci_u32 s3, s47, s49
	s_wait_alu 0xfffe
	v_mad_co_u64_u32 v[3:4], null, v12, s3, 0
	v_mad_co_u64_u32 v[10:11], null, v13, s3, 0
	s_delay_alu instid0(VALU_DEP_2) | instskip(SKIP_1) | instid1(VALU_DEP_3)
	v_add_co_u32 v3, vcc_lo, v14, v3
	s_wait_alu 0xfffd
	v_add_co_ci_u32_e64 v4, null, 0, v4, vcc_lo
	s_delay_alu instid0(VALU_DEP_2) | instskip(SKIP_1) | instid1(VALU_DEP_2)
	v_add_co_u32 v3, vcc_lo, v3, v8
	s_wait_alu 0xfffd
	v_add_co_ci_u32_e32 v3, vcc_lo, v4, v9, vcc_lo
	s_wait_alu 0xfffd
	v_add_co_ci_u32_e32 v4, vcc_lo, 0, v11, vcc_lo
	s_delay_alu instid0(VALU_DEP_2) | instskip(SKIP_1) | instid1(VALU_DEP_2)
	v_add_co_u32 v8, vcc_lo, v3, v10
	s_wait_alu 0xfffd
	v_add_co_ci_u32_e64 v9, null, 0, v4, vcc_lo
	s_delay_alu instid0(VALU_DEP_2) | instskip(SKIP_1) | instid1(VALU_DEP_3)
	v_mul_lo_u32 v10, s5, v8
	v_mad_co_u64_u32 v[3:4], null, s4, v8, 0
	v_mul_lo_u32 v11, s4, v9
	s_delay_alu instid0(VALU_DEP_2) | instskip(NEXT) | instid1(VALU_DEP_2)
	v_sub_co_u32 v3, vcc_lo, v12, v3
	v_add3_u32 v4, v4, v11, v10
	v_add_co_u32 v11, s0, v8, 2
	s_wait_alu 0xf1ff
	v_add_co_ci_u32_e64 v12, null, 0, v9, s0
	s_delay_alu instid0(VALU_DEP_3) | instskip(SKIP_3) | instid1(VALU_DEP_3)
	v_sub_nc_u32_e32 v10, v13, v4
	v_sub_co_u32 v14, s0, v3, s4
	s_wait_alu 0xfffd
	v_sub_co_ci_u32_e64 v4, null, v13, v4, vcc_lo
	v_subrev_co_ci_u32_e64 v10, null, s5, v10, vcc_lo
	s_delay_alu instid0(VALU_DEP_3) | instskip(SKIP_1) | instid1(VALU_DEP_2)
	v_cmp_le_u32_e32 vcc_lo, s4, v14
	s_wait_alu 0xf1ff
	v_subrev_co_ci_u32_e64 v10, null, 0, v10, s0
	s_wait_alu 0xfffd
	v_cndmask_b32_e64 v13, 0, -1, vcc_lo
	s_delay_alu instid0(VALU_DEP_2)
	v_cmp_le_u32_e32 vcc_lo, s5, v10
	s_wait_alu 0xfffd
	v_cndmask_b32_e64 v14, 0, -1, vcc_lo
	v_cmp_le_u32_e32 vcc_lo, s4, v3
	s_wait_alu 0xfffd
	v_cndmask_b32_e64 v3, 0, -1, vcc_lo
	;; [unrolled: 3-line block ×3, first 2 shown]
	v_cmp_eq_u32_e32 vcc_lo, s5, v10
	s_wait_alu 0xfffd
	v_cndmask_b32_e32 v10, v14, v13, vcc_lo
	v_add_co_u32 v13, vcc_lo, v8, 1
	s_wait_alu 0xfffd
	v_add_co_ci_u32_e64 v14, null, 0, v9, vcc_lo
	v_cmp_eq_u32_e32 vcc_lo, s5, v4
	s_wait_alu 0xfffd
	v_cndmask_b32_e32 v3, v15, v3, vcc_lo
	v_cmp_ne_u32_e32 vcc_lo, 0, v10
	s_delay_alu instid0(VALU_DEP_2) | instskip(SKIP_3) | instid1(VALU_DEP_1)
	v_cmp_ne_u32_e64 s0, 0, v3
	s_wait_alu 0xfffd
	v_dual_cndmask_b32 v4, v14, v12 :: v_dual_cndmask_b32 v3, v13, v11
	s_wait_alu 0xf1ff
	v_cndmask_b32_e64 v4, v9, v4, s0
	s_delay_alu instid0(VALU_DEP_2) | instskip(NEXT) | instid1(VALU_DEP_2)
	v_cndmask_b32_e64 v3, v8, v3, s0
	v_xor_b32_e32 v4, v4, v5
	s_delay_alu instid0(VALU_DEP_2) | instskip(NEXT) | instid1(VALU_DEP_1)
	v_xor_b32_e32 v3, v3, v5
	v_sub_co_u32 v10, vcc_lo, v3, v5
	s_wait_alu 0xfffd
	s_delay_alu instid0(VALU_DEP_3)
	v_sub_co_ci_u32_e64 v11, null, v4, v5, vcc_lo
.LBB103_9:                              ;   in Loop: Header=BB103_3 Depth=1
	s_wait_alu 0xfffe
	s_and_not1_saveexec_b32 s0, s1
	s_cbranch_execz .LBB103_11
; %bb.10:                               ;   in Loop: Header=BB103_3 Depth=1
	s_sub_co_i32 s1, 0, s12
	v_mov_b32_e32 v11, v2
	s_wait_alu 0xfffe
	v_mul_lo_u32 v3, s1, v17
	s_delay_alu instid0(VALU_DEP_1) | instskip(NEXT) | instid1(VALU_DEP_1)
	v_mul_hi_u32 v3, v17, v3
	v_add_nc_u32_e32 v3, v17, v3
	s_delay_alu instid0(VALU_DEP_1) | instskip(NEXT) | instid1(VALU_DEP_1)
	v_mul_hi_u32 v3, v6, v3
	v_mul_lo_u32 v4, v3, s12
	v_add_nc_u32_e32 v5, 1, v3
	s_delay_alu instid0(VALU_DEP_2) | instskip(NEXT) | instid1(VALU_DEP_1)
	v_sub_nc_u32_e32 v4, v6, v4
	v_subrev_nc_u32_e32 v8, s12, v4
	v_cmp_le_u32_e32 vcc_lo, s12, v4
	s_wait_alu 0xfffd
	s_delay_alu instid0(VALU_DEP_2) | instskip(NEXT) | instid1(VALU_DEP_1)
	v_dual_cndmask_b32 v4, v4, v8 :: v_dual_cndmask_b32 v3, v3, v5
	v_cmp_le_u32_e32 vcc_lo, s12, v4
	s_delay_alu instid0(VALU_DEP_2) | instskip(SKIP_1) | instid1(VALU_DEP_1)
	v_add_nc_u32_e32 v5, 1, v3
	s_wait_alu 0xfffd
	v_cndmask_b32_e32 v10, v3, v5, vcc_lo
.LBB103_11:                             ;   in Loop: Header=BB103_3 Depth=1
	s_wait_alu 0xfffe
	s_or_b32 exec_lo, exec_lo, s0
	v_mul_lo_u32 v5, v7, s28
	v_mul_lo_u32 v12, v6, s29
	v_mad_co_u64_u32 v[3:4], null, v6, s28, 0
	v_mul_lo_u32 v13, v11, s12
	v_mul_lo_u32 v14, v10, s13
	v_mad_co_u64_u32 v[8:9], null, v10, s12, 0
	s_delay_alu instid0(VALU_DEP_4) | instskip(SKIP_1) | instid1(VALU_DEP_3)
	v_add3_u32 v5, v4, v12, v5
	v_sub_co_u32 v4, vcc_lo, v0, v3
	v_add3_u32 v3, v9, v14, v13
	s_wait_alu 0xfffd
	s_delay_alu instid0(VALU_DEP_3) | instskip(NEXT) | instid1(VALU_DEP_3)
	v_sub_co_ci_u32_e64 v5, null, v1, v5, vcc_lo
	v_mul_lo_u32 v9, s19, v4
	v_mad_co_u64_u32 v[12:13], null, s18, v4, 0
	s_wait_kmcnt 0x0
	v_mul_lo_u32 v20, s23, v4
	v_mul_lo_u32 v21, s18, v5
	;; [unrolled: 1-line block ×3, first 2 shown]
	v_mad_co_u64_u32 v[14:15], null, s22, v4, 0
	v_sub_co_u32 v18, vcc_lo, v6, v8
	s_wait_alu 0xfffd
	v_sub_co_ci_u32_e64 v19, null, v7, v3, vcc_lo
	v_add3_u32 v13, v13, v21, v9
	s_delay_alu instid0(VALU_DEP_3) | instskip(SKIP_1) | instid1(VALU_DEP_4)
	v_mul_lo_u32 v3, s17, v18
	v_add3_u32 v15, v15, v22, v20
	v_mul_lo_u32 v21, s16, v19
	s_and_not1_b32 vcc_lo, exec_lo, s62
	v_mad_co_u64_u32 v[8:9], null, s16, v18, v[12:13]
	v_mul_lo_u32 v12, s20, v19
	v_mul_lo_u32 v13, s21, v18
	v_mad_co_u64_u32 v[6:7], null, s20, v18, v[14:15]
	s_delay_alu instid0(VALU_DEP_4) | instskip(NEXT) | instid1(VALU_DEP_2)
	v_add3_u32 v9, v3, v9, v21
	v_add3_u32 v7, v13, v7, v12
	s_wait_alu 0xfffe
	s_cbranch_vccnz .LBB103_29
; %bb.12:                               ;   in Loop: Header=BB103_3 Depth=1
	s_and_not1_b32 vcc_lo, exec_lo, s60
	s_wait_alu 0xfffe
	s_cbranch_vccnz .LBB103_18
; %bb.13:                               ;   in Loop: Header=BB103_3 Depth=1
	s_load_b64 s[2:3], s[38:39], 0x8
                                        ; implicit-def: $vgpr12_vgpr13
	s_mov_b32 s0, exec_lo
	s_wait_kmcnt 0x0
	v_or_b32_e32 v3, s3, v11
	s_delay_alu instid0(VALU_DEP_1)
	v_cmpx_ne_u64_e32 0, v[2:3]
	s_wait_alu 0xfffe
	s_xor_b32 s1, exec_lo, s0
	s_cbranch_execz .LBB103_15
; %bb.14:                               ;   in Loop: Header=BB103_3 Depth=1
	s_ashr_i32 s4, s3, 31
	v_ashrrev_i32_e32 v3, 31, v11
	s_wait_alu 0xfffe
	s_mov_b32 s5, s4
	s_wait_alu 0xfffe
	s_add_nc_u64 s[46:47], s[2:3], s[4:5]
	v_add_co_u32 v12, vcc_lo, v10, v3
	s_wait_alu 0xfffe
	s_xor_b64 s[46:47], s[46:47], s[4:5]
	s_wait_alu 0xfffd
	v_add_co_ci_u32_e64 v13, null, v11, v3, vcc_lo
	s_wait_alu 0xfffe
	s_cvt_f32_u32 s0, s46
	s_cvt_f32_u32 s5, s47
	s_sub_nc_u64 s[50:51], 0, s[46:47]
	v_xor_b32_e32 v22, v12, v3
	v_xor_b32_e32 v23, v13, v3
	s_wait_alu 0xfffe
	s_fmamk_f32 s0, s5, 0x4f800000, s0
	v_xor_b32_e32 v3, s4, v3
	s_wait_alu 0xfffe
	s_delay_alu instid0(SALU_CYCLE_1) | instskip(NEXT) | instid1(TRANS32_DEP_1)
	v_s_rcp_f32 s0, s0
	s_mul_f32 s0, s0, 0x5f7ffffc
	s_wait_alu 0xfffe
	s_delay_alu instid0(SALU_CYCLE_2) | instskip(SKIP_1) | instid1(SALU_CYCLE_2)
	s_mul_f32 s5, s0, 0x2f800000
	s_wait_alu 0xfffe
	s_trunc_f32 s5, s5
	s_wait_alu 0xfffe
	s_delay_alu instid0(SALU_CYCLE_2) | instskip(SKIP_2) | instid1(SALU_CYCLE_1)
	s_fmamk_f32 s0, s5, 0xcf800000, s0
	s_cvt_u32_f32 s49, s5
	s_wait_alu 0xfffe
	s_cvt_u32_f32 s48, s0
	s_wait_alu 0xfffe
	s_delay_alu instid0(SALU_CYCLE_2)
	s_mul_u64 s[52:53], s[50:51], s[48:49]
	s_wait_alu 0xfffe
	s_mul_hi_u32 s55, s48, s53
	s_mul_i32 s54, s48, s53
	s_mul_hi_u32 s6, s48, s52
	s_mul_i32 s5, s49, s52
	s_wait_alu 0xfffe
	s_add_nc_u64 s[54:55], s[6:7], s[54:55]
	s_mul_hi_u32 s0, s49, s52
	s_mul_hi_u32 s45, s49, s53
	s_wait_alu 0xfffe
	s_add_co_u32 s5, s54, s5
	s_add_co_ci_u32 s6, s55, s0
	s_mul_i32 s52, s49, s53
	s_add_co_ci_u32 s53, s45, 0
	s_wait_alu 0xfffe
	s_add_nc_u64 s[52:53], s[6:7], s[52:53]
	s_wait_alu 0xfffe
	s_add_co_u32 s48, s48, s52
	s_cselect_b32 s0, -1, 0
	s_wait_alu 0xfffe
	s_cmp_lg_u32 s0, 0
	s_add_co_ci_u32 s49, s49, s53
	s_wait_alu 0xfffe
	s_mul_u64 s[50:51], s[50:51], s[48:49]
	s_wait_alu 0xfffe
	s_mul_hi_u32 s53, s48, s51
	s_mul_i32 s52, s48, s51
	s_mul_hi_u32 s6, s48, s50
	s_mul_i32 s5, s49, s50
	s_wait_alu 0xfffe
	s_add_nc_u64 s[52:53], s[6:7], s[52:53]
	s_mul_hi_u32 s0, s49, s50
	s_mul_hi_u32 s45, s49, s51
	s_wait_alu 0xfffe
	s_add_co_u32 s5, s52, s5
	s_add_co_ci_u32 s6, s53, s0
	s_mul_i32 s50, s49, s51
	s_add_co_ci_u32 s51, s45, 0
	s_wait_alu 0xfffe
	s_add_nc_u64 s[50:51], s[6:7], s[50:51]
	s_wait_alu 0xfffe
	s_add_co_u32 s0, s48, s50
	s_cselect_b32 s5, -1, 0
	s_wait_alu 0xfffe
	v_mul_hi_u32 v24, v22, s0
	s_cmp_lg_u32 s5, 0
	v_mad_co_u64_u32 v[14:15], null, v23, s0, 0
	s_add_co_ci_u32 s5, s49, s51
	s_wait_alu 0xfffe
	v_mad_co_u64_u32 v[12:13], null, v22, s5, 0
	v_mad_co_u64_u32 v[20:21], null, v23, s5, 0
	s_delay_alu instid0(VALU_DEP_2) | instskip(SKIP_1) | instid1(VALU_DEP_3)
	v_add_co_u32 v12, vcc_lo, v24, v12
	s_wait_alu 0xfffd
	v_add_co_ci_u32_e64 v13, null, 0, v13, vcc_lo
	s_delay_alu instid0(VALU_DEP_2) | instskip(SKIP_1) | instid1(VALU_DEP_2)
	v_add_co_u32 v12, vcc_lo, v12, v14
	s_wait_alu 0xfffd
	v_add_co_ci_u32_e32 v12, vcc_lo, v13, v15, vcc_lo
	s_wait_alu 0xfffd
	v_add_co_ci_u32_e32 v13, vcc_lo, 0, v21, vcc_lo
	s_delay_alu instid0(VALU_DEP_2) | instskip(SKIP_1) | instid1(VALU_DEP_2)
	v_add_co_u32 v14, vcc_lo, v12, v20
	s_wait_alu 0xfffd
	v_add_co_ci_u32_e64 v15, null, 0, v13, vcc_lo
	s_delay_alu instid0(VALU_DEP_2) | instskip(SKIP_1) | instid1(VALU_DEP_3)
	v_mul_lo_u32 v20, s47, v14
	v_mad_co_u64_u32 v[12:13], null, s46, v14, 0
	v_mul_lo_u32 v21, s46, v15
	s_delay_alu instid0(VALU_DEP_2) | instskip(NEXT) | instid1(VALU_DEP_2)
	v_sub_co_u32 v12, vcc_lo, v22, v12
	v_add3_u32 v13, v13, v21, v20
	v_add_co_u32 v21, s0, v14, 2
	s_wait_alu 0xf1ff
	v_add_co_ci_u32_e64 v22, null, 0, v15, s0
	s_delay_alu instid0(VALU_DEP_3) | instskip(SKIP_3) | instid1(VALU_DEP_3)
	v_sub_nc_u32_e32 v20, v23, v13
	v_sub_co_u32 v24, s0, v12, s46
	s_wait_alu 0xfffd
	v_sub_co_ci_u32_e64 v13, null, v23, v13, vcc_lo
	v_subrev_co_ci_u32_e64 v20, null, s47, v20, vcc_lo
	s_delay_alu instid0(VALU_DEP_3) | instskip(SKIP_1) | instid1(VALU_DEP_2)
	v_cmp_le_u32_e32 vcc_lo, s46, v24
	s_wait_alu 0xf1ff
	v_subrev_co_ci_u32_e64 v20, null, 0, v20, s0
	s_wait_alu 0xfffd
	v_cndmask_b32_e64 v23, 0, -1, vcc_lo
	s_delay_alu instid0(VALU_DEP_2)
	v_cmp_le_u32_e32 vcc_lo, s47, v20
	s_wait_alu 0xfffd
	v_cndmask_b32_e64 v24, 0, -1, vcc_lo
	v_cmp_le_u32_e32 vcc_lo, s46, v12
	s_wait_alu 0xfffd
	v_cndmask_b32_e64 v12, 0, -1, vcc_lo
	;; [unrolled: 3-line block ×3, first 2 shown]
	v_cmp_eq_u32_e32 vcc_lo, s47, v20
	s_wait_alu 0xfffd
	v_cndmask_b32_e32 v20, v24, v23, vcc_lo
	v_add_co_u32 v23, vcc_lo, v14, 1
	s_wait_alu 0xfffd
	v_add_co_ci_u32_e64 v24, null, 0, v15, vcc_lo
	v_cmp_eq_u32_e32 vcc_lo, s47, v13
	s_wait_alu 0xfffd
	v_cndmask_b32_e32 v12, v25, v12, vcc_lo
	v_cmp_ne_u32_e32 vcc_lo, 0, v20
	s_wait_alu 0xfffd
	v_cndmask_b32_e32 v13, v24, v22, vcc_lo
	s_delay_alu instid0(VALU_DEP_3) | instskip(SKIP_2) | instid1(VALU_DEP_2)
	v_cmp_ne_u32_e64 s0, 0, v12
	v_cndmask_b32_e32 v12, v23, v21, vcc_lo
	s_wait_alu 0xf1ff
	v_cndmask_b32_e64 v13, v15, v13, s0
	s_delay_alu instid0(VALU_DEP_2) | instskip(NEXT) | instid1(VALU_DEP_2)
	v_cndmask_b32_e64 v12, v14, v12, s0
	v_xor_b32_e32 v13, v13, v3
	s_delay_alu instid0(VALU_DEP_2) | instskip(NEXT) | instid1(VALU_DEP_1)
	v_xor_b32_e32 v12, v12, v3
	v_sub_co_u32 v12, vcc_lo, v12, v3
	s_wait_alu 0xfffd
	s_delay_alu instid0(VALU_DEP_3)
	v_sub_co_ci_u32_e64 v13, null, v13, v3, vcc_lo
.LBB103_15:                             ;   in Loop: Header=BB103_3 Depth=1
	s_wait_alu 0xfffe
	s_and_not1_saveexec_b32 s0, s1
	s_cbranch_execz .LBB103_17
; %bb.16:                               ;   in Loop: Header=BB103_3 Depth=1
	v_cvt_f32_u32_e32 v3, s2
	s_sub_co_i32 s1, 0, s2
	s_delay_alu instid0(VALU_DEP_1) | instskip(NEXT) | instid1(TRANS32_DEP_1)
	v_rcp_iflag_f32_e32 v3, v3
	v_mul_f32_e32 v3, 0x4f7ffffe, v3
	s_delay_alu instid0(VALU_DEP_1) | instskip(SKIP_1) | instid1(VALU_DEP_1)
	v_cvt_u32_f32_e32 v3, v3
	s_wait_alu 0xfffe
	v_mul_lo_u32 v12, s1, v3
	s_delay_alu instid0(VALU_DEP_1) | instskip(NEXT) | instid1(VALU_DEP_1)
	v_mul_hi_u32 v12, v3, v12
	v_add_nc_u32_e32 v3, v3, v12
	s_delay_alu instid0(VALU_DEP_1) | instskip(NEXT) | instid1(VALU_DEP_1)
	v_mul_hi_u32 v3, v10, v3
	v_mul_lo_u32 v12, v3, s2
	v_add_nc_u32_e32 v13, 1, v3
	s_delay_alu instid0(VALU_DEP_2) | instskip(NEXT) | instid1(VALU_DEP_1)
	v_sub_nc_u32_e32 v12, v10, v12
	v_subrev_nc_u32_e32 v14, s2, v12
	v_cmp_le_u32_e32 vcc_lo, s2, v12
	s_wait_alu 0xfffd
	s_delay_alu instid0(VALU_DEP_2) | instskip(NEXT) | instid1(VALU_DEP_1)
	v_dual_cndmask_b32 v12, v12, v14 :: v_dual_cndmask_b32 v3, v3, v13
	v_cmp_le_u32_e32 vcc_lo, s2, v12
	s_delay_alu instid0(VALU_DEP_2) | instskip(SKIP_1) | instid1(VALU_DEP_1)
	v_add_nc_u32_e32 v13, 1, v3
	s_wait_alu 0xfffd
	v_dual_cndmask_b32 v12, v3, v13 :: v_dual_mov_b32 v13, v2
.LBB103_17:                             ;   in Loop: Header=BB103_3 Depth=1
	s_wait_alu 0xfffe
	s_or_b32 exec_lo, exec_lo, s0
	s_delay_alu instid0(VALU_DEP_1) | instskip(NEXT) | instid1(VALU_DEP_2)
	v_mul_lo_u32 v3, v13, s2
	v_mul_lo_u32 v20, v12, s3
	s_load_b64 s[0:1], s[38:39], 0xd0
	v_mad_co_u64_u32 v[14:15], null, v12, s2, 0
	s_load_b64 s[2:3], s[40:41], 0xd0
	v_add3_u32 v3, v15, v20, v3
	v_sub_co_u32 v10, vcc_lo, v10, v14
	s_wait_alu 0xfffd
	s_delay_alu instid0(VALU_DEP_2) | instskip(SKIP_1) | instid1(VALU_DEP_1)
	v_sub_co_ci_u32_e64 v3, null, v11, v3, vcc_lo
	s_wait_kmcnt 0x0
	v_mul_lo_u32 v11, s0, v3
	v_mul_lo_u32 v14, s1, v10
	v_mad_co_u64_u32 v[8:9], null, s0, v10, v[8:9]
	v_mul_lo_u32 v3, s2, v3
	v_mul_lo_u32 v15, s3, v10
	v_mad_co_u64_u32 v[6:7], null, s2, v10, v[6:7]
	s_mov_b64 s[0:1], s[36:37]
	v_add3_u32 v9, v14, v9, v11
	v_dual_mov_b32 v10, v12 :: v_dual_mov_b32 v11, v13
	v_add3_u32 v7, v15, v7, v3
	s_and_not1_b32 vcc_lo, exec_lo, s61
	s_wait_alu 0xfffe
	s_cbranch_vccz .LBB103_19
	s_branch .LBB103_29
.LBB103_18:                             ;   in Loop: Header=BB103_3 Depth=1
	s_mov_b64 s[0:1], s[34:35]
	s_and_not1_b32 vcc_lo, exec_lo, s61
	s_wait_alu 0xfffe
	s_cbranch_vccnz .LBB103_29
.LBB103_19:                             ;   in Loop: Header=BB103_3 Depth=1
	s_lshl_b64 s[4:5], s[0:1], 3
	s_add_nc_u64 s[46:47], s[0:1], 1
	s_wait_alu 0xfffe
	s_add_nc_u64 s[2:3], s[42:43], s[4:5]
	s_add_nc_u64 s[4:5], s[26:27], s[4:5]
	s_branch .LBB103_21
.LBB103_20:                             ;   in Loop: Header=BB103_21 Depth=2
	s_wait_alu 0xfffe
	s_or_b32 exec_lo, exec_lo, s0
	v_mul_lo_u32 v3, v13, s48
	v_mul_lo_u32 v24, v12, s49
	v_mad_co_u64_u32 v[20:21], null, v12, s48, 0
	s_load_b64 s[0:1], s[4:5], 0xc8
	s_load_b64 s[48:49], s[2:3], 0x0
	v_mul_lo_u32 v25, v15, s54
	v_mul_lo_u32 v26, v14, s55
	v_mad_co_u64_u32 v[22:23], null, v14, s54, 0
	v_add3_u32 v3, v21, v24, v3
	v_sub_co_u32 v10, vcc_lo, v10, v20
	s_add_nc_u64 s[46:47], s[46:47], -2
	s_add_nc_u64 s[2:3], s[2:3], -16
	s_wait_alu 0xfffd
	v_sub_co_ci_u32_e64 v3, null, v11, v3, vcc_lo
	v_mul_lo_u32 v11, s53, v10
	v_mad_co_u64_u32 v[8:9], null, s52, v10, v[8:9]
	s_delay_alu instid0(VALU_DEP_3)
	v_mul_lo_u32 v20, s52, v3
	v_mul_lo_u32 v21, s51, v10
	v_mad_co_u64_u32 v[6:7], null, s50, v10, v[6:7]
	v_mul_lo_u32 v3, s50, v3
	v_add3_u32 v10, v23, v26, v25
	s_wait_alu 0xfffe
	s_cmp_eq_u64 s[46:47], 0
	s_add_nc_u64 s[4:5], s[4:5], -16
	v_add3_u32 v9, v11, v9, v20
	v_sub_co_u32 v11, vcc_lo, v12, v22
	s_wait_alu 0xfffd
	v_sub_co_ci_u32_e64 v10, null, v13, v10, vcc_lo
	v_add3_u32 v7, v21, v7, v3
	s_wait_kmcnt 0x0
	v_mad_co_u64_u32 v[8:9], null, s0, v11, v[8:9]
	s_delay_alu instid0(VALU_DEP_3) | instskip(SKIP_4) | instid1(VALU_DEP_4)
	v_mul_lo_u32 v3, s0, v10
	v_mul_lo_u32 v12, s1, v11
	;; [unrolled: 1-line block ×4, first 2 shown]
	v_mad_co_u64_u32 v[6:7], null, s48, v11, v[6:7]
	v_add3_u32 v9, v12, v9, v3
	s_delay_alu instid0(VALU_DEP_2)
	v_add3_u32 v7, v13, v7, v10
	v_dual_mov_b32 v10, v14 :: v_dual_mov_b32 v11, v15
	s_cbranch_scc1 .LBB103_29
.LBB103_21:                             ;   Parent Loop BB103_3 Depth=1
                                        ; =>  This Inner Loop Header: Depth=2
	s_load_b64 s[48:49], s[4:5], 0x8
                                        ; implicit-def: $vgpr12_vgpr13
	s_mov_b32 s0, exec_lo
	s_wait_kmcnt 0x0
	v_or_b32_e32 v3, s49, v11
	s_delay_alu instid0(VALU_DEP_1)
	v_cmpx_ne_u64_e32 0, v[2:3]
	s_wait_alu 0xfffe
	s_xor_b32 s1, exec_lo, s0
	s_cbranch_execz .LBB103_23
; %bb.22:                               ;   in Loop: Header=BB103_21 Depth=2
	s_ashr_i32 s50, s49, 31
	v_ashrrev_i32_e32 v3, 31, v11
	s_wait_alu 0xfffe
	s_mov_b32 s51, s50
	s_wait_alu 0xfffe
	s_add_nc_u64 s[52:53], s[48:49], s[50:51]
	v_add_co_u32 v12, vcc_lo, v10, v3
	s_wait_alu 0xfffe
	s_xor_b64 s[52:53], s[52:53], s[50:51]
	s_wait_alu 0xfffd
	v_add_co_ci_u32_e64 v13, null, v11, v3, vcc_lo
	s_wait_alu 0xfffe
	s_cvt_f32_u32 s0, s52
	s_cvt_f32_u32 s6, s53
	s_sub_nc_u64 s[56:57], 0, s[52:53]
	v_xor_b32_e32 v22, v12, v3
	v_xor_b32_e32 v23, v13, v3
	s_wait_alu 0xfffe
	s_fmamk_f32 s0, s6, 0x4f800000, s0
	v_xor_b32_e32 v3, s50, v3
	s_wait_alu 0xfffe
	s_delay_alu instid0(SALU_CYCLE_1) | instskip(NEXT) | instid1(TRANS32_DEP_1)
	v_s_rcp_f32 s0, s0
	s_mul_f32 s0, s0, 0x5f7ffffc
	s_wait_alu 0xfffe
	s_delay_alu instid0(SALU_CYCLE_2) | instskip(SKIP_1) | instid1(SALU_CYCLE_2)
	s_mul_f32 s6, s0, 0x2f800000
	s_wait_alu 0xfffe
	s_trunc_f32 s6, s6
	s_wait_alu 0xfffe
	s_delay_alu instid0(SALU_CYCLE_2) | instskip(SKIP_2) | instid1(SALU_CYCLE_1)
	s_fmamk_f32 s0, s6, 0xcf800000, s0
	s_cvt_u32_f32 s55, s6
	s_wait_alu 0xfffe
	s_cvt_u32_f32 s54, s0
	s_wait_alu 0xfffe
	s_delay_alu instid0(SALU_CYCLE_2)
	s_mul_u64 s[58:59], s[56:57], s[54:55]
	s_wait_alu 0xfffe
	s_mul_hi_u32 s65, s54, s59
	s_mul_i32 s64, s54, s59
	s_mul_hi_u32 s6, s54, s58
	s_mul_i32 s45, s55, s58
	s_wait_alu 0xfffe
	s_add_nc_u64 s[64:65], s[6:7], s[64:65]
	s_mul_hi_u32 s0, s55, s58
	s_mul_hi_u32 s51, s55, s59
	s_add_co_u32 s6, s64, s45
	s_wait_alu 0xfffe
	s_add_co_ci_u32 s6, s65, s0
	s_mul_i32 s58, s55, s59
	s_add_co_ci_u32 s59, s51, 0
	s_wait_alu 0xfffe
	s_add_nc_u64 s[58:59], s[6:7], s[58:59]
	s_wait_alu 0xfffe
	s_add_co_u32 s54, s54, s58
	s_cselect_b32 s0, -1, 0
	s_wait_alu 0xfffe
	s_cmp_lg_u32 s0, 0
	s_add_co_ci_u32 s55, s55, s59
	s_wait_alu 0xfffe
	s_mul_u64 s[56:57], s[56:57], s[54:55]
	s_wait_alu 0xfffe
	s_mul_hi_u32 s59, s54, s57
	s_mul_i32 s58, s54, s57
	s_mul_hi_u32 s6, s54, s56
	s_mul_i32 s45, s55, s56
	s_wait_alu 0xfffe
	s_add_nc_u64 s[58:59], s[6:7], s[58:59]
	s_mul_hi_u32 s0, s55, s56
	s_mul_hi_u32 s51, s55, s57
	s_wait_alu 0xfffe
	s_add_co_u32 s6, s58, s45
	s_add_co_ci_u32 s6, s59, s0
	s_mul_i32 s56, s55, s57
	s_add_co_ci_u32 s57, s51, 0
	s_wait_alu 0xfffe
	s_add_nc_u64 s[56:57], s[6:7], s[56:57]
	s_wait_alu 0xfffe
	s_add_co_u32 s0, s54, s56
	s_cselect_b32 s6, -1, 0
	s_wait_alu 0xfffe
	v_mul_hi_u32 v24, v22, s0
	s_cmp_lg_u32 s6, 0
	v_mad_co_u64_u32 v[14:15], null, v23, s0, 0
	s_add_co_ci_u32 s6, s55, s57
	s_wait_alu 0xfffe
	v_mad_co_u64_u32 v[12:13], null, v22, s6, 0
	v_mad_co_u64_u32 v[20:21], null, v23, s6, 0
	s_delay_alu instid0(VALU_DEP_2) | instskip(SKIP_1) | instid1(VALU_DEP_3)
	v_add_co_u32 v12, vcc_lo, v24, v12
	s_wait_alu 0xfffd
	v_add_co_ci_u32_e64 v13, null, 0, v13, vcc_lo
	s_delay_alu instid0(VALU_DEP_2) | instskip(SKIP_1) | instid1(VALU_DEP_2)
	v_add_co_u32 v12, vcc_lo, v12, v14
	s_wait_alu 0xfffd
	v_add_co_ci_u32_e32 v12, vcc_lo, v13, v15, vcc_lo
	s_wait_alu 0xfffd
	v_add_co_ci_u32_e32 v13, vcc_lo, 0, v21, vcc_lo
	s_delay_alu instid0(VALU_DEP_2) | instskip(SKIP_1) | instid1(VALU_DEP_2)
	v_add_co_u32 v14, vcc_lo, v12, v20
	s_wait_alu 0xfffd
	v_add_co_ci_u32_e64 v15, null, 0, v13, vcc_lo
	s_delay_alu instid0(VALU_DEP_2) | instskip(SKIP_1) | instid1(VALU_DEP_3)
	v_mul_lo_u32 v20, s53, v14
	v_mad_co_u64_u32 v[12:13], null, s52, v14, 0
	v_mul_lo_u32 v21, s52, v15
	s_delay_alu instid0(VALU_DEP_2) | instskip(NEXT) | instid1(VALU_DEP_2)
	v_sub_co_u32 v12, vcc_lo, v22, v12
	v_add3_u32 v13, v13, v21, v20
	v_add_co_u32 v21, s0, v14, 2
	s_wait_alu 0xf1ff
	v_add_co_ci_u32_e64 v22, null, 0, v15, s0
	s_delay_alu instid0(VALU_DEP_3) | instskip(SKIP_3) | instid1(VALU_DEP_3)
	v_sub_nc_u32_e32 v20, v23, v13
	v_sub_co_u32 v24, s0, v12, s52
	s_wait_alu 0xfffd
	v_sub_co_ci_u32_e64 v13, null, v23, v13, vcc_lo
	v_subrev_co_ci_u32_e64 v20, null, s53, v20, vcc_lo
	s_delay_alu instid0(VALU_DEP_3) | instskip(SKIP_1) | instid1(VALU_DEP_2)
	v_cmp_le_u32_e32 vcc_lo, s52, v24
	s_wait_alu 0xf1ff
	v_subrev_co_ci_u32_e64 v20, null, 0, v20, s0
	s_wait_alu 0xfffd
	v_cndmask_b32_e64 v23, 0, -1, vcc_lo
	s_delay_alu instid0(VALU_DEP_2)
	v_cmp_le_u32_e32 vcc_lo, s53, v20
	s_wait_alu 0xfffd
	v_cndmask_b32_e64 v24, 0, -1, vcc_lo
	v_cmp_le_u32_e32 vcc_lo, s52, v12
	s_wait_alu 0xfffd
	v_cndmask_b32_e64 v12, 0, -1, vcc_lo
	;; [unrolled: 3-line block ×3, first 2 shown]
	v_cmp_eq_u32_e32 vcc_lo, s53, v20
	s_wait_alu 0xfffd
	v_cndmask_b32_e32 v20, v24, v23, vcc_lo
	v_add_co_u32 v23, vcc_lo, v14, 1
	s_wait_alu 0xfffd
	v_add_co_ci_u32_e64 v24, null, 0, v15, vcc_lo
	v_cmp_eq_u32_e32 vcc_lo, s53, v13
	s_wait_alu 0xfffd
	v_cndmask_b32_e32 v12, v25, v12, vcc_lo
	v_cmp_ne_u32_e32 vcc_lo, 0, v20
	s_wait_alu 0xfffd
	v_cndmask_b32_e32 v13, v24, v22, vcc_lo
	s_delay_alu instid0(VALU_DEP_3) | instskip(SKIP_2) | instid1(VALU_DEP_2)
	v_cmp_ne_u32_e64 s0, 0, v12
	v_cndmask_b32_e32 v12, v23, v21, vcc_lo
	s_wait_alu 0xf1ff
	v_cndmask_b32_e64 v13, v15, v13, s0
	s_delay_alu instid0(VALU_DEP_2) | instskip(NEXT) | instid1(VALU_DEP_2)
	v_cndmask_b32_e64 v12, v14, v12, s0
	v_xor_b32_e32 v13, v13, v3
	s_delay_alu instid0(VALU_DEP_2) | instskip(NEXT) | instid1(VALU_DEP_1)
	v_xor_b32_e32 v12, v12, v3
	v_sub_co_u32 v12, vcc_lo, v12, v3
	s_wait_alu 0xfffd
	s_delay_alu instid0(VALU_DEP_3)
	v_sub_co_ci_u32_e64 v13, null, v13, v3, vcc_lo
.LBB103_23:                             ;   in Loop: Header=BB103_21 Depth=2
	s_wait_alu 0xfffe
	s_and_not1_saveexec_b32 s0, s1
	s_cbranch_execz .LBB103_25
; %bb.24:                               ;   in Loop: Header=BB103_21 Depth=2
	v_cvt_f32_u32_e32 v3, s48
	s_sub_co_i32 s1, 0, s48
	s_delay_alu instid0(VALU_DEP_1) | instskip(NEXT) | instid1(TRANS32_DEP_1)
	v_rcp_iflag_f32_e32 v3, v3
	v_mul_f32_e32 v3, 0x4f7ffffe, v3
	s_delay_alu instid0(VALU_DEP_1) | instskip(SKIP_1) | instid1(VALU_DEP_1)
	v_cvt_u32_f32_e32 v3, v3
	s_wait_alu 0xfffe
	v_mul_lo_u32 v12, s1, v3
	s_delay_alu instid0(VALU_DEP_1) | instskip(NEXT) | instid1(VALU_DEP_1)
	v_mul_hi_u32 v12, v3, v12
	v_add_nc_u32_e32 v3, v3, v12
	s_delay_alu instid0(VALU_DEP_1) | instskip(NEXT) | instid1(VALU_DEP_1)
	v_mul_hi_u32 v3, v10, v3
	v_mul_lo_u32 v12, v3, s48
	v_add_nc_u32_e32 v13, 1, v3
	s_delay_alu instid0(VALU_DEP_2) | instskip(NEXT) | instid1(VALU_DEP_1)
	v_sub_nc_u32_e32 v12, v10, v12
	v_subrev_nc_u32_e32 v14, s48, v12
	v_cmp_le_u32_e32 vcc_lo, s48, v12
	s_wait_alu 0xfffd
	s_delay_alu instid0(VALU_DEP_2) | instskip(NEXT) | instid1(VALU_DEP_1)
	v_dual_cndmask_b32 v12, v12, v14 :: v_dual_cndmask_b32 v3, v3, v13
	v_cmp_le_u32_e32 vcc_lo, s48, v12
	s_delay_alu instid0(VALU_DEP_2) | instskip(SKIP_1) | instid1(VALU_DEP_1)
	v_add_nc_u32_e32 v13, 1, v3
	s_wait_alu 0xfffd
	v_dual_cndmask_b32 v12, v3, v13 :: v_dual_mov_b32 v13, v2
.LBB103_25:                             ;   in Loop: Header=BB103_21 Depth=2
	s_wait_alu 0xfffe
	s_or_b32 exec_lo, exec_lo, s0
	s_clause 0x1
	s_load_b64 s[54:55], s[4:5], 0x0
	s_load_b64 s[52:53], s[4:5], 0xd0
	;; [unrolled: 1-line block ×3, first 2 shown]
                                        ; implicit-def: $vgpr14_vgpr15
	s_mov_b32 s0, exec_lo
	s_wait_kmcnt 0x0
	v_or_b32_e32 v3, s55, v13
	s_delay_alu instid0(VALU_DEP_1)
	v_cmpx_ne_u64_e32 0, v[2:3]
	s_wait_alu 0xfffe
	s_xor_b32 s1, exec_lo, s0
	s_cbranch_execz .LBB103_27
; %bb.26:                               ;   in Loop: Header=BB103_21 Depth=2
	s_ashr_i32 s56, s55, 31
	v_ashrrev_i32_e32 v3, 31, v13
	s_wait_alu 0xfffe
	s_mov_b32 s57, s56
	s_wait_alu 0xfffe
	s_add_nc_u64 s[58:59], s[54:55], s[56:57]
	v_add_co_u32 v14, vcc_lo, v12, v3
	s_wait_alu 0xfffe
	s_xor_b64 s[58:59], s[58:59], s[56:57]
	s_wait_alu 0xfffd
	v_add_co_ci_u32_e64 v15, null, v13, v3, vcc_lo
	s_wait_alu 0xfffe
	s_cvt_f32_u32 s0, s58
	s_cvt_f32_u32 s6, s59
	s_sub_nc_u64 s[66:67], 0, s[58:59]
	v_xor_b32_e32 v24, v14, v3
	v_xor_b32_e32 v25, v15, v3
	s_wait_alu 0xfffe
	s_fmamk_f32 s0, s6, 0x4f800000, s0
	v_xor_b32_e32 v3, s56, v3
	s_wait_alu 0xfffe
	s_delay_alu instid0(SALU_CYCLE_1) | instskip(NEXT) | instid1(TRANS32_DEP_1)
	v_s_rcp_f32 s0, s0
	s_mul_f32 s0, s0, 0x5f7ffffc
	s_wait_alu 0xfffe
	s_delay_alu instid0(SALU_CYCLE_2) | instskip(SKIP_1) | instid1(SALU_CYCLE_2)
	s_mul_f32 s6, s0, 0x2f800000
	s_wait_alu 0xfffe
	s_trunc_f32 s6, s6
	s_wait_alu 0xfffe
	s_delay_alu instid0(SALU_CYCLE_2) | instskip(SKIP_2) | instid1(SALU_CYCLE_1)
	s_fmamk_f32 s0, s6, 0xcf800000, s0
	s_cvt_u32_f32 s65, s6
	s_wait_alu 0xfffe
	s_cvt_u32_f32 s64, s0
	s_delay_alu instid0(SALU_CYCLE_3) | instskip(NEXT) | instid1(SALU_CYCLE_1)
	s_mul_u64 s[68:69], s[66:67], s[64:65]
	s_mul_hi_u32 s71, s64, s69
	s_mul_i32 s70, s64, s69
	s_mul_hi_u32 s6, s64, s68
	s_mul_i32 s45, s65, s68
	s_wait_alu 0xfffe
	s_add_nc_u64 s[70:71], s[6:7], s[70:71]
	s_mul_hi_u32 s0, s65, s68
	s_mul_hi_u32 s57, s65, s69
	s_add_co_u32 s6, s70, s45
	s_wait_alu 0xfffe
	s_add_co_ci_u32 s6, s71, s0
	s_mul_i32 s68, s65, s69
	s_add_co_ci_u32 s69, s57, 0
	s_wait_alu 0xfffe
	s_add_nc_u64 s[68:69], s[6:7], s[68:69]
	s_delay_alu instid0(SALU_CYCLE_1) | instskip(SKIP_4) | instid1(SALU_CYCLE_1)
	s_add_co_u32 s64, s64, s68
	s_cselect_b32 s0, -1, 0
	s_wait_alu 0xfffe
	s_cmp_lg_u32 s0, 0
	s_add_co_ci_u32 s65, s65, s69
	s_mul_u64 s[66:67], s[66:67], s[64:65]
	s_delay_alu instid0(SALU_CYCLE_1)
	s_mul_hi_u32 s69, s64, s67
	s_mul_i32 s68, s64, s67
	s_mul_hi_u32 s6, s64, s66
	s_mul_i32 s45, s65, s66
	s_wait_alu 0xfffe
	s_add_nc_u64 s[68:69], s[6:7], s[68:69]
	s_mul_hi_u32 s0, s65, s66
	s_mul_hi_u32 s57, s65, s67
	s_add_co_u32 s6, s68, s45
	s_wait_alu 0xfffe
	s_add_co_ci_u32 s6, s69, s0
	s_mul_i32 s66, s65, s67
	s_add_co_ci_u32 s67, s57, 0
	s_wait_alu 0xfffe
	s_add_nc_u64 s[66:67], s[6:7], s[66:67]
	s_delay_alu instid0(SALU_CYCLE_1)
	s_add_co_u32 s0, s64, s66
	s_cselect_b32 s6, -1, 0
	s_wait_alu 0xfffe
	v_mul_hi_u32 v26, v24, s0
	s_cmp_lg_u32 s6, 0
	v_mad_co_u64_u32 v[20:21], null, v25, s0, 0
	s_add_co_ci_u32 s6, s65, s67
	s_wait_alu 0xfffe
	v_mad_co_u64_u32 v[14:15], null, v24, s6, 0
	v_mad_co_u64_u32 v[22:23], null, v25, s6, 0
	s_delay_alu instid0(VALU_DEP_2) | instskip(SKIP_1) | instid1(VALU_DEP_3)
	v_add_co_u32 v14, vcc_lo, v26, v14
	s_wait_alu 0xfffd
	v_add_co_ci_u32_e64 v15, null, 0, v15, vcc_lo
	s_delay_alu instid0(VALU_DEP_2) | instskip(SKIP_1) | instid1(VALU_DEP_2)
	v_add_co_u32 v14, vcc_lo, v14, v20
	s_wait_alu 0xfffd
	v_add_co_ci_u32_e32 v14, vcc_lo, v15, v21, vcc_lo
	s_wait_alu 0xfffd
	v_add_co_ci_u32_e32 v15, vcc_lo, 0, v23, vcc_lo
	s_delay_alu instid0(VALU_DEP_2) | instskip(SKIP_1) | instid1(VALU_DEP_2)
	v_add_co_u32 v20, vcc_lo, v14, v22
	s_wait_alu 0xfffd
	v_add_co_ci_u32_e64 v21, null, 0, v15, vcc_lo
	s_delay_alu instid0(VALU_DEP_2) | instskip(SKIP_1) | instid1(VALU_DEP_3)
	v_mul_lo_u32 v22, s59, v20
	v_mad_co_u64_u32 v[14:15], null, s58, v20, 0
	v_mul_lo_u32 v23, s58, v21
	s_delay_alu instid0(VALU_DEP_2) | instskip(NEXT) | instid1(VALU_DEP_2)
	v_sub_co_u32 v14, vcc_lo, v24, v14
	v_add3_u32 v15, v15, v23, v22
	v_add_co_u32 v23, s0, v20, 2
	s_wait_alu 0xf1ff
	v_add_co_ci_u32_e64 v24, null, 0, v21, s0
	s_delay_alu instid0(VALU_DEP_3) | instskip(SKIP_3) | instid1(VALU_DEP_3)
	v_sub_nc_u32_e32 v22, v25, v15
	v_sub_co_u32 v26, s0, v14, s58
	s_wait_alu 0xfffd
	v_sub_co_ci_u32_e64 v15, null, v25, v15, vcc_lo
	v_subrev_co_ci_u32_e64 v22, null, s59, v22, vcc_lo
	s_delay_alu instid0(VALU_DEP_3) | instskip(SKIP_1) | instid1(VALU_DEP_2)
	v_cmp_le_u32_e32 vcc_lo, s58, v26
	s_wait_alu 0xf1ff
	v_subrev_co_ci_u32_e64 v22, null, 0, v22, s0
	s_wait_alu 0xfffd
	v_cndmask_b32_e64 v25, 0, -1, vcc_lo
	s_delay_alu instid0(VALU_DEP_2)
	v_cmp_le_u32_e32 vcc_lo, s59, v22
	s_wait_alu 0xfffd
	v_cndmask_b32_e64 v26, 0, -1, vcc_lo
	v_cmp_le_u32_e32 vcc_lo, s58, v14
	s_wait_alu 0xfffd
	v_cndmask_b32_e64 v14, 0, -1, vcc_lo
	v_cmp_le_u32_e32 vcc_lo, s59, v15
	s_wait_alu 0xfffd
	v_cndmask_b32_e64 v27, 0, -1, vcc_lo
	v_cmp_eq_u32_e32 vcc_lo, s59, v22
	s_wait_alu 0xfffd
	v_cndmask_b32_e32 v22, v26, v25, vcc_lo
	v_add_co_u32 v25, vcc_lo, v20, 1
	s_wait_alu 0xfffd
	v_add_co_ci_u32_e64 v26, null, 0, v21, vcc_lo
	v_cmp_eq_u32_e32 vcc_lo, s59, v15
	s_wait_alu 0xfffd
	v_cndmask_b32_e32 v14, v27, v14, vcc_lo
	v_cmp_ne_u32_e32 vcc_lo, 0, v22
	s_wait_alu 0xfffd
	v_cndmask_b32_e32 v15, v26, v24, vcc_lo
	s_delay_alu instid0(VALU_DEP_3) | instskip(SKIP_2) | instid1(VALU_DEP_2)
	v_cmp_ne_u32_e64 s0, 0, v14
	v_cndmask_b32_e32 v14, v25, v23, vcc_lo
	s_wait_alu 0xf1ff
	v_cndmask_b32_e64 v15, v21, v15, s0
	s_delay_alu instid0(VALU_DEP_2) | instskip(NEXT) | instid1(VALU_DEP_2)
	v_cndmask_b32_e64 v14, v20, v14, s0
	v_xor_b32_e32 v15, v15, v3
	s_delay_alu instid0(VALU_DEP_2) | instskip(NEXT) | instid1(VALU_DEP_1)
	v_xor_b32_e32 v14, v14, v3
	v_sub_co_u32 v14, vcc_lo, v14, v3
	s_wait_alu 0xfffd
	s_delay_alu instid0(VALU_DEP_3)
	v_sub_co_ci_u32_e64 v15, null, v15, v3, vcc_lo
.LBB103_27:                             ;   in Loop: Header=BB103_21 Depth=2
	s_wait_alu 0xfffe
	s_and_not1_saveexec_b32 s0, s1
	s_cbranch_execz .LBB103_20
; %bb.28:                               ;   in Loop: Header=BB103_21 Depth=2
	v_cvt_f32_u32_e32 v3, s54
	s_sub_co_i32 s1, 0, s54
	s_delay_alu instid0(VALU_DEP_1) | instskip(NEXT) | instid1(TRANS32_DEP_1)
	v_rcp_iflag_f32_e32 v3, v3
	v_mul_f32_e32 v3, 0x4f7ffffe, v3
	s_delay_alu instid0(VALU_DEP_1) | instskip(SKIP_1) | instid1(VALU_DEP_1)
	v_cvt_u32_f32_e32 v3, v3
	s_wait_alu 0xfffe
	v_mul_lo_u32 v14, s1, v3
	s_delay_alu instid0(VALU_DEP_1) | instskip(NEXT) | instid1(VALU_DEP_1)
	v_mul_hi_u32 v14, v3, v14
	v_add_nc_u32_e32 v3, v3, v14
	s_delay_alu instid0(VALU_DEP_1) | instskip(NEXT) | instid1(VALU_DEP_1)
	v_mul_hi_u32 v3, v12, v3
	v_mul_lo_u32 v14, v3, s54
	v_add_nc_u32_e32 v15, 1, v3
	s_delay_alu instid0(VALU_DEP_2) | instskip(NEXT) | instid1(VALU_DEP_1)
	v_sub_nc_u32_e32 v14, v12, v14
	v_subrev_nc_u32_e32 v20, s54, v14
	v_cmp_le_u32_e32 vcc_lo, s54, v14
	s_wait_alu 0xfffd
	s_delay_alu instid0(VALU_DEP_2) | instskip(NEXT) | instid1(VALU_DEP_1)
	v_dual_cndmask_b32 v14, v14, v20 :: v_dual_cndmask_b32 v3, v3, v15
	v_cmp_le_u32_e32 vcc_lo, s54, v14
	s_delay_alu instid0(VALU_DEP_2) | instskip(SKIP_1) | instid1(VALU_DEP_1)
	v_add_nc_u32_e32 v15, 1, v3
	s_wait_alu 0xfffd
	v_dual_cndmask_b32 v14, v3, v15 :: v_dual_mov_b32 v15, v2
	s_branch .LBB103_20
.LBB103_29:                             ;   in Loop: Header=BB103_3 Depth=1
	v_sub_co_u32 v10, vcc_lo, v4, v18
	s_wait_alu 0xfffd
	v_sub_co_ci_u32_e64 v11, null, v5, v19, vcc_lo
	s_delay_alu instid0(VALU_DEP_2) | instskip(SKIP_1) | instid1(VALU_DEP_2)
	v_add_co_u32 v12, vcc_lo, v10, 4
	s_wait_alu 0xfffd
	v_add_co_ci_u32_e64 v13, null, 0, v11, vcc_lo
	s_delay_alu instid0(VALU_DEP_1)
	v_cmp_le_i64_e32 vcc_lo, s[8:9], v[12:13]
	v_mov_b32_e32 v12, 0
	s_and_saveexec_b32 s45, vcc_lo
	s_cbranch_execz .LBB103_39
; %bb.30:                               ;   in Loop: Header=BB103_3 Depth=1
	v_dual_mov_b32 v3, 0 :: v_dual_mov_b32 v12, 0
	v_dual_mov_b32 v13, 0 :: v_dual_mov_b32 v14, 0
	s_mov_b32 s0, exec_lo
	v_cmpx_gt_i64_e64 s[14:15], v[4:5]
	s_cbranch_execz .LBB103_38
; %bb.31:                               ;   in Loop: Header=BB103_3 Depth=1
	v_add_co_u32 v8, vcc_lo, s24, v8
	s_wait_alu 0xfffd
	v_add_co_ci_u32_e64 v9, null, s25, v9, vcc_lo
	v_add_co_u32 v13, vcc_lo, v4, 1
	s_wait_alu 0xfffd
	v_add_co_ci_u32_e64 v14, null, 0, v5, vcc_lo
	global_load_u8 v3, v[8:9], off
	v_mov_b32_e32 v12, 0
	v_cmp_gt_i64_e32 vcc_lo, s[14:15], v[13:14]
	v_dual_mov_b32 v13, 0 :: v_dual_mov_b32 v14, 0
	s_and_saveexec_b32 s1, vcc_lo
	s_wait_alu 0xfffe
	s_xor_b32 s1, exec_lo, s1
	s_cbranch_execz .LBB103_37
; %bb.32:                               ;   in Loop: Header=BB103_3 Depth=1
	v_add_co_u32 v8, vcc_lo, v8, s18
	s_wait_alu 0xfffd
	v_add_co_ci_u32_e64 v9, null, s19, v9, vcc_lo
	v_add_co_u32 v14, vcc_lo, v4, 2
	s_wait_alu 0xfffd
	v_add_co_ci_u32_e64 v15, null, 0, v5, vcc_lo
	global_load_u8 v12, v[8:9], off
	v_mov_b32_e32 v13, 0
	v_cmp_gt_i64_e32 vcc_lo, s[14:15], v[14:15]
	v_mov_b32_e32 v14, 0
	s_and_saveexec_b32 s2, vcc_lo
	s_wait_alu 0xfffe
	s_xor_b32 s2, exec_lo, s2
	s_cbranch_execz .LBB103_36
; %bb.33:                               ;   in Loop: Header=BB103_3 Depth=1
	v_add_co_u32 v8, vcc_lo, v8, s18
	s_wait_alu 0xfffd
	v_add_co_ci_u32_e64 v9, null, s19, v9, vcc_lo
	v_add_co_u32 v14, vcc_lo, v4, 3
	s_wait_alu 0xfffd
	v_add_co_ci_u32_e64 v15, null, 0, v5, vcc_lo
	global_load_u8 v13, v[8:9], off
	v_cmp_gt_i64_e32 vcc_lo, s[14:15], v[14:15]
	v_mov_b32_e32 v14, 0
	s_and_saveexec_b32 s3, vcc_lo
	s_wait_alu 0xfffe
	s_xor_b32 s3, exec_lo, s3
	s_cbranch_execz .LBB103_35
; %bb.34:                               ;   in Loop: Header=BB103_3 Depth=1
	v_add_co_u32 v8, vcc_lo, v8, s18
	s_wait_alu 0xfffd
	v_add_co_ci_u32_e64 v9, null, s19, v9, vcc_lo
	global_load_u8 v14, v[8:9], off
.LBB103_35:                             ;   in Loop: Header=BB103_3 Depth=1
	s_wait_alu 0xfffe
	s_or_b32 exec_lo, exec_lo, s3
.LBB103_36:                             ;   in Loop: Header=BB103_3 Depth=1
	s_wait_alu 0xfffe
	s_or_b32 exec_lo, exec_lo, s2
.LBB103_37:                             ;   in Loop: Header=BB103_3 Depth=1
	s_wait_alu 0xfffe
	s_or_b32 exec_lo, exec_lo, s1
.LBB103_38:                             ;   in Loop: Header=BB103_3 Depth=1
	s_wait_alu 0xfffe
	s_or_b32 exec_lo, exec_lo, s0
	v_add_co_u32 v8, s0, v10, 1
	s_wait_alu 0xf1ff
	v_add_co_ci_u32_e64 v9, null, 0, v11, s0
	s_wait_loadcnt 0x0
	v_and_b32_e32 v14, 1, v14
	v_and_b32_e32 v12, 1, v12
	v_cmp_le_i64_e32 vcc_lo, s[8:9], v[10:11]
	v_cmp_le_i64_e64 s1, s[8:9], v[8:9]
	v_add_co_u32 v8, s2, v10, 3
	s_wait_alu 0xf1ff
	v_add_co_ci_u32_e64 v9, null, 0, v11, s2
	v_add_co_u32 v10, s2, v10, 2
	v_and_b32_e32 v3, 1, v3
	s_wait_alu 0xf1ff
	v_add_co_ci_u32_e64 v11, null, 0, v11, s2
	v_cmp_le_i64_e64 s3, s[8:9], v[8:9]
	v_cmp_eq_u32_e64 s0, 1, v14
	v_and_b32_e32 v13, 1, v13
	v_cmp_eq_u32_e64 s2, 1, v12
	v_cmp_eq_u32_e64 s5, 1, v3
	v_cmp_le_i64_e64 s6, s[8:9], v[10:11]
	s_and_b32 s0, s3, s0
	v_cmp_eq_u32_e64 s4, 1, v13
	s_and_b32 s1, s1, s2
	s_wait_alu 0xfffe
	v_cndmask_b32_e64 v8, 0, 1, s0
	v_cndmask_b32_e64 v3, 0, 1, s1
	s_and_b32 s0, vcc_lo, s5
	s_wait_alu 0xfffe
	v_cndmask_b32_e64 v9, 0, 1, s0
	s_and_b32 s0, s6, s4
	v_lshlrev_b16 v3, 8, v3
	s_wait_alu 0xfffe
	v_cndmask_b32_e64 v10, 0, 1, s0
	v_lshlrev_b16 v8, 8, v8
	s_delay_alu instid0(VALU_DEP_3) | instskip(NEXT) | instid1(VALU_DEP_2)
	v_or_b32_e32 v3, v9, v3
	v_or_b32_e32 v8, v10, v8
	s_delay_alu instid0(VALU_DEP_2) | instskip(NEXT) | instid1(VALU_DEP_2)
	v_and_b32_e32 v3, 0xffff, v3
	v_lshlrev_b32_e32 v8, 16, v8
	s_delay_alu instid0(VALU_DEP_1)
	v_or_b32_e32 v12, v3, v8
.LBB103_39:                             ;   in Loop: Header=BB103_3 Depth=1
	s_wait_alu 0xfffe
	s_or_b32 exec_lo, exec_lo, s45
	s_delay_alu instid0(SALU_CYCLE_1)
	s_mov_b32 s0, exec_lo
	v_cmpx_gt_i64_e64 s[14:15], v[4:5]
	s_cbranch_execz .LBB103_2
; %bb.40:                               ;   in Loop: Header=BB103_3 Depth=1
	v_add_co_u32 v8, vcc_lo, v4, 1
	s_wait_alu 0xfffd
	v_add_co_ci_u32_e64 v9, null, 0, v5, vcc_lo
	v_add_co_u32 v6, vcc_lo, s30, v6
	s_wait_alu 0xfffd
	v_add_co_ci_u32_e64 v7, null, s31, v7, vcc_lo
	s_mov_b32 s1, exec_lo
	global_store_b8 v[6:7], v12, off
	v_cmpx_gt_i64_e64 s[14:15], v[8:9]
	s_wait_alu 0xfffe
	s_xor_b32 s1, exec_lo, s1
	s_cbranch_execz .LBB103_2
; %bb.41:                               ;   in Loop: Header=BB103_3 Depth=1
	v_add_co_u32 v8, vcc_lo, v4, 2
	s_wait_alu 0xfffd
	v_add_co_ci_u32_e64 v9, null, 0, v5, vcc_lo
	v_add_co_u32 v6, vcc_lo, v6, s22
	v_lshrrev_b32_e32 v3, 8, v12
	s_wait_alu 0xfffd
	v_add_co_ci_u32_e64 v7, null, s23, v7, vcc_lo
	s_mov_b32 s1, exec_lo
	global_store_b8 v[6:7], v3, off
	v_cmpx_gt_i64_e64 s[14:15], v[8:9]
	s_wait_alu 0xfffe
	s_xor_b32 s1, exec_lo, s1
	s_cbranch_execz .LBB103_2
; %bb.42:                               ;   in Loop: Header=BB103_3 Depth=1
	v_add_co_u32 v8, vcc_lo, v4, 3
	s_wait_alu 0xfffd
	v_add_co_ci_u32_e64 v9, null, 0, v5, vcc_lo
	v_add_co_u32 v3, vcc_lo, v6, s22
	s_wait_alu 0xfffd
	v_add_co_ci_u32_e64 v4, null, s23, v7, vcc_lo
	s_mov_b32 s1, exec_lo
	global_store_d16_hi_b8 v[3:4], v12, off
	v_cmpx_gt_i64_e64 s[14:15], v[8:9]
	s_wait_alu 0xfffe
	s_xor_b32 s1, exec_lo, s1
	s_cbranch_execz .LBB103_2
; %bb.43:                               ;   in Loop: Header=BB103_3 Depth=1
	v_add_co_u32 v3, vcc_lo, v3, s22
	v_lshrrev_b32_e32 v5, 24, v12
	s_wait_alu 0xfffd
	v_add_co_ci_u32_e64 v4, null, s23, v4, vcc_lo
	global_store_b8 v[3:4], v5, off
	s_branch .LBB103_2
.LBB103_44:
	s_endpgm
	.section	.rodata,"a",@progbits
	.p2align	6, 0x0
	.amdhsa_kernel _ZN2at6native16triu_tril_kernelIblLb1ELi4ELb0EEEvNS_4cuda6detail10TensorInfoIT_T0_EENS4_IKS5_S6_EEllS6_
		.amdhsa_group_segment_fixed_size 0
		.amdhsa_private_segment_fixed_size 0
		.amdhsa_kernarg_size 1112
		.amdhsa_user_sgpr_count 2
		.amdhsa_user_sgpr_dispatch_ptr 0
		.amdhsa_user_sgpr_queue_ptr 0
		.amdhsa_user_sgpr_kernarg_segment_ptr 1
		.amdhsa_user_sgpr_dispatch_id 0
		.amdhsa_user_sgpr_private_segment_size 0
		.amdhsa_wavefront_size32 1
		.amdhsa_uses_dynamic_stack 0
		.amdhsa_enable_private_segment 0
		.amdhsa_system_sgpr_workgroup_id_x 1
		.amdhsa_system_sgpr_workgroup_id_y 0
		.amdhsa_system_sgpr_workgroup_id_z 0
		.amdhsa_system_sgpr_workgroup_info 0
		.amdhsa_system_vgpr_workitem_id 0
		.amdhsa_next_free_vgpr 28
		.amdhsa_next_free_sgpr 72
		.amdhsa_reserve_vcc 1
		.amdhsa_float_round_mode_32 0
		.amdhsa_float_round_mode_16_64 0
		.amdhsa_float_denorm_mode_32 3
		.amdhsa_float_denorm_mode_16_64 3
		.amdhsa_fp16_overflow 0
		.amdhsa_workgroup_processor_mode 1
		.amdhsa_memory_ordered 1
		.amdhsa_forward_progress 1
		.amdhsa_inst_pref_size 55
		.amdhsa_round_robin_scheduling 0
		.amdhsa_exception_fp_ieee_invalid_op 0
		.amdhsa_exception_fp_denorm_src 0
		.amdhsa_exception_fp_ieee_div_zero 0
		.amdhsa_exception_fp_ieee_overflow 0
		.amdhsa_exception_fp_ieee_underflow 0
		.amdhsa_exception_fp_ieee_inexact 0
		.amdhsa_exception_int_div_zero 0
	.end_amdhsa_kernel
	.section	.text._ZN2at6native16triu_tril_kernelIblLb1ELi4ELb0EEEvNS_4cuda6detail10TensorInfoIT_T0_EENS4_IKS5_S6_EEllS6_,"axG",@progbits,_ZN2at6native16triu_tril_kernelIblLb1ELi4ELb0EEEvNS_4cuda6detail10TensorInfoIT_T0_EENS4_IKS5_S6_EEllS6_,comdat
.Lfunc_end103:
	.size	_ZN2at6native16triu_tril_kernelIblLb1ELi4ELb0EEEvNS_4cuda6detail10TensorInfoIT_T0_EENS4_IKS5_S6_EEllS6_, .Lfunc_end103-_ZN2at6native16triu_tril_kernelIblLb1ELi4ELb0EEEvNS_4cuda6detail10TensorInfoIT_T0_EENS4_IKS5_S6_EEllS6_
                                        ; -- End function
	.set _ZN2at6native16triu_tril_kernelIblLb1ELi4ELb0EEEvNS_4cuda6detail10TensorInfoIT_T0_EENS4_IKS5_S6_EEllS6_.num_vgpr, 28
	.set _ZN2at6native16triu_tril_kernelIblLb1ELi4ELb0EEEvNS_4cuda6detail10TensorInfoIT_T0_EENS4_IKS5_S6_EEllS6_.num_agpr, 0
	.set _ZN2at6native16triu_tril_kernelIblLb1ELi4ELb0EEEvNS_4cuda6detail10TensorInfoIT_T0_EENS4_IKS5_S6_EEllS6_.numbered_sgpr, 72
	.set _ZN2at6native16triu_tril_kernelIblLb1ELi4ELb0EEEvNS_4cuda6detail10TensorInfoIT_T0_EENS4_IKS5_S6_EEllS6_.num_named_barrier, 0
	.set _ZN2at6native16triu_tril_kernelIblLb1ELi4ELb0EEEvNS_4cuda6detail10TensorInfoIT_T0_EENS4_IKS5_S6_EEllS6_.private_seg_size, 0
	.set _ZN2at6native16triu_tril_kernelIblLb1ELi4ELb0EEEvNS_4cuda6detail10TensorInfoIT_T0_EENS4_IKS5_S6_EEllS6_.uses_vcc, 1
	.set _ZN2at6native16triu_tril_kernelIblLb1ELi4ELb0EEEvNS_4cuda6detail10TensorInfoIT_T0_EENS4_IKS5_S6_EEllS6_.uses_flat_scratch, 0
	.set _ZN2at6native16triu_tril_kernelIblLb1ELi4ELb0EEEvNS_4cuda6detail10TensorInfoIT_T0_EENS4_IKS5_S6_EEllS6_.has_dyn_sized_stack, 0
	.set _ZN2at6native16triu_tril_kernelIblLb1ELi4ELb0EEEvNS_4cuda6detail10TensorInfoIT_T0_EENS4_IKS5_S6_EEllS6_.has_recursion, 0
	.set _ZN2at6native16triu_tril_kernelIblLb1ELi4ELb0EEEvNS_4cuda6detail10TensorInfoIT_T0_EENS4_IKS5_S6_EEllS6_.has_indirect_call, 0
	.section	.AMDGPU.csdata,"",@progbits
; Kernel info:
; codeLenInByte = 7020
; TotalNumSgprs: 74
; NumVgprs: 28
; ScratchSize: 0
; MemoryBound: 0
; FloatMode: 240
; IeeeMode: 1
; LDSByteSize: 0 bytes/workgroup (compile time only)
; SGPRBlocks: 0
; VGPRBlocks: 3
; NumSGPRsForWavesPerEU: 74
; NumVGPRsForWavesPerEU: 28
; Occupancy: 16
; WaveLimiterHint : 0
; COMPUTE_PGM_RSRC2:SCRATCH_EN: 0
; COMPUTE_PGM_RSRC2:USER_SGPR: 2
; COMPUTE_PGM_RSRC2:TRAP_HANDLER: 0
; COMPUTE_PGM_RSRC2:TGID_X_EN: 1
; COMPUTE_PGM_RSRC2:TGID_Y_EN: 0
; COMPUTE_PGM_RSRC2:TGID_Z_EN: 0
; COMPUTE_PGM_RSRC2:TIDIG_COMP_CNT: 0
	.section	.AMDGPU.gpr_maximums,"",@progbits
	.set amdgpu.max_num_vgpr, 0
	.set amdgpu.max_num_agpr, 0
	.set amdgpu.max_num_sgpr, 0
	.section	.AMDGPU.csdata,"",@progbits
	.type	__hip_cuid_61a87957ad51791f,@object ; @__hip_cuid_61a87957ad51791f
	.section	.bss,"aw",@nobits
	.globl	__hip_cuid_61a87957ad51791f
__hip_cuid_61a87957ad51791f:
	.byte	0                               ; 0x0
	.size	__hip_cuid_61a87957ad51791f, 1

	.ident	"AMD clang version 22.0.0git (https://github.com/RadeonOpenCompute/llvm-project roc-7.2.4 26084 f58b06dce1f9c15707c5f808fd002e18c2accf7e)"
	.section	".note.GNU-stack","",@progbits
	.addrsig
	.addrsig_sym __hip_cuid_61a87957ad51791f
	.amdgpu_metadata
---
amdhsa.kernels:
  - .args:
      - .offset:         0
        .size:           216
        .value_kind:     by_value
      - .offset:         216
        .size:           216
        .value_kind:     by_value
      - .offset:         432
        .size:           8
        .value_kind:     by_value
      - .offset:         440
        .size:           8
        .value_kind:     by_value
      - .offset:         448
        .size:           4
        .value_kind:     by_value
      - .offset:         456
        .size:           4
        .value_kind:     hidden_block_count_x
      - .offset:         460
        .size:           4
        .value_kind:     hidden_block_count_y
      - .offset:         464
        .size:           4
        .value_kind:     hidden_block_count_z
      - .offset:         468
        .size:           2
        .value_kind:     hidden_group_size_x
      - .offset:         470
        .size:           2
        .value_kind:     hidden_group_size_y
      - .offset:         472
        .size:           2
        .value_kind:     hidden_group_size_z
      - .offset:         474
        .size:           2
        .value_kind:     hidden_remainder_x
      - .offset:         476
        .size:           2
        .value_kind:     hidden_remainder_y
      - .offset:         478
        .size:           2
        .value_kind:     hidden_remainder_z
      - .offset:         496
        .size:           8
        .value_kind:     hidden_global_offset_x
      - .offset:         504
        .size:           8
        .value_kind:     hidden_global_offset_y
      - .offset:         512
        .size:           8
        .value_kind:     hidden_global_offset_z
      - .offset:         520
        .size:           2
        .value_kind:     hidden_grid_dims
    .group_segment_fixed_size: 0
    .kernarg_segment_align: 8
    .kernarg_segment_size: 712
    .language:       OpenCL C
    .language_version:
      - 2
      - 0
    .max_flat_workgroup_size: 128
    .name:           _ZN2at6native16triu_tril_kernelIhiLb0ELi4ELb1EEEvNS_4cuda6detail10TensorInfoIT_T0_EENS4_IKS5_S6_EEllS6_
    .private_segment_fixed_size: 0
    .sgpr_count:     68
    .sgpr_spill_count: 0
    .symbol:         _ZN2at6native16triu_tril_kernelIhiLb0ELi4ELb1EEEvNS_4cuda6detail10TensorInfoIT_T0_EENS4_IKS5_S6_EEllS6_.kd
    .uniform_work_group_size: 1
    .uses_dynamic_stack: false
    .vgpr_count:     33
    .vgpr_spill_count: 0
    .wavefront_size: 32
    .workgroup_processor_mode: 1
  - .args:
      - .offset:         0
        .size:           216
        .value_kind:     by_value
      - .offset:         216
        .size:           216
        .value_kind:     by_value
      - .offset:         432
        .size:           8
        .value_kind:     by_value
      - .offset:         440
        .size:           8
        .value_kind:     by_value
      - .offset:         448
        .size:           4
        .value_kind:     by_value
      - .offset:         456
        .size:           4
        .value_kind:     hidden_block_count_x
      - .offset:         460
        .size:           4
        .value_kind:     hidden_block_count_y
      - .offset:         464
        .size:           4
        .value_kind:     hidden_block_count_z
      - .offset:         468
        .size:           2
        .value_kind:     hidden_group_size_x
      - .offset:         470
        .size:           2
        .value_kind:     hidden_group_size_y
      - .offset:         472
        .size:           2
        .value_kind:     hidden_group_size_z
      - .offset:         474
        .size:           2
        .value_kind:     hidden_remainder_x
      - .offset:         476
        .size:           2
        .value_kind:     hidden_remainder_y
      - .offset:         478
        .size:           2
        .value_kind:     hidden_remainder_z
      - .offset:         496
        .size:           8
        .value_kind:     hidden_global_offset_x
      - .offset:         504
        .size:           8
        .value_kind:     hidden_global_offset_y
      - .offset:         512
        .size:           8
        .value_kind:     hidden_global_offset_z
      - .offset:         520
        .size:           2
        .value_kind:     hidden_grid_dims
    .group_segment_fixed_size: 0
    .kernarg_segment_align: 8
    .kernarg_segment_size: 712
    .language:       OpenCL C
    .language_version:
      - 2
      - 0
    .max_flat_workgroup_size: 128
    .name:           _ZN2at6native16triu_tril_kernelIhiLb0ELi4ELb0EEEvNS_4cuda6detail10TensorInfoIT_T0_EENS4_IKS5_S6_EEllS6_
    .private_segment_fixed_size: 0
    .sgpr_count:     80
    .sgpr_spill_count: 0
    .symbol:         _ZN2at6native16triu_tril_kernelIhiLb0ELi4ELb0EEEvNS_4cuda6detail10TensorInfoIT_T0_EENS4_IKS5_S6_EEllS6_.kd
    .uniform_work_group_size: 1
    .uses_dynamic_stack: false
    .vgpr_count:     26
    .vgpr_spill_count: 0
    .wavefront_size: 32
    .workgroup_processor_mode: 1
  - .args:
      - .offset:         0
        .size:           416
        .value_kind:     by_value
      - .offset:         416
        .size:           416
        .value_kind:     by_value
      - .offset:         832
        .size:           8
        .value_kind:     by_value
      - .offset:         840
        .size:           8
        .value_kind:     by_value
      - .offset:         848
        .size:           8
        .value_kind:     by_value
      - .offset:         856
        .size:           4
        .value_kind:     hidden_block_count_x
      - .offset:         860
        .size:           4
        .value_kind:     hidden_block_count_y
      - .offset:         864
        .size:           4
        .value_kind:     hidden_block_count_z
      - .offset:         868
        .size:           2
        .value_kind:     hidden_group_size_x
      - .offset:         870
        .size:           2
        .value_kind:     hidden_group_size_y
      - .offset:         872
        .size:           2
        .value_kind:     hidden_group_size_z
      - .offset:         874
        .size:           2
        .value_kind:     hidden_remainder_x
      - .offset:         876
        .size:           2
        .value_kind:     hidden_remainder_y
      - .offset:         878
        .size:           2
        .value_kind:     hidden_remainder_z
      - .offset:         896
        .size:           8
        .value_kind:     hidden_global_offset_x
      - .offset:         904
        .size:           8
        .value_kind:     hidden_global_offset_y
      - .offset:         912
        .size:           8
        .value_kind:     hidden_global_offset_z
      - .offset:         920
        .size:           2
        .value_kind:     hidden_grid_dims
    .group_segment_fixed_size: 0
    .kernarg_segment_align: 8
    .kernarg_segment_size: 1112
    .language:       OpenCL C
    .language_version:
      - 2
      - 0
    .max_flat_workgroup_size: 128
    .name:           _ZN2at6native16triu_tril_kernelIhlLb0ELi4ELb1EEEvNS_4cuda6detail10TensorInfoIT_T0_EENS4_IKS5_S6_EEllS6_
    .private_segment_fixed_size: 0
    .sgpr_count:     77
    .sgpr_spill_count: 0
    .symbol:         _ZN2at6native16triu_tril_kernelIhlLb0ELi4ELb1EEEvNS_4cuda6detail10TensorInfoIT_T0_EENS4_IKS5_S6_EEllS6_.kd
    .uniform_work_group_size: 1
    .uses_dynamic_stack: false
    .vgpr_count:     32
    .vgpr_spill_count: 0
    .wavefront_size: 32
    .workgroup_processor_mode: 1
  - .args:
      - .offset:         0
        .size:           416
        .value_kind:     by_value
      - .offset:         416
        .size:           416
        .value_kind:     by_value
      - .offset:         832
        .size:           8
        .value_kind:     by_value
      - .offset:         840
        .size:           8
        .value_kind:     by_value
      - .offset:         848
        .size:           8
        .value_kind:     by_value
      - .offset:         856
        .size:           4
        .value_kind:     hidden_block_count_x
      - .offset:         860
        .size:           4
        .value_kind:     hidden_block_count_y
      - .offset:         864
        .size:           4
        .value_kind:     hidden_block_count_z
      - .offset:         868
        .size:           2
        .value_kind:     hidden_group_size_x
      - .offset:         870
        .size:           2
        .value_kind:     hidden_group_size_y
      - .offset:         872
        .size:           2
        .value_kind:     hidden_group_size_z
      - .offset:         874
        .size:           2
        .value_kind:     hidden_remainder_x
      - .offset:         876
        .size:           2
        .value_kind:     hidden_remainder_y
      - .offset:         878
        .size:           2
        .value_kind:     hidden_remainder_z
      - .offset:         896
        .size:           8
        .value_kind:     hidden_global_offset_x
      - .offset:         904
        .size:           8
        .value_kind:     hidden_global_offset_y
      - .offset:         912
        .size:           8
        .value_kind:     hidden_global_offset_z
      - .offset:         920
        .size:           2
        .value_kind:     hidden_grid_dims
    .group_segment_fixed_size: 0
    .kernarg_segment_align: 8
    .kernarg_segment_size: 1112
    .language:       OpenCL C
    .language_version:
      - 2
      - 0
    .max_flat_workgroup_size: 128
    .name:           _ZN2at6native16triu_tril_kernelIhlLb0ELi4ELb0EEEvNS_4cuda6detail10TensorInfoIT_T0_EENS4_IKS5_S6_EEllS6_
    .private_segment_fixed_size: 0
    .sgpr_count:     78
    .sgpr_spill_count: 0
    .symbol:         _ZN2at6native16triu_tril_kernelIhlLb0ELi4ELb0EEEvNS_4cuda6detail10TensorInfoIT_T0_EENS4_IKS5_S6_EEllS6_.kd
    .uniform_work_group_size: 1
    .uses_dynamic_stack: false
    .vgpr_count:     28
    .vgpr_spill_count: 0
    .wavefront_size: 32
    .workgroup_processor_mode: 1
  - .args:
      - .offset:         0
        .size:           216
        .value_kind:     by_value
      - .offset:         216
        .size:           216
        .value_kind:     by_value
      - .offset:         432
        .size:           8
        .value_kind:     by_value
      - .offset:         440
        .size:           8
        .value_kind:     by_value
      - .offset:         448
        .size:           4
        .value_kind:     by_value
      - .offset:         456
        .size:           4
        .value_kind:     hidden_block_count_x
      - .offset:         460
        .size:           4
        .value_kind:     hidden_block_count_y
      - .offset:         464
        .size:           4
        .value_kind:     hidden_block_count_z
      - .offset:         468
        .size:           2
        .value_kind:     hidden_group_size_x
      - .offset:         470
        .size:           2
        .value_kind:     hidden_group_size_y
      - .offset:         472
        .size:           2
        .value_kind:     hidden_group_size_z
      - .offset:         474
        .size:           2
        .value_kind:     hidden_remainder_x
      - .offset:         476
        .size:           2
        .value_kind:     hidden_remainder_y
      - .offset:         478
        .size:           2
        .value_kind:     hidden_remainder_z
      - .offset:         496
        .size:           8
        .value_kind:     hidden_global_offset_x
      - .offset:         504
        .size:           8
        .value_kind:     hidden_global_offset_y
      - .offset:         512
        .size:           8
        .value_kind:     hidden_global_offset_z
      - .offset:         520
        .size:           2
        .value_kind:     hidden_grid_dims
    .group_segment_fixed_size: 0
    .kernarg_segment_align: 8
    .kernarg_segment_size: 712
    .language:       OpenCL C
    .language_version:
      - 2
      - 0
    .max_flat_workgroup_size: 128
    .name:           _ZN2at6native16triu_tril_kernelIaiLb0ELi4ELb1EEEvNS_4cuda6detail10TensorInfoIT_T0_EENS4_IKS5_S6_EEllS6_
    .private_segment_fixed_size: 0
    .sgpr_count:     68
    .sgpr_spill_count: 0
    .symbol:         _ZN2at6native16triu_tril_kernelIaiLb0ELi4ELb1EEEvNS_4cuda6detail10TensorInfoIT_T0_EENS4_IKS5_S6_EEllS6_.kd
    .uniform_work_group_size: 1
    .uses_dynamic_stack: false
    .vgpr_count:     33
    .vgpr_spill_count: 0
    .wavefront_size: 32
    .workgroup_processor_mode: 1
  - .args:
      - .offset:         0
        .size:           216
        .value_kind:     by_value
      - .offset:         216
        .size:           216
        .value_kind:     by_value
      - .offset:         432
        .size:           8
        .value_kind:     by_value
      - .offset:         440
        .size:           8
        .value_kind:     by_value
      - .offset:         448
        .size:           4
        .value_kind:     by_value
      - .offset:         456
        .size:           4
        .value_kind:     hidden_block_count_x
      - .offset:         460
        .size:           4
        .value_kind:     hidden_block_count_y
      - .offset:         464
        .size:           4
        .value_kind:     hidden_block_count_z
      - .offset:         468
        .size:           2
        .value_kind:     hidden_group_size_x
      - .offset:         470
        .size:           2
        .value_kind:     hidden_group_size_y
      - .offset:         472
        .size:           2
        .value_kind:     hidden_group_size_z
      - .offset:         474
        .size:           2
        .value_kind:     hidden_remainder_x
      - .offset:         476
        .size:           2
        .value_kind:     hidden_remainder_y
      - .offset:         478
        .size:           2
        .value_kind:     hidden_remainder_z
      - .offset:         496
        .size:           8
        .value_kind:     hidden_global_offset_x
      - .offset:         504
        .size:           8
        .value_kind:     hidden_global_offset_y
      - .offset:         512
        .size:           8
        .value_kind:     hidden_global_offset_z
      - .offset:         520
        .size:           2
        .value_kind:     hidden_grid_dims
    .group_segment_fixed_size: 0
    .kernarg_segment_align: 8
    .kernarg_segment_size: 712
    .language:       OpenCL C
    .language_version:
      - 2
      - 0
    .max_flat_workgroup_size: 128
    .name:           _ZN2at6native16triu_tril_kernelIaiLb0ELi4ELb0EEEvNS_4cuda6detail10TensorInfoIT_T0_EENS4_IKS5_S6_EEllS6_
    .private_segment_fixed_size: 0
    .sgpr_count:     80
    .sgpr_spill_count: 0
    .symbol:         _ZN2at6native16triu_tril_kernelIaiLb0ELi4ELb0EEEvNS_4cuda6detail10TensorInfoIT_T0_EENS4_IKS5_S6_EEllS6_.kd
    .uniform_work_group_size: 1
    .uses_dynamic_stack: false
    .vgpr_count:     26
    .vgpr_spill_count: 0
    .wavefront_size: 32
    .workgroup_processor_mode: 1
  - .args:
      - .offset:         0
        .size:           416
        .value_kind:     by_value
      - .offset:         416
        .size:           416
        .value_kind:     by_value
      - .offset:         832
        .size:           8
        .value_kind:     by_value
      - .offset:         840
        .size:           8
        .value_kind:     by_value
      - .offset:         848
        .size:           8
        .value_kind:     by_value
      - .offset:         856
        .size:           4
        .value_kind:     hidden_block_count_x
      - .offset:         860
        .size:           4
        .value_kind:     hidden_block_count_y
      - .offset:         864
        .size:           4
        .value_kind:     hidden_block_count_z
      - .offset:         868
        .size:           2
        .value_kind:     hidden_group_size_x
      - .offset:         870
        .size:           2
        .value_kind:     hidden_group_size_y
      - .offset:         872
        .size:           2
        .value_kind:     hidden_group_size_z
      - .offset:         874
        .size:           2
        .value_kind:     hidden_remainder_x
      - .offset:         876
        .size:           2
        .value_kind:     hidden_remainder_y
      - .offset:         878
        .size:           2
        .value_kind:     hidden_remainder_z
      - .offset:         896
        .size:           8
        .value_kind:     hidden_global_offset_x
      - .offset:         904
        .size:           8
        .value_kind:     hidden_global_offset_y
      - .offset:         912
        .size:           8
        .value_kind:     hidden_global_offset_z
      - .offset:         920
        .size:           2
        .value_kind:     hidden_grid_dims
    .group_segment_fixed_size: 0
    .kernarg_segment_align: 8
    .kernarg_segment_size: 1112
    .language:       OpenCL C
    .language_version:
      - 2
      - 0
    .max_flat_workgroup_size: 128
    .name:           _ZN2at6native16triu_tril_kernelIalLb0ELi4ELb1EEEvNS_4cuda6detail10TensorInfoIT_T0_EENS4_IKS5_S6_EEllS6_
    .private_segment_fixed_size: 0
    .sgpr_count:     77
    .sgpr_spill_count: 0
    .symbol:         _ZN2at6native16triu_tril_kernelIalLb0ELi4ELb1EEEvNS_4cuda6detail10TensorInfoIT_T0_EENS4_IKS5_S6_EEllS6_.kd
    .uniform_work_group_size: 1
    .uses_dynamic_stack: false
    .vgpr_count:     32
    .vgpr_spill_count: 0
    .wavefront_size: 32
    .workgroup_processor_mode: 1
  - .args:
      - .offset:         0
        .size:           416
        .value_kind:     by_value
      - .offset:         416
        .size:           416
        .value_kind:     by_value
      - .offset:         832
        .size:           8
        .value_kind:     by_value
      - .offset:         840
        .size:           8
        .value_kind:     by_value
      - .offset:         848
        .size:           8
        .value_kind:     by_value
      - .offset:         856
        .size:           4
        .value_kind:     hidden_block_count_x
      - .offset:         860
        .size:           4
        .value_kind:     hidden_block_count_y
      - .offset:         864
        .size:           4
        .value_kind:     hidden_block_count_z
      - .offset:         868
        .size:           2
        .value_kind:     hidden_group_size_x
      - .offset:         870
        .size:           2
        .value_kind:     hidden_group_size_y
      - .offset:         872
        .size:           2
        .value_kind:     hidden_group_size_z
      - .offset:         874
        .size:           2
        .value_kind:     hidden_remainder_x
      - .offset:         876
        .size:           2
        .value_kind:     hidden_remainder_y
      - .offset:         878
        .size:           2
        .value_kind:     hidden_remainder_z
      - .offset:         896
        .size:           8
        .value_kind:     hidden_global_offset_x
      - .offset:         904
        .size:           8
        .value_kind:     hidden_global_offset_y
      - .offset:         912
        .size:           8
        .value_kind:     hidden_global_offset_z
      - .offset:         920
        .size:           2
        .value_kind:     hidden_grid_dims
    .group_segment_fixed_size: 0
    .kernarg_segment_align: 8
    .kernarg_segment_size: 1112
    .language:       OpenCL C
    .language_version:
      - 2
      - 0
    .max_flat_workgroup_size: 128
    .name:           _ZN2at6native16triu_tril_kernelIalLb0ELi4ELb0EEEvNS_4cuda6detail10TensorInfoIT_T0_EENS4_IKS5_S6_EEllS6_
    .private_segment_fixed_size: 0
    .sgpr_count:     78
    .sgpr_spill_count: 0
    .symbol:         _ZN2at6native16triu_tril_kernelIalLb0ELi4ELb0EEEvNS_4cuda6detail10TensorInfoIT_T0_EENS4_IKS5_S6_EEllS6_.kd
    .uniform_work_group_size: 1
    .uses_dynamic_stack: false
    .vgpr_count:     28
    .vgpr_spill_count: 0
    .wavefront_size: 32
    .workgroup_processor_mode: 1
  - .args:
      - .offset:         0
        .size:           216
        .value_kind:     by_value
      - .offset:         216
        .size:           216
        .value_kind:     by_value
      - .offset:         432
        .size:           8
        .value_kind:     by_value
      - .offset:         440
        .size:           8
        .value_kind:     by_value
      - .offset:         448
        .size:           4
        .value_kind:     by_value
      - .offset:         456
        .size:           4
        .value_kind:     hidden_block_count_x
      - .offset:         460
        .size:           4
        .value_kind:     hidden_block_count_y
      - .offset:         464
        .size:           4
        .value_kind:     hidden_block_count_z
      - .offset:         468
        .size:           2
        .value_kind:     hidden_group_size_x
      - .offset:         470
        .size:           2
        .value_kind:     hidden_group_size_y
      - .offset:         472
        .size:           2
        .value_kind:     hidden_group_size_z
      - .offset:         474
        .size:           2
        .value_kind:     hidden_remainder_x
      - .offset:         476
        .size:           2
        .value_kind:     hidden_remainder_y
      - .offset:         478
        .size:           2
        .value_kind:     hidden_remainder_z
      - .offset:         496
        .size:           8
        .value_kind:     hidden_global_offset_x
      - .offset:         504
        .size:           8
        .value_kind:     hidden_global_offset_y
      - .offset:         512
        .size:           8
        .value_kind:     hidden_global_offset_z
      - .offset:         520
        .size:           2
        .value_kind:     hidden_grid_dims
    .group_segment_fixed_size: 0
    .kernarg_segment_align: 8
    .kernarg_segment_size: 712
    .language:       OpenCL C
    .language_version:
      - 2
      - 0
    .max_flat_workgroup_size: 128
    .name:           _ZN2at6native16triu_tril_kernelIiiLb0ELi2ELb1EEEvNS_4cuda6detail10TensorInfoIT_T0_EENS4_IKS5_S6_EEllS6_
    .private_segment_fixed_size: 0
    .sgpr_count:     68
    .sgpr_spill_count: 0
    .symbol:         _ZN2at6native16triu_tril_kernelIiiLb0ELi2ELb1EEEvNS_4cuda6detail10TensorInfoIT_T0_EENS4_IKS5_S6_EEllS6_.kd
    .uniform_work_group_size: 1
    .uses_dynamic_stack: false
    .vgpr_count:     33
    .vgpr_spill_count: 0
    .wavefront_size: 32
    .workgroup_processor_mode: 1
  - .args:
      - .offset:         0
        .size:           216
        .value_kind:     by_value
      - .offset:         216
        .size:           216
        .value_kind:     by_value
      - .offset:         432
        .size:           8
        .value_kind:     by_value
      - .offset:         440
        .size:           8
        .value_kind:     by_value
      - .offset:         448
        .size:           4
        .value_kind:     by_value
      - .offset:         456
        .size:           4
        .value_kind:     hidden_block_count_x
      - .offset:         460
        .size:           4
        .value_kind:     hidden_block_count_y
      - .offset:         464
        .size:           4
        .value_kind:     hidden_block_count_z
      - .offset:         468
        .size:           2
        .value_kind:     hidden_group_size_x
      - .offset:         470
        .size:           2
        .value_kind:     hidden_group_size_y
      - .offset:         472
        .size:           2
        .value_kind:     hidden_group_size_z
      - .offset:         474
        .size:           2
        .value_kind:     hidden_remainder_x
      - .offset:         476
        .size:           2
        .value_kind:     hidden_remainder_y
      - .offset:         478
        .size:           2
        .value_kind:     hidden_remainder_z
      - .offset:         496
        .size:           8
        .value_kind:     hidden_global_offset_x
      - .offset:         504
        .size:           8
        .value_kind:     hidden_global_offset_y
      - .offset:         512
        .size:           8
        .value_kind:     hidden_global_offset_z
      - .offset:         520
        .size:           2
        .value_kind:     hidden_grid_dims
    .group_segment_fixed_size: 0
    .kernarg_segment_align: 8
    .kernarg_segment_size: 712
    .language:       OpenCL C
    .language_version:
      - 2
      - 0
    .max_flat_workgroup_size: 128
    .name:           _ZN2at6native16triu_tril_kernelIiiLb0ELi2ELb0EEEvNS_4cuda6detail10TensorInfoIT_T0_EENS4_IKS5_S6_EEllS6_
    .private_segment_fixed_size: 0
    .sgpr_count:     70
    .sgpr_spill_count: 0
    .symbol:         _ZN2at6native16triu_tril_kernelIiiLb0ELi2ELb0EEEvNS_4cuda6detail10TensorInfoIT_T0_EENS4_IKS5_S6_EEllS6_.kd
    .uniform_work_group_size: 1
    .uses_dynamic_stack: false
    .vgpr_count:     26
    .vgpr_spill_count: 0
    .wavefront_size: 32
    .workgroup_processor_mode: 1
  - .args:
      - .offset:         0
        .size:           416
        .value_kind:     by_value
      - .offset:         416
        .size:           416
        .value_kind:     by_value
      - .offset:         832
        .size:           8
        .value_kind:     by_value
      - .offset:         840
        .size:           8
        .value_kind:     by_value
      - .offset:         848
        .size:           8
        .value_kind:     by_value
      - .offset:         856
        .size:           4
        .value_kind:     hidden_block_count_x
      - .offset:         860
        .size:           4
        .value_kind:     hidden_block_count_y
      - .offset:         864
        .size:           4
        .value_kind:     hidden_block_count_z
      - .offset:         868
        .size:           2
        .value_kind:     hidden_group_size_x
      - .offset:         870
        .size:           2
        .value_kind:     hidden_group_size_y
      - .offset:         872
        .size:           2
        .value_kind:     hidden_group_size_z
      - .offset:         874
        .size:           2
        .value_kind:     hidden_remainder_x
      - .offset:         876
        .size:           2
        .value_kind:     hidden_remainder_y
      - .offset:         878
        .size:           2
        .value_kind:     hidden_remainder_z
      - .offset:         896
        .size:           8
        .value_kind:     hidden_global_offset_x
      - .offset:         904
        .size:           8
        .value_kind:     hidden_global_offset_y
      - .offset:         912
        .size:           8
        .value_kind:     hidden_global_offset_z
      - .offset:         920
        .size:           2
        .value_kind:     hidden_grid_dims
    .group_segment_fixed_size: 0
    .kernarg_segment_align: 8
    .kernarg_segment_size: 1112
    .language:       OpenCL C
    .language_version:
      - 2
      - 0
    .max_flat_workgroup_size: 128
    .name:           _ZN2at6native16triu_tril_kernelIilLb0ELi2ELb1EEEvNS_4cuda6detail10TensorInfoIT_T0_EENS4_IKS5_S6_EEllS6_
    .private_segment_fixed_size: 0
    .sgpr_count:     77
    .sgpr_spill_count: 0
    .symbol:         _ZN2at6native16triu_tril_kernelIilLb0ELi2ELb1EEEvNS_4cuda6detail10TensorInfoIT_T0_EENS4_IKS5_S6_EEllS6_.kd
    .uniform_work_group_size: 1
    .uses_dynamic_stack: false
    .vgpr_count:     32
    .vgpr_spill_count: 0
    .wavefront_size: 32
    .workgroup_processor_mode: 1
  - .args:
      - .offset:         0
        .size:           416
        .value_kind:     by_value
      - .offset:         416
        .size:           416
        .value_kind:     by_value
      - .offset:         832
        .size:           8
        .value_kind:     by_value
      - .offset:         840
        .size:           8
        .value_kind:     by_value
      - .offset:         848
        .size:           8
        .value_kind:     by_value
      - .offset:         856
        .size:           4
        .value_kind:     hidden_block_count_x
      - .offset:         860
        .size:           4
        .value_kind:     hidden_block_count_y
      - .offset:         864
        .size:           4
        .value_kind:     hidden_block_count_z
      - .offset:         868
        .size:           2
        .value_kind:     hidden_group_size_x
      - .offset:         870
        .size:           2
        .value_kind:     hidden_group_size_y
      - .offset:         872
        .size:           2
        .value_kind:     hidden_group_size_z
      - .offset:         874
        .size:           2
        .value_kind:     hidden_remainder_x
      - .offset:         876
        .size:           2
        .value_kind:     hidden_remainder_y
      - .offset:         878
        .size:           2
        .value_kind:     hidden_remainder_z
      - .offset:         896
        .size:           8
        .value_kind:     hidden_global_offset_x
      - .offset:         904
        .size:           8
        .value_kind:     hidden_global_offset_y
      - .offset:         912
        .size:           8
        .value_kind:     hidden_global_offset_z
      - .offset:         920
        .size:           2
        .value_kind:     hidden_grid_dims
    .group_segment_fixed_size: 0
    .kernarg_segment_align: 8
    .kernarg_segment_size: 1112
    .language:       OpenCL C
    .language_version:
      - 2
      - 0
    .max_flat_workgroup_size: 128
    .name:           _ZN2at6native16triu_tril_kernelIilLb0ELi2ELb0EEEvNS_4cuda6detail10TensorInfoIT_T0_EENS4_IKS5_S6_EEllS6_
    .private_segment_fixed_size: 0
    .sgpr_count:     74
    .sgpr_spill_count: 0
    .symbol:         _ZN2at6native16triu_tril_kernelIilLb0ELi2ELb0EEEvNS_4cuda6detail10TensorInfoIT_T0_EENS4_IKS5_S6_EEllS6_.kd
    .uniform_work_group_size: 1
    .uses_dynamic_stack: false
    .vgpr_count:     28
    .vgpr_spill_count: 0
    .wavefront_size: 32
    .workgroup_processor_mode: 1
  - .args:
      - .offset:         0
        .size:           216
        .value_kind:     by_value
      - .offset:         216
        .size:           216
        .value_kind:     by_value
      - .offset:         432
        .size:           8
        .value_kind:     by_value
      - .offset:         440
        .size:           8
        .value_kind:     by_value
      - .offset:         448
        .size:           4
        .value_kind:     by_value
      - .offset:         456
        .size:           4
        .value_kind:     hidden_block_count_x
      - .offset:         460
        .size:           4
        .value_kind:     hidden_block_count_y
      - .offset:         464
        .size:           4
        .value_kind:     hidden_block_count_z
      - .offset:         468
        .size:           2
        .value_kind:     hidden_group_size_x
      - .offset:         470
        .size:           2
        .value_kind:     hidden_group_size_y
      - .offset:         472
        .size:           2
        .value_kind:     hidden_group_size_z
      - .offset:         474
        .size:           2
        .value_kind:     hidden_remainder_x
      - .offset:         476
        .size:           2
        .value_kind:     hidden_remainder_y
      - .offset:         478
        .size:           2
        .value_kind:     hidden_remainder_z
      - .offset:         496
        .size:           8
        .value_kind:     hidden_global_offset_x
      - .offset:         504
        .size:           8
        .value_kind:     hidden_global_offset_y
      - .offset:         512
        .size:           8
        .value_kind:     hidden_global_offset_z
      - .offset:         520
        .size:           2
        .value_kind:     hidden_grid_dims
    .group_segment_fixed_size: 0
    .kernarg_segment_align: 8
    .kernarg_segment_size: 712
    .language:       OpenCL C
    .language_version:
      - 2
      - 0
    .max_flat_workgroup_size: 128
    .name:           _ZN2at6native16triu_tril_kernelIliLb0ELi2ELb1EEEvNS_4cuda6detail10TensorInfoIT_T0_EENS4_IKS5_S6_EEllS6_
    .private_segment_fixed_size: 0
    .sgpr_count:     68
    .sgpr_spill_count: 0
    .symbol:         _ZN2at6native16triu_tril_kernelIliLb0ELi2ELb1EEEvNS_4cuda6detail10TensorInfoIT_T0_EENS4_IKS5_S6_EEllS6_.kd
    .uniform_work_group_size: 1
    .uses_dynamic_stack: false
    .vgpr_count:     33
    .vgpr_spill_count: 0
    .wavefront_size: 32
    .workgroup_processor_mode: 1
  - .args:
      - .offset:         0
        .size:           216
        .value_kind:     by_value
      - .offset:         216
        .size:           216
        .value_kind:     by_value
      - .offset:         432
        .size:           8
        .value_kind:     by_value
      - .offset:         440
        .size:           8
        .value_kind:     by_value
      - .offset:         448
        .size:           4
        .value_kind:     by_value
      - .offset:         456
        .size:           4
        .value_kind:     hidden_block_count_x
      - .offset:         460
        .size:           4
        .value_kind:     hidden_block_count_y
      - .offset:         464
        .size:           4
        .value_kind:     hidden_block_count_z
      - .offset:         468
        .size:           2
        .value_kind:     hidden_group_size_x
      - .offset:         470
        .size:           2
        .value_kind:     hidden_group_size_y
      - .offset:         472
        .size:           2
        .value_kind:     hidden_group_size_z
      - .offset:         474
        .size:           2
        .value_kind:     hidden_remainder_x
      - .offset:         476
        .size:           2
        .value_kind:     hidden_remainder_y
      - .offset:         478
        .size:           2
        .value_kind:     hidden_remainder_z
      - .offset:         496
        .size:           8
        .value_kind:     hidden_global_offset_x
      - .offset:         504
        .size:           8
        .value_kind:     hidden_global_offset_y
      - .offset:         512
        .size:           8
        .value_kind:     hidden_global_offset_z
      - .offset:         520
        .size:           2
        .value_kind:     hidden_grid_dims
    .group_segment_fixed_size: 0
    .kernarg_segment_align: 8
    .kernarg_segment_size: 712
    .language:       OpenCL C
    .language_version:
      - 2
      - 0
    .max_flat_workgroup_size: 128
    .name:           _ZN2at6native16triu_tril_kernelIliLb0ELi2ELb0EEEvNS_4cuda6detail10TensorInfoIT_T0_EENS4_IKS5_S6_EEllS6_
    .private_segment_fixed_size: 0
    .sgpr_count:     70
    .sgpr_spill_count: 0
    .symbol:         _ZN2at6native16triu_tril_kernelIliLb0ELi2ELb0EEEvNS_4cuda6detail10TensorInfoIT_T0_EENS4_IKS5_S6_EEllS6_.kd
    .uniform_work_group_size: 1
    .uses_dynamic_stack: false
    .vgpr_count:     26
    .vgpr_spill_count: 0
    .wavefront_size: 32
    .workgroup_processor_mode: 1
  - .args:
      - .offset:         0
        .size:           416
        .value_kind:     by_value
      - .offset:         416
        .size:           416
        .value_kind:     by_value
      - .offset:         832
        .size:           8
        .value_kind:     by_value
      - .offset:         840
        .size:           8
        .value_kind:     by_value
      - .offset:         848
        .size:           8
        .value_kind:     by_value
      - .offset:         856
        .size:           4
        .value_kind:     hidden_block_count_x
      - .offset:         860
        .size:           4
        .value_kind:     hidden_block_count_y
      - .offset:         864
        .size:           4
        .value_kind:     hidden_block_count_z
      - .offset:         868
        .size:           2
        .value_kind:     hidden_group_size_x
      - .offset:         870
        .size:           2
        .value_kind:     hidden_group_size_y
      - .offset:         872
        .size:           2
        .value_kind:     hidden_group_size_z
      - .offset:         874
        .size:           2
        .value_kind:     hidden_remainder_x
      - .offset:         876
        .size:           2
        .value_kind:     hidden_remainder_y
      - .offset:         878
        .size:           2
        .value_kind:     hidden_remainder_z
      - .offset:         896
        .size:           8
        .value_kind:     hidden_global_offset_x
      - .offset:         904
        .size:           8
        .value_kind:     hidden_global_offset_y
      - .offset:         912
        .size:           8
        .value_kind:     hidden_global_offset_z
      - .offset:         920
        .size:           2
        .value_kind:     hidden_grid_dims
    .group_segment_fixed_size: 0
    .kernarg_segment_align: 8
    .kernarg_segment_size: 1112
    .language:       OpenCL C
    .language_version:
      - 2
      - 0
    .max_flat_workgroup_size: 128
    .name:           _ZN2at6native16triu_tril_kernelIllLb0ELi2ELb1EEEvNS_4cuda6detail10TensorInfoIT_T0_EENS4_IKS5_S6_EEllS6_
    .private_segment_fixed_size: 0
    .sgpr_count:     77
    .sgpr_spill_count: 0
    .symbol:         _ZN2at6native16triu_tril_kernelIllLb0ELi2ELb1EEEvNS_4cuda6detail10TensorInfoIT_T0_EENS4_IKS5_S6_EEllS6_.kd
    .uniform_work_group_size: 1
    .uses_dynamic_stack: false
    .vgpr_count:     32
    .vgpr_spill_count: 0
    .wavefront_size: 32
    .workgroup_processor_mode: 1
  - .args:
      - .offset:         0
        .size:           416
        .value_kind:     by_value
      - .offset:         416
        .size:           416
        .value_kind:     by_value
      - .offset:         832
        .size:           8
        .value_kind:     by_value
      - .offset:         840
        .size:           8
        .value_kind:     by_value
      - .offset:         848
        .size:           8
        .value_kind:     by_value
      - .offset:         856
        .size:           4
        .value_kind:     hidden_block_count_x
      - .offset:         860
        .size:           4
        .value_kind:     hidden_block_count_y
      - .offset:         864
        .size:           4
        .value_kind:     hidden_block_count_z
      - .offset:         868
        .size:           2
        .value_kind:     hidden_group_size_x
      - .offset:         870
        .size:           2
        .value_kind:     hidden_group_size_y
      - .offset:         872
        .size:           2
        .value_kind:     hidden_group_size_z
      - .offset:         874
        .size:           2
        .value_kind:     hidden_remainder_x
      - .offset:         876
        .size:           2
        .value_kind:     hidden_remainder_y
      - .offset:         878
        .size:           2
        .value_kind:     hidden_remainder_z
      - .offset:         896
        .size:           8
        .value_kind:     hidden_global_offset_x
      - .offset:         904
        .size:           8
        .value_kind:     hidden_global_offset_y
      - .offset:         912
        .size:           8
        .value_kind:     hidden_global_offset_z
      - .offset:         920
        .size:           2
        .value_kind:     hidden_grid_dims
    .group_segment_fixed_size: 0
    .kernarg_segment_align: 8
    .kernarg_segment_size: 1112
    .language:       OpenCL C
    .language_version:
      - 2
      - 0
    .max_flat_workgroup_size: 128
    .name:           _ZN2at6native16triu_tril_kernelIllLb0ELi2ELb0EEEvNS_4cuda6detail10TensorInfoIT_T0_EENS4_IKS5_S6_EEllS6_
    .private_segment_fixed_size: 0
    .sgpr_count:     74
    .sgpr_spill_count: 0
    .symbol:         _ZN2at6native16triu_tril_kernelIllLb0ELi2ELb0EEEvNS_4cuda6detail10TensorInfoIT_T0_EENS4_IKS5_S6_EEllS6_.kd
    .uniform_work_group_size: 1
    .uses_dynamic_stack: false
    .vgpr_count:     28
    .vgpr_spill_count: 0
    .wavefront_size: 32
    .workgroup_processor_mode: 1
  - .args:
      - .offset:         0
        .size:           216
        .value_kind:     by_value
      - .offset:         216
        .size:           216
        .value_kind:     by_value
      - .offset:         432
        .size:           8
        .value_kind:     by_value
      - .offset:         440
        .size:           8
        .value_kind:     by_value
      - .offset:         448
        .size:           4
        .value_kind:     by_value
      - .offset:         456
        .size:           4
        .value_kind:     hidden_block_count_x
      - .offset:         460
        .size:           4
        .value_kind:     hidden_block_count_y
      - .offset:         464
        .size:           4
        .value_kind:     hidden_block_count_z
      - .offset:         468
        .size:           2
        .value_kind:     hidden_group_size_x
      - .offset:         470
        .size:           2
        .value_kind:     hidden_group_size_y
      - .offset:         472
        .size:           2
        .value_kind:     hidden_group_size_z
      - .offset:         474
        .size:           2
        .value_kind:     hidden_remainder_x
      - .offset:         476
        .size:           2
        .value_kind:     hidden_remainder_y
      - .offset:         478
        .size:           2
        .value_kind:     hidden_remainder_z
      - .offset:         496
        .size:           8
        .value_kind:     hidden_global_offset_x
      - .offset:         504
        .size:           8
        .value_kind:     hidden_global_offset_y
      - .offset:         512
        .size:           8
        .value_kind:     hidden_global_offset_z
      - .offset:         520
        .size:           2
        .value_kind:     hidden_grid_dims
    .group_segment_fixed_size: 0
    .kernarg_segment_align: 8
    .kernarg_segment_size: 712
    .language:       OpenCL C
    .language_version:
      - 2
      - 0
    .max_flat_workgroup_size: 128
    .name:           _ZN2at6native16triu_tril_kernelIsiLb0ELi4ELb1EEEvNS_4cuda6detail10TensorInfoIT_T0_EENS4_IKS5_S6_EEllS6_
    .private_segment_fixed_size: 0
    .sgpr_count:     68
    .sgpr_spill_count: 0
    .symbol:         _ZN2at6native16triu_tril_kernelIsiLb0ELi4ELb1EEEvNS_4cuda6detail10TensorInfoIT_T0_EENS4_IKS5_S6_EEllS6_.kd
    .uniform_work_group_size: 1
    .uses_dynamic_stack: false
    .vgpr_count:     33
    .vgpr_spill_count: 0
    .wavefront_size: 32
    .workgroup_processor_mode: 1
  - .args:
      - .offset:         0
        .size:           216
        .value_kind:     by_value
      - .offset:         216
        .size:           216
        .value_kind:     by_value
      - .offset:         432
        .size:           8
        .value_kind:     by_value
      - .offset:         440
        .size:           8
        .value_kind:     by_value
      - .offset:         448
        .size:           4
        .value_kind:     by_value
      - .offset:         456
        .size:           4
        .value_kind:     hidden_block_count_x
      - .offset:         460
        .size:           4
        .value_kind:     hidden_block_count_y
      - .offset:         464
        .size:           4
        .value_kind:     hidden_block_count_z
      - .offset:         468
        .size:           2
        .value_kind:     hidden_group_size_x
      - .offset:         470
        .size:           2
        .value_kind:     hidden_group_size_y
      - .offset:         472
        .size:           2
        .value_kind:     hidden_group_size_z
      - .offset:         474
        .size:           2
        .value_kind:     hidden_remainder_x
      - .offset:         476
        .size:           2
        .value_kind:     hidden_remainder_y
      - .offset:         478
        .size:           2
        .value_kind:     hidden_remainder_z
      - .offset:         496
        .size:           8
        .value_kind:     hidden_global_offset_x
      - .offset:         504
        .size:           8
        .value_kind:     hidden_global_offset_y
      - .offset:         512
        .size:           8
        .value_kind:     hidden_global_offset_z
      - .offset:         520
        .size:           2
        .value_kind:     hidden_grid_dims
    .group_segment_fixed_size: 0
    .kernarg_segment_align: 8
    .kernarg_segment_size: 712
    .language:       OpenCL C
    .language_version:
      - 2
      - 0
    .max_flat_workgroup_size: 128
    .name:           _ZN2at6native16triu_tril_kernelIsiLb0ELi4ELb0EEEvNS_4cuda6detail10TensorInfoIT_T0_EENS4_IKS5_S6_EEllS6_
    .private_segment_fixed_size: 0
    .sgpr_count:     80
    .sgpr_spill_count: 0
    .symbol:         _ZN2at6native16triu_tril_kernelIsiLb0ELi4ELb0EEEvNS_4cuda6detail10TensorInfoIT_T0_EENS4_IKS5_S6_EEllS6_.kd
    .uniform_work_group_size: 1
    .uses_dynamic_stack: false
    .vgpr_count:     26
    .vgpr_spill_count: 0
    .wavefront_size: 32
    .workgroup_processor_mode: 1
  - .args:
      - .offset:         0
        .size:           416
        .value_kind:     by_value
      - .offset:         416
        .size:           416
        .value_kind:     by_value
      - .offset:         832
        .size:           8
        .value_kind:     by_value
      - .offset:         840
        .size:           8
        .value_kind:     by_value
      - .offset:         848
        .size:           8
        .value_kind:     by_value
      - .offset:         856
        .size:           4
        .value_kind:     hidden_block_count_x
      - .offset:         860
        .size:           4
        .value_kind:     hidden_block_count_y
      - .offset:         864
        .size:           4
        .value_kind:     hidden_block_count_z
      - .offset:         868
        .size:           2
        .value_kind:     hidden_group_size_x
      - .offset:         870
        .size:           2
        .value_kind:     hidden_group_size_y
      - .offset:         872
        .size:           2
        .value_kind:     hidden_group_size_z
      - .offset:         874
        .size:           2
        .value_kind:     hidden_remainder_x
      - .offset:         876
        .size:           2
        .value_kind:     hidden_remainder_y
      - .offset:         878
        .size:           2
        .value_kind:     hidden_remainder_z
      - .offset:         896
        .size:           8
        .value_kind:     hidden_global_offset_x
      - .offset:         904
        .size:           8
        .value_kind:     hidden_global_offset_y
      - .offset:         912
        .size:           8
        .value_kind:     hidden_global_offset_z
      - .offset:         920
        .size:           2
        .value_kind:     hidden_grid_dims
    .group_segment_fixed_size: 0
    .kernarg_segment_align: 8
    .kernarg_segment_size: 1112
    .language:       OpenCL C
    .language_version:
      - 2
      - 0
    .max_flat_workgroup_size: 128
    .name:           _ZN2at6native16triu_tril_kernelIslLb0ELi4ELb1EEEvNS_4cuda6detail10TensorInfoIT_T0_EENS4_IKS5_S6_EEllS6_
    .private_segment_fixed_size: 0
    .sgpr_count:     77
    .sgpr_spill_count: 0
    .symbol:         _ZN2at6native16triu_tril_kernelIslLb0ELi4ELb1EEEvNS_4cuda6detail10TensorInfoIT_T0_EENS4_IKS5_S6_EEllS6_.kd
    .uniform_work_group_size: 1
    .uses_dynamic_stack: false
    .vgpr_count:     32
    .vgpr_spill_count: 0
    .wavefront_size: 32
    .workgroup_processor_mode: 1
  - .args:
      - .offset:         0
        .size:           416
        .value_kind:     by_value
      - .offset:         416
        .size:           416
        .value_kind:     by_value
      - .offset:         832
        .size:           8
        .value_kind:     by_value
      - .offset:         840
        .size:           8
        .value_kind:     by_value
      - .offset:         848
        .size:           8
        .value_kind:     by_value
      - .offset:         856
        .size:           4
        .value_kind:     hidden_block_count_x
      - .offset:         860
        .size:           4
        .value_kind:     hidden_block_count_y
      - .offset:         864
        .size:           4
        .value_kind:     hidden_block_count_z
      - .offset:         868
        .size:           2
        .value_kind:     hidden_group_size_x
      - .offset:         870
        .size:           2
        .value_kind:     hidden_group_size_y
      - .offset:         872
        .size:           2
        .value_kind:     hidden_group_size_z
      - .offset:         874
        .size:           2
        .value_kind:     hidden_remainder_x
      - .offset:         876
        .size:           2
        .value_kind:     hidden_remainder_y
      - .offset:         878
        .size:           2
        .value_kind:     hidden_remainder_z
      - .offset:         896
        .size:           8
        .value_kind:     hidden_global_offset_x
      - .offset:         904
        .size:           8
        .value_kind:     hidden_global_offset_y
      - .offset:         912
        .size:           8
        .value_kind:     hidden_global_offset_z
      - .offset:         920
        .size:           2
        .value_kind:     hidden_grid_dims
    .group_segment_fixed_size: 0
    .kernarg_segment_align: 8
    .kernarg_segment_size: 1112
    .language:       OpenCL C
    .language_version:
      - 2
      - 0
    .max_flat_workgroup_size: 128
    .name:           _ZN2at6native16triu_tril_kernelIslLb0ELi4ELb0EEEvNS_4cuda6detail10TensorInfoIT_T0_EENS4_IKS5_S6_EEllS6_
    .private_segment_fixed_size: 0
    .sgpr_count:     86
    .sgpr_spill_count: 0
    .symbol:         _ZN2at6native16triu_tril_kernelIslLb0ELi4ELb0EEEvNS_4cuda6detail10TensorInfoIT_T0_EENS4_IKS5_S6_EEllS6_.kd
    .uniform_work_group_size: 1
    .uses_dynamic_stack: false
    .vgpr_count:     28
    .vgpr_spill_count: 0
    .wavefront_size: 32
    .workgroup_processor_mode: 1
  - .args:
      - .offset:         0
        .size:           216
        .value_kind:     by_value
      - .offset:         216
        .size:           216
        .value_kind:     by_value
      - .offset:         432
        .size:           8
        .value_kind:     by_value
      - .offset:         440
        .size:           8
        .value_kind:     by_value
      - .offset:         448
        .size:           4
        .value_kind:     by_value
      - .offset:         456
        .size:           4
        .value_kind:     hidden_block_count_x
      - .offset:         460
        .size:           4
        .value_kind:     hidden_block_count_y
      - .offset:         464
        .size:           4
        .value_kind:     hidden_block_count_z
      - .offset:         468
        .size:           2
        .value_kind:     hidden_group_size_x
      - .offset:         470
        .size:           2
        .value_kind:     hidden_group_size_y
      - .offset:         472
        .size:           2
        .value_kind:     hidden_group_size_z
      - .offset:         474
        .size:           2
        .value_kind:     hidden_remainder_x
      - .offset:         476
        .size:           2
        .value_kind:     hidden_remainder_y
      - .offset:         478
        .size:           2
        .value_kind:     hidden_remainder_z
      - .offset:         496
        .size:           8
        .value_kind:     hidden_global_offset_x
      - .offset:         504
        .size:           8
        .value_kind:     hidden_global_offset_y
      - .offset:         512
        .size:           8
        .value_kind:     hidden_global_offset_z
      - .offset:         520
        .size:           2
        .value_kind:     hidden_grid_dims
    .group_segment_fixed_size: 0
    .kernarg_segment_align: 8
    .kernarg_segment_size: 712
    .language:       OpenCL C
    .language_version:
      - 2
      - 0
    .max_flat_workgroup_size: 128
    .name:           _ZN2at6native16triu_tril_kernelIdiLb0ELi2ELb1EEEvNS_4cuda6detail10TensorInfoIT_T0_EENS4_IKS5_S6_EEllS6_
    .private_segment_fixed_size: 0
    .sgpr_count:     68
    .sgpr_spill_count: 0
    .symbol:         _ZN2at6native16triu_tril_kernelIdiLb0ELi2ELb1EEEvNS_4cuda6detail10TensorInfoIT_T0_EENS4_IKS5_S6_EEllS6_.kd
    .uniform_work_group_size: 1
    .uses_dynamic_stack: false
    .vgpr_count:     33
    .vgpr_spill_count: 0
    .wavefront_size: 32
    .workgroup_processor_mode: 1
  - .args:
      - .offset:         0
        .size:           216
        .value_kind:     by_value
      - .offset:         216
        .size:           216
        .value_kind:     by_value
      - .offset:         432
        .size:           8
        .value_kind:     by_value
      - .offset:         440
        .size:           8
        .value_kind:     by_value
      - .offset:         448
        .size:           4
        .value_kind:     by_value
      - .offset:         456
        .size:           4
        .value_kind:     hidden_block_count_x
      - .offset:         460
        .size:           4
        .value_kind:     hidden_block_count_y
      - .offset:         464
        .size:           4
        .value_kind:     hidden_block_count_z
      - .offset:         468
        .size:           2
        .value_kind:     hidden_group_size_x
      - .offset:         470
        .size:           2
        .value_kind:     hidden_group_size_y
      - .offset:         472
        .size:           2
        .value_kind:     hidden_group_size_z
      - .offset:         474
        .size:           2
        .value_kind:     hidden_remainder_x
      - .offset:         476
        .size:           2
        .value_kind:     hidden_remainder_y
      - .offset:         478
        .size:           2
        .value_kind:     hidden_remainder_z
      - .offset:         496
        .size:           8
        .value_kind:     hidden_global_offset_x
      - .offset:         504
        .size:           8
        .value_kind:     hidden_global_offset_y
      - .offset:         512
        .size:           8
        .value_kind:     hidden_global_offset_z
      - .offset:         520
        .size:           2
        .value_kind:     hidden_grid_dims
    .group_segment_fixed_size: 0
    .kernarg_segment_align: 8
    .kernarg_segment_size: 712
    .language:       OpenCL C
    .language_version:
      - 2
      - 0
    .max_flat_workgroup_size: 128
    .name:           _ZN2at6native16triu_tril_kernelIdiLb0ELi2ELb0EEEvNS_4cuda6detail10TensorInfoIT_T0_EENS4_IKS5_S6_EEllS6_
    .private_segment_fixed_size: 0
    .sgpr_count:     70
    .sgpr_spill_count: 0
    .symbol:         _ZN2at6native16triu_tril_kernelIdiLb0ELi2ELb0EEEvNS_4cuda6detail10TensorInfoIT_T0_EENS4_IKS5_S6_EEllS6_.kd
    .uniform_work_group_size: 1
    .uses_dynamic_stack: false
    .vgpr_count:     26
    .vgpr_spill_count: 0
    .wavefront_size: 32
    .workgroup_processor_mode: 1
  - .args:
      - .offset:         0
        .size:           416
        .value_kind:     by_value
      - .offset:         416
        .size:           416
        .value_kind:     by_value
      - .offset:         832
        .size:           8
        .value_kind:     by_value
      - .offset:         840
        .size:           8
        .value_kind:     by_value
      - .offset:         848
        .size:           8
        .value_kind:     by_value
      - .offset:         856
        .size:           4
        .value_kind:     hidden_block_count_x
      - .offset:         860
        .size:           4
        .value_kind:     hidden_block_count_y
      - .offset:         864
        .size:           4
        .value_kind:     hidden_block_count_z
      - .offset:         868
        .size:           2
        .value_kind:     hidden_group_size_x
      - .offset:         870
        .size:           2
        .value_kind:     hidden_group_size_y
      - .offset:         872
        .size:           2
        .value_kind:     hidden_group_size_z
      - .offset:         874
        .size:           2
        .value_kind:     hidden_remainder_x
      - .offset:         876
        .size:           2
        .value_kind:     hidden_remainder_y
      - .offset:         878
        .size:           2
        .value_kind:     hidden_remainder_z
      - .offset:         896
        .size:           8
        .value_kind:     hidden_global_offset_x
      - .offset:         904
        .size:           8
        .value_kind:     hidden_global_offset_y
      - .offset:         912
        .size:           8
        .value_kind:     hidden_global_offset_z
      - .offset:         920
        .size:           2
        .value_kind:     hidden_grid_dims
    .group_segment_fixed_size: 0
    .kernarg_segment_align: 8
    .kernarg_segment_size: 1112
    .language:       OpenCL C
    .language_version:
      - 2
      - 0
    .max_flat_workgroup_size: 128
    .name:           _ZN2at6native16triu_tril_kernelIdlLb0ELi2ELb1EEEvNS_4cuda6detail10TensorInfoIT_T0_EENS4_IKS5_S6_EEllS6_
    .private_segment_fixed_size: 0
    .sgpr_count:     77
    .sgpr_spill_count: 0
    .symbol:         _ZN2at6native16triu_tril_kernelIdlLb0ELi2ELb1EEEvNS_4cuda6detail10TensorInfoIT_T0_EENS4_IKS5_S6_EEllS6_.kd
    .uniform_work_group_size: 1
    .uses_dynamic_stack: false
    .vgpr_count:     32
    .vgpr_spill_count: 0
    .wavefront_size: 32
    .workgroup_processor_mode: 1
  - .args:
      - .offset:         0
        .size:           416
        .value_kind:     by_value
      - .offset:         416
        .size:           416
        .value_kind:     by_value
      - .offset:         832
        .size:           8
        .value_kind:     by_value
      - .offset:         840
        .size:           8
        .value_kind:     by_value
      - .offset:         848
        .size:           8
        .value_kind:     by_value
      - .offset:         856
        .size:           4
        .value_kind:     hidden_block_count_x
      - .offset:         860
        .size:           4
        .value_kind:     hidden_block_count_y
      - .offset:         864
        .size:           4
        .value_kind:     hidden_block_count_z
      - .offset:         868
        .size:           2
        .value_kind:     hidden_group_size_x
      - .offset:         870
        .size:           2
        .value_kind:     hidden_group_size_y
      - .offset:         872
        .size:           2
        .value_kind:     hidden_group_size_z
      - .offset:         874
        .size:           2
        .value_kind:     hidden_remainder_x
      - .offset:         876
        .size:           2
        .value_kind:     hidden_remainder_y
      - .offset:         878
        .size:           2
        .value_kind:     hidden_remainder_z
      - .offset:         896
        .size:           8
        .value_kind:     hidden_global_offset_x
      - .offset:         904
        .size:           8
        .value_kind:     hidden_global_offset_y
      - .offset:         912
        .size:           8
        .value_kind:     hidden_global_offset_z
      - .offset:         920
        .size:           2
        .value_kind:     hidden_grid_dims
    .group_segment_fixed_size: 0
    .kernarg_segment_align: 8
    .kernarg_segment_size: 1112
    .language:       OpenCL C
    .language_version:
      - 2
      - 0
    .max_flat_workgroup_size: 128
    .name:           _ZN2at6native16triu_tril_kernelIdlLb0ELi2ELb0EEEvNS_4cuda6detail10TensorInfoIT_T0_EENS4_IKS5_S6_EEllS6_
    .private_segment_fixed_size: 0
    .sgpr_count:     74
    .sgpr_spill_count: 0
    .symbol:         _ZN2at6native16triu_tril_kernelIdlLb0ELi2ELb0EEEvNS_4cuda6detail10TensorInfoIT_T0_EENS4_IKS5_S6_EEllS6_.kd
    .uniform_work_group_size: 1
    .uses_dynamic_stack: false
    .vgpr_count:     28
    .vgpr_spill_count: 0
    .wavefront_size: 32
    .workgroup_processor_mode: 1
  - .args:
      - .offset:         0
        .size:           216
        .value_kind:     by_value
      - .offset:         216
        .size:           216
        .value_kind:     by_value
      - .offset:         432
        .size:           8
        .value_kind:     by_value
      - .offset:         440
        .size:           8
        .value_kind:     by_value
      - .offset:         448
        .size:           4
        .value_kind:     by_value
      - .offset:         456
        .size:           4
        .value_kind:     hidden_block_count_x
      - .offset:         460
        .size:           4
        .value_kind:     hidden_block_count_y
      - .offset:         464
        .size:           4
        .value_kind:     hidden_block_count_z
      - .offset:         468
        .size:           2
        .value_kind:     hidden_group_size_x
      - .offset:         470
        .size:           2
        .value_kind:     hidden_group_size_y
      - .offset:         472
        .size:           2
        .value_kind:     hidden_group_size_z
      - .offset:         474
        .size:           2
        .value_kind:     hidden_remainder_x
      - .offset:         476
        .size:           2
        .value_kind:     hidden_remainder_y
      - .offset:         478
        .size:           2
        .value_kind:     hidden_remainder_z
      - .offset:         496
        .size:           8
        .value_kind:     hidden_global_offset_x
      - .offset:         504
        .size:           8
        .value_kind:     hidden_global_offset_y
      - .offset:         512
        .size:           8
        .value_kind:     hidden_global_offset_z
      - .offset:         520
        .size:           2
        .value_kind:     hidden_grid_dims
    .group_segment_fixed_size: 0
    .kernarg_segment_align: 8
    .kernarg_segment_size: 712
    .language:       OpenCL C
    .language_version:
      - 2
      - 0
    .max_flat_workgroup_size: 128
    .name:           _ZN2at6native16triu_tril_kernelIfiLb0ELi2ELb1EEEvNS_4cuda6detail10TensorInfoIT_T0_EENS4_IKS5_S6_EEllS6_
    .private_segment_fixed_size: 0
    .sgpr_count:     68
    .sgpr_spill_count: 0
    .symbol:         _ZN2at6native16triu_tril_kernelIfiLb0ELi2ELb1EEEvNS_4cuda6detail10TensorInfoIT_T0_EENS4_IKS5_S6_EEllS6_.kd
    .uniform_work_group_size: 1
    .uses_dynamic_stack: false
    .vgpr_count:     33
    .vgpr_spill_count: 0
    .wavefront_size: 32
    .workgroup_processor_mode: 1
  - .args:
      - .offset:         0
        .size:           216
        .value_kind:     by_value
      - .offset:         216
        .size:           216
        .value_kind:     by_value
      - .offset:         432
        .size:           8
        .value_kind:     by_value
      - .offset:         440
        .size:           8
        .value_kind:     by_value
      - .offset:         448
        .size:           4
        .value_kind:     by_value
      - .offset:         456
        .size:           4
        .value_kind:     hidden_block_count_x
      - .offset:         460
        .size:           4
        .value_kind:     hidden_block_count_y
      - .offset:         464
        .size:           4
        .value_kind:     hidden_block_count_z
      - .offset:         468
        .size:           2
        .value_kind:     hidden_group_size_x
      - .offset:         470
        .size:           2
        .value_kind:     hidden_group_size_y
      - .offset:         472
        .size:           2
        .value_kind:     hidden_group_size_z
      - .offset:         474
        .size:           2
        .value_kind:     hidden_remainder_x
      - .offset:         476
        .size:           2
        .value_kind:     hidden_remainder_y
      - .offset:         478
        .size:           2
        .value_kind:     hidden_remainder_z
      - .offset:         496
        .size:           8
        .value_kind:     hidden_global_offset_x
      - .offset:         504
        .size:           8
        .value_kind:     hidden_global_offset_y
      - .offset:         512
        .size:           8
        .value_kind:     hidden_global_offset_z
      - .offset:         520
        .size:           2
        .value_kind:     hidden_grid_dims
    .group_segment_fixed_size: 0
    .kernarg_segment_align: 8
    .kernarg_segment_size: 712
    .language:       OpenCL C
    .language_version:
      - 2
      - 0
    .max_flat_workgroup_size: 128
    .name:           _ZN2at6native16triu_tril_kernelIfiLb0ELi2ELb0EEEvNS_4cuda6detail10TensorInfoIT_T0_EENS4_IKS5_S6_EEllS6_
    .private_segment_fixed_size: 0
    .sgpr_count:     70
    .sgpr_spill_count: 0
    .symbol:         _ZN2at6native16triu_tril_kernelIfiLb0ELi2ELb0EEEvNS_4cuda6detail10TensorInfoIT_T0_EENS4_IKS5_S6_EEllS6_.kd
    .uniform_work_group_size: 1
    .uses_dynamic_stack: false
    .vgpr_count:     26
    .vgpr_spill_count: 0
    .wavefront_size: 32
    .workgroup_processor_mode: 1
  - .args:
      - .offset:         0
        .size:           416
        .value_kind:     by_value
      - .offset:         416
        .size:           416
        .value_kind:     by_value
      - .offset:         832
        .size:           8
        .value_kind:     by_value
      - .offset:         840
        .size:           8
        .value_kind:     by_value
      - .offset:         848
        .size:           8
        .value_kind:     by_value
      - .offset:         856
        .size:           4
        .value_kind:     hidden_block_count_x
      - .offset:         860
        .size:           4
        .value_kind:     hidden_block_count_y
      - .offset:         864
        .size:           4
        .value_kind:     hidden_block_count_z
      - .offset:         868
        .size:           2
        .value_kind:     hidden_group_size_x
      - .offset:         870
        .size:           2
        .value_kind:     hidden_group_size_y
      - .offset:         872
        .size:           2
        .value_kind:     hidden_group_size_z
      - .offset:         874
        .size:           2
        .value_kind:     hidden_remainder_x
      - .offset:         876
        .size:           2
        .value_kind:     hidden_remainder_y
      - .offset:         878
        .size:           2
        .value_kind:     hidden_remainder_z
      - .offset:         896
        .size:           8
        .value_kind:     hidden_global_offset_x
      - .offset:         904
        .size:           8
        .value_kind:     hidden_global_offset_y
      - .offset:         912
        .size:           8
        .value_kind:     hidden_global_offset_z
      - .offset:         920
        .size:           2
        .value_kind:     hidden_grid_dims
    .group_segment_fixed_size: 0
    .kernarg_segment_align: 8
    .kernarg_segment_size: 1112
    .language:       OpenCL C
    .language_version:
      - 2
      - 0
    .max_flat_workgroup_size: 128
    .name:           _ZN2at6native16triu_tril_kernelIflLb0ELi2ELb1EEEvNS_4cuda6detail10TensorInfoIT_T0_EENS4_IKS5_S6_EEllS6_
    .private_segment_fixed_size: 0
    .sgpr_count:     77
    .sgpr_spill_count: 0
    .symbol:         _ZN2at6native16triu_tril_kernelIflLb0ELi2ELb1EEEvNS_4cuda6detail10TensorInfoIT_T0_EENS4_IKS5_S6_EEllS6_.kd
    .uniform_work_group_size: 1
    .uses_dynamic_stack: false
    .vgpr_count:     32
    .vgpr_spill_count: 0
    .wavefront_size: 32
    .workgroup_processor_mode: 1
  - .args:
      - .offset:         0
        .size:           416
        .value_kind:     by_value
      - .offset:         416
        .size:           416
        .value_kind:     by_value
      - .offset:         832
        .size:           8
        .value_kind:     by_value
      - .offset:         840
        .size:           8
        .value_kind:     by_value
      - .offset:         848
        .size:           8
        .value_kind:     by_value
      - .offset:         856
        .size:           4
        .value_kind:     hidden_block_count_x
      - .offset:         860
        .size:           4
        .value_kind:     hidden_block_count_y
      - .offset:         864
        .size:           4
        .value_kind:     hidden_block_count_z
      - .offset:         868
        .size:           2
        .value_kind:     hidden_group_size_x
      - .offset:         870
        .size:           2
        .value_kind:     hidden_group_size_y
      - .offset:         872
        .size:           2
        .value_kind:     hidden_group_size_z
      - .offset:         874
        .size:           2
        .value_kind:     hidden_remainder_x
      - .offset:         876
        .size:           2
        .value_kind:     hidden_remainder_y
      - .offset:         878
        .size:           2
        .value_kind:     hidden_remainder_z
      - .offset:         896
        .size:           8
        .value_kind:     hidden_global_offset_x
      - .offset:         904
        .size:           8
        .value_kind:     hidden_global_offset_y
      - .offset:         912
        .size:           8
        .value_kind:     hidden_global_offset_z
      - .offset:         920
        .size:           2
        .value_kind:     hidden_grid_dims
    .group_segment_fixed_size: 0
    .kernarg_segment_align: 8
    .kernarg_segment_size: 1112
    .language:       OpenCL C
    .language_version:
      - 2
      - 0
    .max_flat_workgroup_size: 128
    .name:           _ZN2at6native16triu_tril_kernelIflLb0ELi2ELb0EEEvNS_4cuda6detail10TensorInfoIT_T0_EENS4_IKS5_S6_EEllS6_
    .private_segment_fixed_size: 0
    .sgpr_count:     74
    .sgpr_spill_count: 0
    .symbol:         _ZN2at6native16triu_tril_kernelIflLb0ELi2ELb0EEEvNS_4cuda6detail10TensorInfoIT_T0_EENS4_IKS5_S6_EEllS6_.kd
    .uniform_work_group_size: 1
    .uses_dynamic_stack: false
    .vgpr_count:     28
    .vgpr_spill_count: 0
    .wavefront_size: 32
    .workgroup_processor_mode: 1
  - .args:
      - .offset:         0
        .size:           216
        .value_kind:     by_value
      - .offset:         216
        .size:           216
        .value_kind:     by_value
      - .offset:         432
        .size:           8
        .value_kind:     by_value
      - .offset:         440
        .size:           8
        .value_kind:     by_value
      - .offset:         448
        .size:           4
        .value_kind:     by_value
      - .offset:         456
        .size:           4
        .value_kind:     hidden_block_count_x
      - .offset:         460
        .size:           4
        .value_kind:     hidden_block_count_y
      - .offset:         464
        .size:           4
        .value_kind:     hidden_block_count_z
      - .offset:         468
        .size:           2
        .value_kind:     hidden_group_size_x
      - .offset:         470
        .size:           2
        .value_kind:     hidden_group_size_y
      - .offset:         472
        .size:           2
        .value_kind:     hidden_group_size_z
      - .offset:         474
        .size:           2
        .value_kind:     hidden_remainder_x
      - .offset:         476
        .size:           2
        .value_kind:     hidden_remainder_y
      - .offset:         478
        .size:           2
        .value_kind:     hidden_remainder_z
      - .offset:         496
        .size:           8
        .value_kind:     hidden_global_offset_x
      - .offset:         504
        .size:           8
        .value_kind:     hidden_global_offset_y
      - .offset:         512
        .size:           8
        .value_kind:     hidden_global_offset_z
      - .offset:         520
        .size:           2
        .value_kind:     hidden_grid_dims
    .group_segment_fixed_size: 0
    .kernarg_segment_align: 8
    .kernarg_segment_size: 712
    .language:       OpenCL C
    .language_version:
      - 2
      - 0
    .max_flat_workgroup_size: 128
    .name:           _ZN2at6native16triu_tril_kernelIN3c107complexIdEEiLb0ELi1ELb1EEEvNS_4cuda6detail10TensorInfoIT_T0_EENS7_IKS8_S9_EEllS9_
    .private_segment_fixed_size: 0
    .sgpr_count:     68
    .sgpr_spill_count: 0
    .symbol:         _ZN2at6native16triu_tril_kernelIN3c107complexIdEEiLb0ELi1ELb1EEEvNS_4cuda6detail10TensorInfoIT_T0_EENS7_IKS8_S9_EEllS9_.kd
    .uniform_work_group_size: 1
    .uses_dynamic_stack: false
    .vgpr_count:     33
    .vgpr_spill_count: 0
    .wavefront_size: 32
    .workgroup_processor_mode: 1
  - .args:
      - .offset:         0
        .size:           216
        .value_kind:     by_value
      - .offset:         216
        .size:           216
        .value_kind:     by_value
      - .offset:         432
        .size:           8
        .value_kind:     by_value
      - .offset:         440
        .size:           8
        .value_kind:     by_value
      - .offset:         448
        .size:           4
        .value_kind:     by_value
      - .offset:         456
        .size:           4
        .value_kind:     hidden_block_count_x
      - .offset:         460
        .size:           4
        .value_kind:     hidden_block_count_y
      - .offset:         464
        .size:           4
        .value_kind:     hidden_block_count_z
      - .offset:         468
        .size:           2
        .value_kind:     hidden_group_size_x
      - .offset:         470
        .size:           2
        .value_kind:     hidden_group_size_y
      - .offset:         472
        .size:           2
        .value_kind:     hidden_group_size_z
      - .offset:         474
        .size:           2
        .value_kind:     hidden_remainder_x
      - .offset:         476
        .size:           2
        .value_kind:     hidden_remainder_y
      - .offset:         478
        .size:           2
        .value_kind:     hidden_remainder_z
      - .offset:         496
        .size:           8
        .value_kind:     hidden_global_offset_x
      - .offset:         504
        .size:           8
        .value_kind:     hidden_global_offset_y
      - .offset:         512
        .size:           8
        .value_kind:     hidden_global_offset_z
      - .offset:         520
        .size:           2
        .value_kind:     hidden_grid_dims
    .group_segment_fixed_size: 0
    .kernarg_segment_align: 8
    .kernarg_segment_size: 712
    .language:       OpenCL C
    .language_version:
      - 2
      - 0
    .max_flat_workgroup_size: 128
    .name:           _ZN2at6native16triu_tril_kernelIN3c107complexIdEEiLb0ELi1ELb0EEEvNS_4cuda6detail10TensorInfoIT_T0_EENS7_IKS8_S9_EEllS9_
    .private_segment_fixed_size: 0
    .sgpr_count:     68
    .sgpr_spill_count: 0
    .symbol:         _ZN2at6native16triu_tril_kernelIN3c107complexIdEEiLb0ELi1ELb0EEEvNS_4cuda6detail10TensorInfoIT_T0_EENS7_IKS8_S9_EEllS9_.kd
    .uniform_work_group_size: 1
    .uses_dynamic_stack: false
    .vgpr_count:     25
    .vgpr_spill_count: 0
    .wavefront_size: 32
    .workgroup_processor_mode: 1
  - .args:
      - .offset:         0
        .size:           416
        .value_kind:     by_value
      - .offset:         416
        .size:           416
        .value_kind:     by_value
      - .offset:         832
        .size:           8
        .value_kind:     by_value
      - .offset:         840
        .size:           8
        .value_kind:     by_value
      - .offset:         848
        .size:           8
        .value_kind:     by_value
      - .offset:         856
        .size:           4
        .value_kind:     hidden_block_count_x
      - .offset:         860
        .size:           4
        .value_kind:     hidden_block_count_y
      - .offset:         864
        .size:           4
        .value_kind:     hidden_block_count_z
      - .offset:         868
        .size:           2
        .value_kind:     hidden_group_size_x
      - .offset:         870
        .size:           2
        .value_kind:     hidden_group_size_y
      - .offset:         872
        .size:           2
        .value_kind:     hidden_group_size_z
      - .offset:         874
        .size:           2
        .value_kind:     hidden_remainder_x
      - .offset:         876
        .size:           2
        .value_kind:     hidden_remainder_y
      - .offset:         878
        .size:           2
        .value_kind:     hidden_remainder_z
      - .offset:         896
        .size:           8
        .value_kind:     hidden_global_offset_x
      - .offset:         904
        .size:           8
        .value_kind:     hidden_global_offset_y
      - .offset:         912
        .size:           8
        .value_kind:     hidden_global_offset_z
      - .offset:         920
        .size:           2
        .value_kind:     hidden_grid_dims
    .group_segment_fixed_size: 0
    .kernarg_segment_align: 8
    .kernarg_segment_size: 1112
    .language:       OpenCL C
    .language_version:
      - 2
      - 0
    .max_flat_workgroup_size: 128
    .name:           _ZN2at6native16triu_tril_kernelIN3c107complexIdEElLb0ELi1ELb1EEEvNS_4cuda6detail10TensorInfoIT_T0_EENS7_IKS8_S9_EEllS9_
    .private_segment_fixed_size: 0
    .sgpr_count:     75
    .sgpr_spill_count: 0
    .symbol:         _ZN2at6native16triu_tril_kernelIN3c107complexIdEElLb0ELi1ELb1EEEvNS_4cuda6detail10TensorInfoIT_T0_EENS7_IKS8_S9_EEllS9_.kd
    .uniform_work_group_size: 1
    .uses_dynamic_stack: false
    .vgpr_count:     30
    .vgpr_spill_count: 0
    .wavefront_size: 32
    .workgroup_processor_mode: 1
  - .args:
      - .offset:         0
        .size:           416
        .value_kind:     by_value
      - .offset:         416
        .size:           416
        .value_kind:     by_value
      - .offset:         832
        .size:           8
        .value_kind:     by_value
      - .offset:         840
        .size:           8
        .value_kind:     by_value
      - .offset:         848
        .size:           8
        .value_kind:     by_value
      - .offset:         856
        .size:           4
        .value_kind:     hidden_block_count_x
      - .offset:         860
        .size:           4
        .value_kind:     hidden_block_count_y
      - .offset:         864
        .size:           4
        .value_kind:     hidden_block_count_z
      - .offset:         868
        .size:           2
        .value_kind:     hidden_group_size_x
      - .offset:         870
        .size:           2
        .value_kind:     hidden_group_size_y
      - .offset:         872
        .size:           2
        .value_kind:     hidden_group_size_z
      - .offset:         874
        .size:           2
        .value_kind:     hidden_remainder_x
      - .offset:         876
        .size:           2
        .value_kind:     hidden_remainder_y
      - .offset:         878
        .size:           2
        .value_kind:     hidden_remainder_z
      - .offset:         896
        .size:           8
        .value_kind:     hidden_global_offset_x
      - .offset:         904
        .size:           8
        .value_kind:     hidden_global_offset_y
      - .offset:         912
        .size:           8
        .value_kind:     hidden_global_offset_z
      - .offset:         920
        .size:           2
        .value_kind:     hidden_grid_dims
    .group_segment_fixed_size: 0
    .kernarg_segment_align: 8
    .kernarg_segment_size: 1112
    .language:       OpenCL C
    .language_version:
      - 2
      - 0
    .max_flat_workgroup_size: 128
    .name:           _ZN2at6native16triu_tril_kernelIN3c107complexIdEElLb0ELi1ELb0EEEvNS_4cuda6detail10TensorInfoIT_T0_EENS7_IKS8_S9_EEllS9_
    .private_segment_fixed_size: 0
    .sgpr_count:     74
    .sgpr_spill_count: 0
    .symbol:         _ZN2at6native16triu_tril_kernelIN3c107complexIdEElLb0ELi1ELb0EEEvNS_4cuda6detail10TensorInfoIT_T0_EENS7_IKS8_S9_EEllS9_.kd
    .uniform_work_group_size: 1
    .uses_dynamic_stack: false
    .vgpr_count:     28
    .vgpr_spill_count: 0
    .wavefront_size: 32
    .workgroup_processor_mode: 1
  - .args:
      - .offset:         0
        .size:           216
        .value_kind:     by_value
      - .offset:         216
        .size:           216
        .value_kind:     by_value
      - .offset:         432
        .size:           8
        .value_kind:     by_value
      - .offset:         440
        .size:           8
        .value_kind:     by_value
      - .offset:         448
        .size:           4
        .value_kind:     by_value
      - .offset:         456
        .size:           4
        .value_kind:     hidden_block_count_x
      - .offset:         460
        .size:           4
        .value_kind:     hidden_block_count_y
      - .offset:         464
        .size:           4
        .value_kind:     hidden_block_count_z
      - .offset:         468
        .size:           2
        .value_kind:     hidden_group_size_x
      - .offset:         470
        .size:           2
        .value_kind:     hidden_group_size_y
      - .offset:         472
        .size:           2
        .value_kind:     hidden_group_size_z
      - .offset:         474
        .size:           2
        .value_kind:     hidden_remainder_x
      - .offset:         476
        .size:           2
        .value_kind:     hidden_remainder_y
      - .offset:         478
        .size:           2
        .value_kind:     hidden_remainder_z
      - .offset:         496
        .size:           8
        .value_kind:     hidden_global_offset_x
      - .offset:         504
        .size:           8
        .value_kind:     hidden_global_offset_y
      - .offset:         512
        .size:           8
        .value_kind:     hidden_global_offset_z
      - .offset:         520
        .size:           2
        .value_kind:     hidden_grid_dims
    .group_segment_fixed_size: 0
    .kernarg_segment_align: 8
    .kernarg_segment_size: 712
    .language:       OpenCL C
    .language_version:
      - 2
      - 0
    .max_flat_workgroup_size: 128
    .name:           _ZN2at6native16triu_tril_kernelIN3c107complexIfEEiLb0ELi2ELb1EEEvNS_4cuda6detail10TensorInfoIT_T0_EENS7_IKS8_S9_EEllS9_
    .private_segment_fixed_size: 0
    .sgpr_count:     68
    .sgpr_spill_count: 0
    .symbol:         _ZN2at6native16triu_tril_kernelIN3c107complexIfEEiLb0ELi2ELb1EEEvNS_4cuda6detail10TensorInfoIT_T0_EENS7_IKS8_S9_EEllS9_.kd
    .uniform_work_group_size: 1
    .uses_dynamic_stack: false
    .vgpr_count:     33
    .vgpr_spill_count: 0
    .wavefront_size: 32
    .workgroup_processor_mode: 1
  - .args:
      - .offset:         0
        .size:           216
        .value_kind:     by_value
      - .offset:         216
        .size:           216
        .value_kind:     by_value
      - .offset:         432
        .size:           8
        .value_kind:     by_value
      - .offset:         440
        .size:           8
        .value_kind:     by_value
      - .offset:         448
        .size:           4
        .value_kind:     by_value
      - .offset:         456
        .size:           4
        .value_kind:     hidden_block_count_x
      - .offset:         460
        .size:           4
        .value_kind:     hidden_block_count_y
      - .offset:         464
        .size:           4
        .value_kind:     hidden_block_count_z
      - .offset:         468
        .size:           2
        .value_kind:     hidden_group_size_x
      - .offset:         470
        .size:           2
        .value_kind:     hidden_group_size_y
      - .offset:         472
        .size:           2
        .value_kind:     hidden_group_size_z
      - .offset:         474
        .size:           2
        .value_kind:     hidden_remainder_x
      - .offset:         476
        .size:           2
        .value_kind:     hidden_remainder_y
      - .offset:         478
        .size:           2
        .value_kind:     hidden_remainder_z
      - .offset:         496
        .size:           8
        .value_kind:     hidden_global_offset_x
      - .offset:         504
        .size:           8
        .value_kind:     hidden_global_offset_y
      - .offset:         512
        .size:           8
        .value_kind:     hidden_global_offset_z
      - .offset:         520
        .size:           2
        .value_kind:     hidden_grid_dims
    .group_segment_fixed_size: 0
    .kernarg_segment_align: 8
    .kernarg_segment_size: 712
    .language:       OpenCL C
    .language_version:
      - 2
      - 0
    .max_flat_workgroup_size: 128
    .name:           _ZN2at6native16triu_tril_kernelIN3c107complexIfEEiLb0ELi2ELb0EEEvNS_4cuda6detail10TensorInfoIT_T0_EENS7_IKS8_S9_EEllS9_
    .private_segment_fixed_size: 0
    .sgpr_count:     70
    .sgpr_spill_count: 0
    .symbol:         _ZN2at6native16triu_tril_kernelIN3c107complexIfEEiLb0ELi2ELb0EEEvNS_4cuda6detail10TensorInfoIT_T0_EENS7_IKS8_S9_EEllS9_.kd
    .uniform_work_group_size: 1
    .uses_dynamic_stack: false
    .vgpr_count:     26
    .vgpr_spill_count: 0
    .wavefront_size: 32
    .workgroup_processor_mode: 1
  - .args:
      - .offset:         0
        .size:           416
        .value_kind:     by_value
      - .offset:         416
        .size:           416
        .value_kind:     by_value
      - .offset:         832
        .size:           8
        .value_kind:     by_value
      - .offset:         840
        .size:           8
        .value_kind:     by_value
      - .offset:         848
        .size:           8
        .value_kind:     by_value
      - .offset:         856
        .size:           4
        .value_kind:     hidden_block_count_x
      - .offset:         860
        .size:           4
        .value_kind:     hidden_block_count_y
      - .offset:         864
        .size:           4
        .value_kind:     hidden_block_count_z
      - .offset:         868
        .size:           2
        .value_kind:     hidden_group_size_x
      - .offset:         870
        .size:           2
        .value_kind:     hidden_group_size_y
      - .offset:         872
        .size:           2
        .value_kind:     hidden_group_size_z
      - .offset:         874
        .size:           2
        .value_kind:     hidden_remainder_x
      - .offset:         876
        .size:           2
        .value_kind:     hidden_remainder_y
      - .offset:         878
        .size:           2
        .value_kind:     hidden_remainder_z
      - .offset:         896
        .size:           8
        .value_kind:     hidden_global_offset_x
      - .offset:         904
        .size:           8
        .value_kind:     hidden_global_offset_y
      - .offset:         912
        .size:           8
        .value_kind:     hidden_global_offset_z
      - .offset:         920
        .size:           2
        .value_kind:     hidden_grid_dims
    .group_segment_fixed_size: 0
    .kernarg_segment_align: 8
    .kernarg_segment_size: 1112
    .language:       OpenCL C
    .language_version:
      - 2
      - 0
    .max_flat_workgroup_size: 128
    .name:           _ZN2at6native16triu_tril_kernelIN3c107complexIfEElLb0ELi2ELb1EEEvNS_4cuda6detail10TensorInfoIT_T0_EENS7_IKS8_S9_EEllS9_
    .private_segment_fixed_size: 0
    .sgpr_count:     77
    .sgpr_spill_count: 0
    .symbol:         _ZN2at6native16triu_tril_kernelIN3c107complexIfEElLb0ELi2ELb1EEEvNS_4cuda6detail10TensorInfoIT_T0_EENS7_IKS8_S9_EEllS9_.kd
    .uniform_work_group_size: 1
    .uses_dynamic_stack: false
    .vgpr_count:     32
    .vgpr_spill_count: 0
    .wavefront_size: 32
    .workgroup_processor_mode: 1
  - .args:
      - .offset:         0
        .size:           416
        .value_kind:     by_value
      - .offset:         416
        .size:           416
        .value_kind:     by_value
      - .offset:         832
        .size:           8
        .value_kind:     by_value
      - .offset:         840
        .size:           8
        .value_kind:     by_value
      - .offset:         848
        .size:           8
        .value_kind:     by_value
      - .offset:         856
        .size:           4
        .value_kind:     hidden_block_count_x
      - .offset:         860
        .size:           4
        .value_kind:     hidden_block_count_y
      - .offset:         864
        .size:           4
        .value_kind:     hidden_block_count_z
      - .offset:         868
        .size:           2
        .value_kind:     hidden_group_size_x
      - .offset:         870
        .size:           2
        .value_kind:     hidden_group_size_y
      - .offset:         872
        .size:           2
        .value_kind:     hidden_group_size_z
      - .offset:         874
        .size:           2
        .value_kind:     hidden_remainder_x
      - .offset:         876
        .size:           2
        .value_kind:     hidden_remainder_y
      - .offset:         878
        .size:           2
        .value_kind:     hidden_remainder_z
      - .offset:         896
        .size:           8
        .value_kind:     hidden_global_offset_x
      - .offset:         904
        .size:           8
        .value_kind:     hidden_global_offset_y
      - .offset:         912
        .size:           8
        .value_kind:     hidden_global_offset_z
      - .offset:         920
        .size:           2
        .value_kind:     hidden_grid_dims
    .group_segment_fixed_size: 0
    .kernarg_segment_align: 8
    .kernarg_segment_size: 1112
    .language:       OpenCL C
    .language_version:
      - 2
      - 0
    .max_flat_workgroup_size: 128
    .name:           _ZN2at6native16triu_tril_kernelIN3c107complexIfEElLb0ELi2ELb0EEEvNS_4cuda6detail10TensorInfoIT_T0_EENS7_IKS8_S9_EEllS9_
    .private_segment_fixed_size: 0
    .sgpr_count:     74
    .sgpr_spill_count: 0
    .symbol:         _ZN2at6native16triu_tril_kernelIN3c107complexIfEElLb0ELi2ELb0EEEvNS_4cuda6detail10TensorInfoIT_T0_EENS7_IKS8_S9_EEllS9_.kd
    .uniform_work_group_size: 1
    .uses_dynamic_stack: false
    .vgpr_count:     28
    .vgpr_spill_count: 0
    .wavefront_size: 32
    .workgroup_processor_mode: 1
  - .args:
      - .offset:         0
        .size:           216
        .value_kind:     by_value
      - .offset:         216
        .size:           216
        .value_kind:     by_value
      - .offset:         432
        .size:           8
        .value_kind:     by_value
      - .offset:         440
        .size:           8
        .value_kind:     by_value
      - .offset:         448
        .size:           4
        .value_kind:     by_value
      - .offset:         456
        .size:           4
        .value_kind:     hidden_block_count_x
      - .offset:         460
        .size:           4
        .value_kind:     hidden_block_count_y
      - .offset:         464
        .size:           4
        .value_kind:     hidden_block_count_z
      - .offset:         468
        .size:           2
        .value_kind:     hidden_group_size_x
      - .offset:         470
        .size:           2
        .value_kind:     hidden_group_size_y
      - .offset:         472
        .size:           2
        .value_kind:     hidden_group_size_z
      - .offset:         474
        .size:           2
        .value_kind:     hidden_remainder_x
      - .offset:         476
        .size:           2
        .value_kind:     hidden_remainder_y
      - .offset:         478
        .size:           2
        .value_kind:     hidden_remainder_z
      - .offset:         496
        .size:           8
        .value_kind:     hidden_global_offset_x
      - .offset:         504
        .size:           8
        .value_kind:     hidden_global_offset_y
      - .offset:         512
        .size:           8
        .value_kind:     hidden_global_offset_z
      - .offset:         520
        .size:           2
        .value_kind:     hidden_grid_dims
    .group_segment_fixed_size: 0
    .kernarg_segment_align: 8
    .kernarg_segment_size: 712
    .language:       OpenCL C
    .language_version:
      - 2
      - 0
    .max_flat_workgroup_size: 128
    .name:           _ZN2at6native16triu_tril_kernelIN3c107complexINS2_4HalfEEEiLb0ELi2ELb1EEEvNS_4cuda6detail10TensorInfoIT_T0_EENS8_IKS9_SA_EEllSA_
    .private_segment_fixed_size: 0
    .sgpr_count:     68
    .sgpr_spill_count: 0
    .symbol:         _ZN2at6native16triu_tril_kernelIN3c107complexINS2_4HalfEEEiLb0ELi2ELb1EEEvNS_4cuda6detail10TensorInfoIT_T0_EENS8_IKS9_SA_EEllSA_.kd
    .uniform_work_group_size: 1
    .uses_dynamic_stack: false
    .vgpr_count:     33
    .vgpr_spill_count: 0
    .wavefront_size: 32
    .workgroup_processor_mode: 1
  - .args:
      - .offset:         0
        .size:           216
        .value_kind:     by_value
      - .offset:         216
        .size:           216
        .value_kind:     by_value
      - .offset:         432
        .size:           8
        .value_kind:     by_value
      - .offset:         440
        .size:           8
        .value_kind:     by_value
      - .offset:         448
        .size:           4
        .value_kind:     by_value
      - .offset:         456
        .size:           4
        .value_kind:     hidden_block_count_x
      - .offset:         460
        .size:           4
        .value_kind:     hidden_block_count_y
      - .offset:         464
        .size:           4
        .value_kind:     hidden_block_count_z
      - .offset:         468
        .size:           2
        .value_kind:     hidden_group_size_x
      - .offset:         470
        .size:           2
        .value_kind:     hidden_group_size_y
      - .offset:         472
        .size:           2
        .value_kind:     hidden_group_size_z
      - .offset:         474
        .size:           2
        .value_kind:     hidden_remainder_x
      - .offset:         476
        .size:           2
        .value_kind:     hidden_remainder_y
      - .offset:         478
        .size:           2
        .value_kind:     hidden_remainder_z
      - .offset:         496
        .size:           8
        .value_kind:     hidden_global_offset_x
      - .offset:         504
        .size:           8
        .value_kind:     hidden_global_offset_y
      - .offset:         512
        .size:           8
        .value_kind:     hidden_global_offset_z
      - .offset:         520
        .size:           2
        .value_kind:     hidden_grid_dims
    .group_segment_fixed_size: 0
    .kernarg_segment_align: 8
    .kernarg_segment_size: 712
    .language:       OpenCL C
    .language_version:
      - 2
      - 0
    .max_flat_workgroup_size: 128
    .name:           _ZN2at6native16triu_tril_kernelIN3c107complexINS2_4HalfEEEiLb0ELi2ELb0EEEvNS_4cuda6detail10TensorInfoIT_T0_EENS8_IKS9_SA_EEllSA_
    .private_segment_fixed_size: 0
    .sgpr_count:     70
    .sgpr_spill_count: 0
    .symbol:         _ZN2at6native16triu_tril_kernelIN3c107complexINS2_4HalfEEEiLb0ELi2ELb0EEEvNS_4cuda6detail10TensorInfoIT_T0_EENS8_IKS9_SA_EEllSA_.kd
    .uniform_work_group_size: 1
    .uses_dynamic_stack: false
    .vgpr_count:     26
    .vgpr_spill_count: 0
    .wavefront_size: 32
    .workgroup_processor_mode: 1
  - .args:
      - .offset:         0
        .size:           416
        .value_kind:     by_value
      - .offset:         416
        .size:           416
        .value_kind:     by_value
      - .offset:         832
        .size:           8
        .value_kind:     by_value
      - .offset:         840
        .size:           8
        .value_kind:     by_value
      - .offset:         848
        .size:           8
        .value_kind:     by_value
      - .offset:         856
        .size:           4
        .value_kind:     hidden_block_count_x
      - .offset:         860
        .size:           4
        .value_kind:     hidden_block_count_y
      - .offset:         864
        .size:           4
        .value_kind:     hidden_block_count_z
      - .offset:         868
        .size:           2
        .value_kind:     hidden_group_size_x
      - .offset:         870
        .size:           2
        .value_kind:     hidden_group_size_y
      - .offset:         872
        .size:           2
        .value_kind:     hidden_group_size_z
      - .offset:         874
        .size:           2
        .value_kind:     hidden_remainder_x
      - .offset:         876
        .size:           2
        .value_kind:     hidden_remainder_y
      - .offset:         878
        .size:           2
        .value_kind:     hidden_remainder_z
      - .offset:         896
        .size:           8
        .value_kind:     hidden_global_offset_x
      - .offset:         904
        .size:           8
        .value_kind:     hidden_global_offset_y
      - .offset:         912
        .size:           8
        .value_kind:     hidden_global_offset_z
      - .offset:         920
        .size:           2
        .value_kind:     hidden_grid_dims
    .group_segment_fixed_size: 0
    .kernarg_segment_align: 8
    .kernarg_segment_size: 1112
    .language:       OpenCL C
    .language_version:
      - 2
      - 0
    .max_flat_workgroup_size: 128
    .name:           _ZN2at6native16triu_tril_kernelIN3c107complexINS2_4HalfEEElLb0ELi2ELb1EEEvNS_4cuda6detail10TensorInfoIT_T0_EENS8_IKS9_SA_EEllSA_
    .private_segment_fixed_size: 0
    .sgpr_count:     77
    .sgpr_spill_count: 0
    .symbol:         _ZN2at6native16triu_tril_kernelIN3c107complexINS2_4HalfEEElLb0ELi2ELb1EEEvNS_4cuda6detail10TensorInfoIT_T0_EENS8_IKS9_SA_EEllSA_.kd
    .uniform_work_group_size: 1
    .uses_dynamic_stack: false
    .vgpr_count:     32
    .vgpr_spill_count: 0
    .wavefront_size: 32
    .workgroup_processor_mode: 1
  - .args:
      - .offset:         0
        .size:           416
        .value_kind:     by_value
      - .offset:         416
        .size:           416
        .value_kind:     by_value
      - .offset:         832
        .size:           8
        .value_kind:     by_value
      - .offset:         840
        .size:           8
        .value_kind:     by_value
      - .offset:         848
        .size:           8
        .value_kind:     by_value
      - .offset:         856
        .size:           4
        .value_kind:     hidden_block_count_x
      - .offset:         860
        .size:           4
        .value_kind:     hidden_block_count_y
      - .offset:         864
        .size:           4
        .value_kind:     hidden_block_count_z
      - .offset:         868
        .size:           2
        .value_kind:     hidden_group_size_x
      - .offset:         870
        .size:           2
        .value_kind:     hidden_group_size_y
      - .offset:         872
        .size:           2
        .value_kind:     hidden_group_size_z
      - .offset:         874
        .size:           2
        .value_kind:     hidden_remainder_x
      - .offset:         876
        .size:           2
        .value_kind:     hidden_remainder_y
      - .offset:         878
        .size:           2
        .value_kind:     hidden_remainder_z
      - .offset:         896
        .size:           8
        .value_kind:     hidden_global_offset_x
      - .offset:         904
        .size:           8
        .value_kind:     hidden_global_offset_y
      - .offset:         912
        .size:           8
        .value_kind:     hidden_global_offset_z
      - .offset:         920
        .size:           2
        .value_kind:     hidden_grid_dims
    .group_segment_fixed_size: 0
    .kernarg_segment_align: 8
    .kernarg_segment_size: 1112
    .language:       OpenCL C
    .language_version:
      - 2
      - 0
    .max_flat_workgroup_size: 128
    .name:           _ZN2at6native16triu_tril_kernelIN3c107complexINS2_4HalfEEElLb0ELi2ELb0EEEvNS_4cuda6detail10TensorInfoIT_T0_EENS8_IKS9_SA_EEllSA_
    .private_segment_fixed_size: 0
    .sgpr_count:     74
    .sgpr_spill_count: 0
    .symbol:         _ZN2at6native16triu_tril_kernelIN3c107complexINS2_4HalfEEElLb0ELi2ELb0EEEvNS_4cuda6detail10TensorInfoIT_T0_EENS8_IKS9_SA_EEllSA_.kd
    .uniform_work_group_size: 1
    .uses_dynamic_stack: false
    .vgpr_count:     28
    .vgpr_spill_count: 0
    .wavefront_size: 32
    .workgroup_processor_mode: 1
  - .args:
      - .offset:         0
        .size:           216
        .value_kind:     by_value
      - .offset:         216
        .size:           216
        .value_kind:     by_value
      - .offset:         432
        .size:           8
        .value_kind:     by_value
      - .offset:         440
        .size:           8
        .value_kind:     by_value
      - .offset:         448
        .size:           4
        .value_kind:     by_value
      - .offset:         456
        .size:           4
        .value_kind:     hidden_block_count_x
      - .offset:         460
        .size:           4
        .value_kind:     hidden_block_count_y
      - .offset:         464
        .size:           4
        .value_kind:     hidden_block_count_z
      - .offset:         468
        .size:           2
        .value_kind:     hidden_group_size_x
      - .offset:         470
        .size:           2
        .value_kind:     hidden_group_size_y
      - .offset:         472
        .size:           2
        .value_kind:     hidden_group_size_z
      - .offset:         474
        .size:           2
        .value_kind:     hidden_remainder_x
      - .offset:         476
        .size:           2
        .value_kind:     hidden_remainder_y
      - .offset:         478
        .size:           2
        .value_kind:     hidden_remainder_z
      - .offset:         496
        .size:           8
        .value_kind:     hidden_global_offset_x
      - .offset:         504
        .size:           8
        .value_kind:     hidden_global_offset_y
      - .offset:         512
        .size:           8
        .value_kind:     hidden_global_offset_z
      - .offset:         520
        .size:           2
        .value_kind:     hidden_grid_dims
    .group_segment_fixed_size: 0
    .kernarg_segment_align: 8
    .kernarg_segment_size: 712
    .language:       OpenCL C
    .language_version:
      - 2
      - 0
    .max_flat_workgroup_size: 128
    .name:           _ZN2at6native16triu_tril_kernelIN3c104HalfEiLb0ELi4ELb1EEEvNS_4cuda6detail10TensorInfoIT_T0_EENS6_IKS7_S8_EEllS8_
    .private_segment_fixed_size: 0
    .sgpr_count:     68
    .sgpr_spill_count: 0
    .symbol:         _ZN2at6native16triu_tril_kernelIN3c104HalfEiLb0ELi4ELb1EEEvNS_4cuda6detail10TensorInfoIT_T0_EENS6_IKS7_S8_EEllS8_.kd
    .uniform_work_group_size: 1
    .uses_dynamic_stack: false
    .vgpr_count:     33
    .vgpr_spill_count: 0
    .wavefront_size: 32
    .workgroup_processor_mode: 1
  - .args:
      - .offset:         0
        .size:           216
        .value_kind:     by_value
      - .offset:         216
        .size:           216
        .value_kind:     by_value
      - .offset:         432
        .size:           8
        .value_kind:     by_value
      - .offset:         440
        .size:           8
        .value_kind:     by_value
      - .offset:         448
        .size:           4
        .value_kind:     by_value
      - .offset:         456
        .size:           4
        .value_kind:     hidden_block_count_x
      - .offset:         460
        .size:           4
        .value_kind:     hidden_block_count_y
      - .offset:         464
        .size:           4
        .value_kind:     hidden_block_count_z
      - .offset:         468
        .size:           2
        .value_kind:     hidden_group_size_x
      - .offset:         470
        .size:           2
        .value_kind:     hidden_group_size_y
      - .offset:         472
        .size:           2
        .value_kind:     hidden_group_size_z
      - .offset:         474
        .size:           2
        .value_kind:     hidden_remainder_x
      - .offset:         476
        .size:           2
        .value_kind:     hidden_remainder_y
      - .offset:         478
        .size:           2
        .value_kind:     hidden_remainder_z
      - .offset:         496
        .size:           8
        .value_kind:     hidden_global_offset_x
      - .offset:         504
        .size:           8
        .value_kind:     hidden_global_offset_y
      - .offset:         512
        .size:           8
        .value_kind:     hidden_global_offset_z
      - .offset:         520
        .size:           2
        .value_kind:     hidden_grid_dims
    .group_segment_fixed_size: 0
    .kernarg_segment_align: 8
    .kernarg_segment_size: 712
    .language:       OpenCL C
    .language_version:
      - 2
      - 0
    .max_flat_workgroup_size: 128
    .name:           _ZN2at6native16triu_tril_kernelIN3c104HalfEiLb0ELi4ELb0EEEvNS_4cuda6detail10TensorInfoIT_T0_EENS6_IKS7_S8_EEllS8_
    .private_segment_fixed_size: 0
    .sgpr_count:     72
    .sgpr_spill_count: 0
    .symbol:         _ZN2at6native16triu_tril_kernelIN3c104HalfEiLb0ELi4ELb0EEEvNS_4cuda6detail10TensorInfoIT_T0_EENS6_IKS7_S8_EEllS8_.kd
    .uniform_work_group_size: 1
    .uses_dynamic_stack: false
    .vgpr_count:     26
    .vgpr_spill_count: 0
    .wavefront_size: 32
    .workgroup_processor_mode: 1
  - .args:
      - .offset:         0
        .size:           416
        .value_kind:     by_value
      - .offset:         416
        .size:           416
        .value_kind:     by_value
      - .offset:         832
        .size:           8
        .value_kind:     by_value
      - .offset:         840
        .size:           8
        .value_kind:     by_value
      - .offset:         848
        .size:           8
        .value_kind:     by_value
      - .offset:         856
        .size:           4
        .value_kind:     hidden_block_count_x
      - .offset:         860
        .size:           4
        .value_kind:     hidden_block_count_y
      - .offset:         864
        .size:           4
        .value_kind:     hidden_block_count_z
      - .offset:         868
        .size:           2
        .value_kind:     hidden_group_size_x
      - .offset:         870
        .size:           2
        .value_kind:     hidden_group_size_y
      - .offset:         872
        .size:           2
        .value_kind:     hidden_group_size_z
      - .offset:         874
        .size:           2
        .value_kind:     hidden_remainder_x
      - .offset:         876
        .size:           2
        .value_kind:     hidden_remainder_y
      - .offset:         878
        .size:           2
        .value_kind:     hidden_remainder_z
      - .offset:         896
        .size:           8
        .value_kind:     hidden_global_offset_x
      - .offset:         904
        .size:           8
        .value_kind:     hidden_global_offset_y
      - .offset:         912
        .size:           8
        .value_kind:     hidden_global_offset_z
      - .offset:         920
        .size:           2
        .value_kind:     hidden_grid_dims
    .group_segment_fixed_size: 0
    .kernarg_segment_align: 8
    .kernarg_segment_size: 1112
    .language:       OpenCL C
    .language_version:
      - 2
      - 0
    .max_flat_workgroup_size: 128
    .name:           _ZN2at6native16triu_tril_kernelIN3c104HalfElLb0ELi4ELb1EEEvNS_4cuda6detail10TensorInfoIT_T0_EENS6_IKS7_S8_EEllS8_
    .private_segment_fixed_size: 0
    .sgpr_count:     77
    .sgpr_spill_count: 0
    .symbol:         _ZN2at6native16triu_tril_kernelIN3c104HalfElLb0ELi4ELb1EEEvNS_4cuda6detail10TensorInfoIT_T0_EENS6_IKS7_S8_EEllS8_.kd
    .uniform_work_group_size: 1
    .uses_dynamic_stack: false
    .vgpr_count:     32
    .vgpr_spill_count: 0
    .wavefront_size: 32
    .workgroup_processor_mode: 1
  - .args:
      - .offset:         0
        .size:           416
        .value_kind:     by_value
      - .offset:         416
        .size:           416
        .value_kind:     by_value
      - .offset:         832
        .size:           8
        .value_kind:     by_value
      - .offset:         840
        .size:           8
        .value_kind:     by_value
      - .offset:         848
        .size:           8
        .value_kind:     by_value
      - .offset:         856
        .size:           4
        .value_kind:     hidden_block_count_x
      - .offset:         860
        .size:           4
        .value_kind:     hidden_block_count_y
      - .offset:         864
        .size:           4
        .value_kind:     hidden_block_count_z
      - .offset:         868
        .size:           2
        .value_kind:     hidden_group_size_x
      - .offset:         870
        .size:           2
        .value_kind:     hidden_group_size_y
      - .offset:         872
        .size:           2
        .value_kind:     hidden_group_size_z
      - .offset:         874
        .size:           2
        .value_kind:     hidden_remainder_x
      - .offset:         876
        .size:           2
        .value_kind:     hidden_remainder_y
      - .offset:         878
        .size:           2
        .value_kind:     hidden_remainder_z
      - .offset:         896
        .size:           8
        .value_kind:     hidden_global_offset_x
      - .offset:         904
        .size:           8
        .value_kind:     hidden_global_offset_y
      - .offset:         912
        .size:           8
        .value_kind:     hidden_global_offset_z
      - .offset:         920
        .size:           2
        .value_kind:     hidden_grid_dims
    .group_segment_fixed_size: 0
    .kernarg_segment_align: 8
    .kernarg_segment_size: 1112
    .language:       OpenCL C
    .language_version:
      - 2
      - 0
    .max_flat_workgroup_size: 128
    .name:           _ZN2at6native16triu_tril_kernelIN3c104HalfElLb0ELi4ELb0EEEvNS_4cuda6detail10TensorInfoIT_T0_EENS6_IKS7_S8_EEllS8_
    .private_segment_fixed_size: 0
    .sgpr_count:     82
    .sgpr_spill_count: 0
    .symbol:         _ZN2at6native16triu_tril_kernelIN3c104HalfElLb0ELi4ELb0EEEvNS_4cuda6detail10TensorInfoIT_T0_EENS6_IKS7_S8_EEllS8_.kd
    .uniform_work_group_size: 1
    .uses_dynamic_stack: false
    .vgpr_count:     28
    .vgpr_spill_count: 0
    .wavefront_size: 32
    .workgroup_processor_mode: 1
  - .args:
      - .offset:         0
        .size:           216
        .value_kind:     by_value
      - .offset:         216
        .size:           216
        .value_kind:     by_value
      - .offset:         432
        .size:           8
        .value_kind:     by_value
      - .offset:         440
        .size:           8
        .value_kind:     by_value
      - .offset:         448
        .size:           4
        .value_kind:     by_value
      - .offset:         456
        .size:           4
        .value_kind:     hidden_block_count_x
      - .offset:         460
        .size:           4
        .value_kind:     hidden_block_count_y
      - .offset:         464
        .size:           4
        .value_kind:     hidden_block_count_z
      - .offset:         468
        .size:           2
        .value_kind:     hidden_group_size_x
      - .offset:         470
        .size:           2
        .value_kind:     hidden_group_size_y
      - .offset:         472
        .size:           2
        .value_kind:     hidden_group_size_z
      - .offset:         474
        .size:           2
        .value_kind:     hidden_remainder_x
      - .offset:         476
        .size:           2
        .value_kind:     hidden_remainder_y
      - .offset:         478
        .size:           2
        .value_kind:     hidden_remainder_z
      - .offset:         496
        .size:           8
        .value_kind:     hidden_global_offset_x
      - .offset:         504
        .size:           8
        .value_kind:     hidden_global_offset_y
      - .offset:         512
        .size:           8
        .value_kind:     hidden_global_offset_z
      - .offset:         520
        .size:           2
        .value_kind:     hidden_grid_dims
    .group_segment_fixed_size: 0
    .kernarg_segment_align: 8
    .kernarg_segment_size: 712
    .language:       OpenCL C
    .language_version:
      - 2
      - 0
    .max_flat_workgroup_size: 128
    .name:           _ZN2at6native16triu_tril_kernelIN3c108BFloat16EiLb0ELi4ELb1EEEvNS_4cuda6detail10TensorInfoIT_T0_EENS6_IKS7_S8_EEllS8_
    .private_segment_fixed_size: 0
    .sgpr_count:     68
    .sgpr_spill_count: 0
    .symbol:         _ZN2at6native16triu_tril_kernelIN3c108BFloat16EiLb0ELi4ELb1EEEvNS_4cuda6detail10TensorInfoIT_T0_EENS6_IKS7_S8_EEllS8_.kd
    .uniform_work_group_size: 1
    .uses_dynamic_stack: false
    .vgpr_count:     33
    .vgpr_spill_count: 0
    .wavefront_size: 32
    .workgroup_processor_mode: 1
  - .args:
      - .offset:         0
        .size:           216
        .value_kind:     by_value
      - .offset:         216
        .size:           216
        .value_kind:     by_value
      - .offset:         432
        .size:           8
        .value_kind:     by_value
      - .offset:         440
        .size:           8
        .value_kind:     by_value
      - .offset:         448
        .size:           4
        .value_kind:     by_value
      - .offset:         456
        .size:           4
        .value_kind:     hidden_block_count_x
      - .offset:         460
        .size:           4
        .value_kind:     hidden_block_count_y
      - .offset:         464
        .size:           4
        .value_kind:     hidden_block_count_z
      - .offset:         468
        .size:           2
        .value_kind:     hidden_group_size_x
      - .offset:         470
        .size:           2
        .value_kind:     hidden_group_size_y
      - .offset:         472
        .size:           2
        .value_kind:     hidden_group_size_z
      - .offset:         474
        .size:           2
        .value_kind:     hidden_remainder_x
      - .offset:         476
        .size:           2
        .value_kind:     hidden_remainder_y
      - .offset:         478
        .size:           2
        .value_kind:     hidden_remainder_z
      - .offset:         496
        .size:           8
        .value_kind:     hidden_global_offset_x
      - .offset:         504
        .size:           8
        .value_kind:     hidden_global_offset_y
      - .offset:         512
        .size:           8
        .value_kind:     hidden_global_offset_z
      - .offset:         520
        .size:           2
        .value_kind:     hidden_grid_dims
    .group_segment_fixed_size: 0
    .kernarg_segment_align: 8
    .kernarg_segment_size: 712
    .language:       OpenCL C
    .language_version:
      - 2
      - 0
    .max_flat_workgroup_size: 128
    .name:           _ZN2at6native16triu_tril_kernelIN3c108BFloat16EiLb0ELi4ELb0EEEvNS_4cuda6detail10TensorInfoIT_T0_EENS6_IKS7_S8_EEllS8_
    .private_segment_fixed_size: 0
    .sgpr_count:     72
    .sgpr_spill_count: 0
    .symbol:         _ZN2at6native16triu_tril_kernelIN3c108BFloat16EiLb0ELi4ELb0EEEvNS_4cuda6detail10TensorInfoIT_T0_EENS6_IKS7_S8_EEllS8_.kd
    .uniform_work_group_size: 1
    .uses_dynamic_stack: false
    .vgpr_count:     26
    .vgpr_spill_count: 0
    .wavefront_size: 32
    .workgroup_processor_mode: 1
  - .args:
      - .offset:         0
        .size:           416
        .value_kind:     by_value
      - .offset:         416
        .size:           416
        .value_kind:     by_value
      - .offset:         832
        .size:           8
        .value_kind:     by_value
      - .offset:         840
        .size:           8
        .value_kind:     by_value
      - .offset:         848
        .size:           8
        .value_kind:     by_value
      - .offset:         856
        .size:           4
        .value_kind:     hidden_block_count_x
      - .offset:         860
        .size:           4
        .value_kind:     hidden_block_count_y
      - .offset:         864
        .size:           4
        .value_kind:     hidden_block_count_z
      - .offset:         868
        .size:           2
        .value_kind:     hidden_group_size_x
      - .offset:         870
        .size:           2
        .value_kind:     hidden_group_size_y
      - .offset:         872
        .size:           2
        .value_kind:     hidden_group_size_z
      - .offset:         874
        .size:           2
        .value_kind:     hidden_remainder_x
      - .offset:         876
        .size:           2
        .value_kind:     hidden_remainder_y
      - .offset:         878
        .size:           2
        .value_kind:     hidden_remainder_z
      - .offset:         896
        .size:           8
        .value_kind:     hidden_global_offset_x
      - .offset:         904
        .size:           8
        .value_kind:     hidden_global_offset_y
      - .offset:         912
        .size:           8
        .value_kind:     hidden_global_offset_z
      - .offset:         920
        .size:           2
        .value_kind:     hidden_grid_dims
    .group_segment_fixed_size: 0
    .kernarg_segment_align: 8
    .kernarg_segment_size: 1112
    .language:       OpenCL C
    .language_version:
      - 2
      - 0
    .max_flat_workgroup_size: 128
    .name:           _ZN2at6native16triu_tril_kernelIN3c108BFloat16ElLb0ELi4ELb1EEEvNS_4cuda6detail10TensorInfoIT_T0_EENS6_IKS7_S8_EEllS8_
    .private_segment_fixed_size: 0
    .sgpr_count:     77
    .sgpr_spill_count: 0
    .symbol:         _ZN2at6native16triu_tril_kernelIN3c108BFloat16ElLb0ELi4ELb1EEEvNS_4cuda6detail10TensorInfoIT_T0_EENS6_IKS7_S8_EEllS8_.kd
    .uniform_work_group_size: 1
    .uses_dynamic_stack: false
    .vgpr_count:     32
    .vgpr_spill_count: 0
    .wavefront_size: 32
    .workgroup_processor_mode: 1
  - .args:
      - .offset:         0
        .size:           416
        .value_kind:     by_value
      - .offset:         416
        .size:           416
        .value_kind:     by_value
      - .offset:         832
        .size:           8
        .value_kind:     by_value
      - .offset:         840
        .size:           8
        .value_kind:     by_value
      - .offset:         848
        .size:           8
        .value_kind:     by_value
      - .offset:         856
        .size:           4
        .value_kind:     hidden_block_count_x
      - .offset:         860
        .size:           4
        .value_kind:     hidden_block_count_y
      - .offset:         864
        .size:           4
        .value_kind:     hidden_block_count_z
      - .offset:         868
        .size:           2
        .value_kind:     hidden_group_size_x
      - .offset:         870
        .size:           2
        .value_kind:     hidden_group_size_y
      - .offset:         872
        .size:           2
        .value_kind:     hidden_group_size_z
      - .offset:         874
        .size:           2
        .value_kind:     hidden_remainder_x
      - .offset:         876
        .size:           2
        .value_kind:     hidden_remainder_y
      - .offset:         878
        .size:           2
        .value_kind:     hidden_remainder_z
      - .offset:         896
        .size:           8
        .value_kind:     hidden_global_offset_x
      - .offset:         904
        .size:           8
        .value_kind:     hidden_global_offset_y
      - .offset:         912
        .size:           8
        .value_kind:     hidden_global_offset_z
      - .offset:         920
        .size:           2
        .value_kind:     hidden_grid_dims
    .group_segment_fixed_size: 0
    .kernarg_segment_align: 8
    .kernarg_segment_size: 1112
    .language:       OpenCL C
    .language_version:
      - 2
      - 0
    .max_flat_workgroup_size: 128
    .name:           _ZN2at6native16triu_tril_kernelIN3c108BFloat16ElLb0ELi4ELb0EEEvNS_4cuda6detail10TensorInfoIT_T0_EENS6_IKS7_S8_EEllS8_
    .private_segment_fixed_size: 0
    .sgpr_count:     82
    .sgpr_spill_count: 0
    .symbol:         _ZN2at6native16triu_tril_kernelIN3c108BFloat16ElLb0ELi4ELb0EEEvNS_4cuda6detail10TensorInfoIT_T0_EENS6_IKS7_S8_EEllS8_.kd
    .uniform_work_group_size: 1
    .uses_dynamic_stack: false
    .vgpr_count:     28
    .vgpr_spill_count: 0
    .wavefront_size: 32
    .workgroup_processor_mode: 1
  - .args:
      - .offset:         0
        .size:           216
        .value_kind:     by_value
      - .offset:         216
        .size:           216
        .value_kind:     by_value
      - .offset:         432
        .size:           8
        .value_kind:     by_value
      - .offset:         440
        .size:           8
        .value_kind:     by_value
      - .offset:         448
        .size:           4
        .value_kind:     by_value
      - .offset:         456
        .size:           4
        .value_kind:     hidden_block_count_x
      - .offset:         460
        .size:           4
        .value_kind:     hidden_block_count_y
      - .offset:         464
        .size:           4
        .value_kind:     hidden_block_count_z
      - .offset:         468
        .size:           2
        .value_kind:     hidden_group_size_x
      - .offset:         470
        .size:           2
        .value_kind:     hidden_group_size_y
      - .offset:         472
        .size:           2
        .value_kind:     hidden_group_size_z
      - .offset:         474
        .size:           2
        .value_kind:     hidden_remainder_x
      - .offset:         476
        .size:           2
        .value_kind:     hidden_remainder_y
      - .offset:         478
        .size:           2
        .value_kind:     hidden_remainder_z
      - .offset:         496
        .size:           8
        .value_kind:     hidden_global_offset_x
      - .offset:         504
        .size:           8
        .value_kind:     hidden_global_offset_y
      - .offset:         512
        .size:           8
        .value_kind:     hidden_global_offset_z
      - .offset:         520
        .size:           2
        .value_kind:     hidden_grid_dims
    .group_segment_fixed_size: 0
    .kernarg_segment_align: 8
    .kernarg_segment_size: 712
    .language:       OpenCL C
    .language_version:
      - 2
      - 0
    .max_flat_workgroup_size: 128
    .name:           _ZN2at6native16triu_tril_kernelIbiLb0ELi4ELb1EEEvNS_4cuda6detail10TensorInfoIT_T0_EENS4_IKS5_S6_EEllS6_
    .private_segment_fixed_size: 0
    .sgpr_count:     68
    .sgpr_spill_count: 0
    .symbol:         _ZN2at6native16triu_tril_kernelIbiLb0ELi4ELb1EEEvNS_4cuda6detail10TensorInfoIT_T0_EENS4_IKS5_S6_EEllS6_.kd
    .uniform_work_group_size: 1
    .uses_dynamic_stack: false
    .vgpr_count:     33
    .vgpr_spill_count: 0
    .wavefront_size: 32
    .workgroup_processor_mode: 1
  - .args:
      - .offset:         0
        .size:           216
        .value_kind:     by_value
      - .offset:         216
        .size:           216
        .value_kind:     by_value
      - .offset:         432
        .size:           8
        .value_kind:     by_value
      - .offset:         440
        .size:           8
        .value_kind:     by_value
      - .offset:         448
        .size:           4
        .value_kind:     by_value
      - .offset:         456
        .size:           4
        .value_kind:     hidden_block_count_x
      - .offset:         460
        .size:           4
        .value_kind:     hidden_block_count_y
      - .offset:         464
        .size:           4
        .value_kind:     hidden_block_count_z
      - .offset:         468
        .size:           2
        .value_kind:     hidden_group_size_x
      - .offset:         470
        .size:           2
        .value_kind:     hidden_group_size_y
      - .offset:         472
        .size:           2
        .value_kind:     hidden_group_size_z
      - .offset:         474
        .size:           2
        .value_kind:     hidden_remainder_x
      - .offset:         476
        .size:           2
        .value_kind:     hidden_remainder_y
      - .offset:         478
        .size:           2
        .value_kind:     hidden_remainder_z
      - .offset:         496
        .size:           8
        .value_kind:     hidden_global_offset_x
      - .offset:         504
        .size:           8
        .value_kind:     hidden_global_offset_y
      - .offset:         512
        .size:           8
        .value_kind:     hidden_global_offset_z
      - .offset:         520
        .size:           2
        .value_kind:     hidden_grid_dims
    .group_segment_fixed_size: 0
    .kernarg_segment_align: 8
    .kernarg_segment_size: 712
    .language:       OpenCL C
    .language_version:
      - 2
      - 0
    .max_flat_workgroup_size: 128
    .name:           _ZN2at6native16triu_tril_kernelIbiLb0ELi4ELb0EEEvNS_4cuda6detail10TensorInfoIT_T0_EENS4_IKS5_S6_EEllS6_
    .private_segment_fixed_size: 0
    .sgpr_count:     72
    .sgpr_spill_count: 0
    .symbol:         _ZN2at6native16triu_tril_kernelIbiLb0ELi4ELb0EEEvNS_4cuda6detail10TensorInfoIT_T0_EENS4_IKS5_S6_EEllS6_.kd
    .uniform_work_group_size: 1
    .uses_dynamic_stack: false
    .vgpr_count:     26
    .vgpr_spill_count: 0
    .wavefront_size: 32
    .workgroup_processor_mode: 1
  - .args:
      - .offset:         0
        .size:           416
        .value_kind:     by_value
      - .offset:         416
        .size:           416
        .value_kind:     by_value
      - .offset:         832
        .size:           8
        .value_kind:     by_value
      - .offset:         840
        .size:           8
        .value_kind:     by_value
      - .offset:         848
        .size:           8
        .value_kind:     by_value
      - .offset:         856
        .size:           4
        .value_kind:     hidden_block_count_x
      - .offset:         860
        .size:           4
        .value_kind:     hidden_block_count_y
      - .offset:         864
        .size:           4
        .value_kind:     hidden_block_count_z
      - .offset:         868
        .size:           2
        .value_kind:     hidden_group_size_x
      - .offset:         870
        .size:           2
        .value_kind:     hidden_group_size_y
      - .offset:         872
        .size:           2
        .value_kind:     hidden_group_size_z
      - .offset:         874
        .size:           2
        .value_kind:     hidden_remainder_x
      - .offset:         876
        .size:           2
        .value_kind:     hidden_remainder_y
      - .offset:         878
        .size:           2
        .value_kind:     hidden_remainder_z
      - .offset:         896
        .size:           8
        .value_kind:     hidden_global_offset_x
      - .offset:         904
        .size:           8
        .value_kind:     hidden_global_offset_y
      - .offset:         912
        .size:           8
        .value_kind:     hidden_global_offset_z
      - .offset:         920
        .size:           2
        .value_kind:     hidden_grid_dims
    .group_segment_fixed_size: 0
    .kernarg_segment_align: 8
    .kernarg_segment_size: 1112
    .language:       OpenCL C
    .language_version:
      - 2
      - 0
    .max_flat_workgroup_size: 128
    .name:           _ZN2at6native16triu_tril_kernelIblLb0ELi4ELb1EEEvNS_4cuda6detail10TensorInfoIT_T0_EENS4_IKS5_S6_EEllS6_
    .private_segment_fixed_size: 0
    .sgpr_count:     77
    .sgpr_spill_count: 0
    .symbol:         _ZN2at6native16triu_tril_kernelIblLb0ELi4ELb1EEEvNS_4cuda6detail10TensorInfoIT_T0_EENS4_IKS5_S6_EEllS6_.kd
    .uniform_work_group_size: 1
    .uses_dynamic_stack: false
    .vgpr_count:     32
    .vgpr_spill_count: 0
    .wavefront_size: 32
    .workgroup_processor_mode: 1
  - .args:
      - .offset:         0
        .size:           416
        .value_kind:     by_value
      - .offset:         416
        .size:           416
        .value_kind:     by_value
      - .offset:         832
        .size:           8
        .value_kind:     by_value
      - .offset:         840
        .size:           8
        .value_kind:     by_value
      - .offset:         848
        .size:           8
        .value_kind:     by_value
      - .offset:         856
        .size:           4
        .value_kind:     hidden_block_count_x
      - .offset:         860
        .size:           4
        .value_kind:     hidden_block_count_y
      - .offset:         864
        .size:           4
        .value_kind:     hidden_block_count_z
      - .offset:         868
        .size:           2
        .value_kind:     hidden_group_size_x
      - .offset:         870
        .size:           2
        .value_kind:     hidden_group_size_y
      - .offset:         872
        .size:           2
        .value_kind:     hidden_group_size_z
      - .offset:         874
        .size:           2
        .value_kind:     hidden_remainder_x
      - .offset:         876
        .size:           2
        .value_kind:     hidden_remainder_y
      - .offset:         878
        .size:           2
        .value_kind:     hidden_remainder_z
      - .offset:         896
        .size:           8
        .value_kind:     hidden_global_offset_x
      - .offset:         904
        .size:           8
        .value_kind:     hidden_global_offset_y
      - .offset:         912
        .size:           8
        .value_kind:     hidden_global_offset_z
      - .offset:         920
        .size:           2
        .value_kind:     hidden_grid_dims
    .group_segment_fixed_size: 0
    .kernarg_segment_align: 8
    .kernarg_segment_size: 1112
    .language:       OpenCL C
    .language_version:
      - 2
      - 0
    .max_flat_workgroup_size: 128
    .name:           _ZN2at6native16triu_tril_kernelIblLb0ELi4ELb0EEEvNS_4cuda6detail10TensorInfoIT_T0_EENS4_IKS5_S6_EEllS6_
    .private_segment_fixed_size: 0
    .sgpr_count:     74
    .sgpr_spill_count: 0
    .symbol:         _ZN2at6native16triu_tril_kernelIblLb0ELi4ELb0EEEvNS_4cuda6detail10TensorInfoIT_T0_EENS4_IKS5_S6_EEllS6_.kd
    .uniform_work_group_size: 1
    .uses_dynamic_stack: false
    .vgpr_count:     28
    .vgpr_spill_count: 0
    .wavefront_size: 32
    .workgroup_processor_mode: 1
  - .args:
      - .offset:         0
        .size:           216
        .value_kind:     by_value
      - .offset:         216
        .size:           216
        .value_kind:     by_value
      - .offset:         432
        .size:           8
        .value_kind:     by_value
      - .offset:         440
        .size:           8
        .value_kind:     by_value
      - .offset:         448
        .size:           4
        .value_kind:     by_value
      - .offset:         456
        .size:           4
        .value_kind:     hidden_block_count_x
      - .offset:         460
        .size:           4
        .value_kind:     hidden_block_count_y
      - .offset:         464
        .size:           4
        .value_kind:     hidden_block_count_z
      - .offset:         468
        .size:           2
        .value_kind:     hidden_group_size_x
      - .offset:         470
        .size:           2
        .value_kind:     hidden_group_size_y
      - .offset:         472
        .size:           2
        .value_kind:     hidden_group_size_z
      - .offset:         474
        .size:           2
        .value_kind:     hidden_remainder_x
      - .offset:         476
        .size:           2
        .value_kind:     hidden_remainder_y
      - .offset:         478
        .size:           2
        .value_kind:     hidden_remainder_z
      - .offset:         496
        .size:           8
        .value_kind:     hidden_global_offset_x
      - .offset:         504
        .size:           8
        .value_kind:     hidden_global_offset_y
      - .offset:         512
        .size:           8
        .value_kind:     hidden_global_offset_z
      - .offset:         520
        .size:           2
        .value_kind:     hidden_grid_dims
    .group_segment_fixed_size: 0
    .kernarg_segment_align: 8
    .kernarg_segment_size: 712
    .language:       OpenCL C
    .language_version:
      - 2
      - 0
    .max_flat_workgroup_size: 128
    .name:           _ZN2at6native16triu_tril_kernelIhiLb1ELi4ELb1EEEvNS_4cuda6detail10TensorInfoIT_T0_EENS4_IKS5_S6_EEllS6_
    .private_segment_fixed_size: 0
    .sgpr_count:     68
    .sgpr_spill_count: 0
    .symbol:         _ZN2at6native16triu_tril_kernelIhiLb1ELi4ELb1EEEvNS_4cuda6detail10TensorInfoIT_T0_EENS4_IKS5_S6_EEllS6_.kd
    .uniform_work_group_size: 1
    .uses_dynamic_stack: false
    .vgpr_count:     32
    .vgpr_spill_count: 0
    .wavefront_size: 32
    .workgroup_processor_mode: 1
  - .args:
      - .offset:         0
        .size:           216
        .value_kind:     by_value
      - .offset:         216
        .size:           216
        .value_kind:     by_value
      - .offset:         432
        .size:           8
        .value_kind:     by_value
      - .offset:         440
        .size:           8
        .value_kind:     by_value
      - .offset:         448
        .size:           4
        .value_kind:     by_value
      - .offset:         456
        .size:           4
        .value_kind:     hidden_block_count_x
      - .offset:         460
        .size:           4
        .value_kind:     hidden_block_count_y
      - .offset:         464
        .size:           4
        .value_kind:     hidden_block_count_z
      - .offset:         468
        .size:           2
        .value_kind:     hidden_group_size_x
      - .offset:         470
        .size:           2
        .value_kind:     hidden_group_size_y
      - .offset:         472
        .size:           2
        .value_kind:     hidden_group_size_z
      - .offset:         474
        .size:           2
        .value_kind:     hidden_remainder_x
      - .offset:         476
        .size:           2
        .value_kind:     hidden_remainder_y
      - .offset:         478
        .size:           2
        .value_kind:     hidden_remainder_z
      - .offset:         496
        .size:           8
        .value_kind:     hidden_global_offset_x
      - .offset:         504
        .size:           8
        .value_kind:     hidden_global_offset_y
      - .offset:         512
        .size:           8
        .value_kind:     hidden_global_offset_z
      - .offset:         520
        .size:           2
        .value_kind:     hidden_grid_dims
    .group_segment_fixed_size: 0
    .kernarg_segment_align: 8
    .kernarg_segment_size: 712
    .language:       OpenCL C
    .language_version:
      - 2
      - 0
    .max_flat_workgroup_size: 128
    .name:           _ZN2at6native16triu_tril_kernelIhiLb1ELi4ELb0EEEvNS_4cuda6detail10TensorInfoIT_T0_EENS4_IKS5_S6_EEllS6_
    .private_segment_fixed_size: 0
    .sgpr_count:     80
    .sgpr_spill_count: 0
    .symbol:         _ZN2at6native16triu_tril_kernelIhiLb1ELi4ELb0EEEvNS_4cuda6detail10TensorInfoIT_T0_EENS4_IKS5_S6_EEllS6_.kd
    .uniform_work_group_size: 1
    .uses_dynamic_stack: false
    .vgpr_count:     26
    .vgpr_spill_count: 0
    .wavefront_size: 32
    .workgroup_processor_mode: 1
  - .args:
      - .offset:         0
        .size:           416
        .value_kind:     by_value
      - .offset:         416
        .size:           416
        .value_kind:     by_value
      - .offset:         832
        .size:           8
        .value_kind:     by_value
      - .offset:         840
        .size:           8
        .value_kind:     by_value
      - .offset:         848
        .size:           8
        .value_kind:     by_value
      - .offset:         856
        .size:           4
        .value_kind:     hidden_block_count_x
      - .offset:         860
        .size:           4
        .value_kind:     hidden_block_count_y
      - .offset:         864
        .size:           4
        .value_kind:     hidden_block_count_z
      - .offset:         868
        .size:           2
        .value_kind:     hidden_group_size_x
      - .offset:         870
        .size:           2
        .value_kind:     hidden_group_size_y
      - .offset:         872
        .size:           2
        .value_kind:     hidden_group_size_z
      - .offset:         874
        .size:           2
        .value_kind:     hidden_remainder_x
      - .offset:         876
        .size:           2
        .value_kind:     hidden_remainder_y
      - .offset:         878
        .size:           2
        .value_kind:     hidden_remainder_z
      - .offset:         896
        .size:           8
        .value_kind:     hidden_global_offset_x
      - .offset:         904
        .size:           8
        .value_kind:     hidden_global_offset_y
      - .offset:         912
        .size:           8
        .value_kind:     hidden_global_offset_z
      - .offset:         920
        .size:           2
        .value_kind:     hidden_grid_dims
    .group_segment_fixed_size: 0
    .kernarg_segment_align: 8
    .kernarg_segment_size: 1112
    .language:       OpenCL C
    .language_version:
      - 2
      - 0
    .max_flat_workgroup_size: 128
    .name:           _ZN2at6native16triu_tril_kernelIhlLb1ELi4ELb1EEEvNS_4cuda6detail10TensorInfoIT_T0_EENS4_IKS5_S6_EEllS6_
    .private_segment_fixed_size: 0
    .sgpr_count:     77
    .sgpr_spill_count: 0
    .symbol:         _ZN2at6native16triu_tril_kernelIhlLb1ELi4ELb1EEEvNS_4cuda6detail10TensorInfoIT_T0_EENS4_IKS5_S6_EEllS6_.kd
    .uniform_work_group_size: 1
    .uses_dynamic_stack: false
    .vgpr_count:     30
    .vgpr_spill_count: 0
    .wavefront_size: 32
    .workgroup_processor_mode: 1
  - .args:
      - .offset:         0
        .size:           416
        .value_kind:     by_value
      - .offset:         416
        .size:           416
        .value_kind:     by_value
      - .offset:         832
        .size:           8
        .value_kind:     by_value
      - .offset:         840
        .size:           8
        .value_kind:     by_value
      - .offset:         848
        .size:           8
        .value_kind:     by_value
      - .offset:         856
        .size:           4
        .value_kind:     hidden_block_count_x
      - .offset:         860
        .size:           4
        .value_kind:     hidden_block_count_y
      - .offset:         864
        .size:           4
        .value_kind:     hidden_block_count_z
      - .offset:         868
        .size:           2
        .value_kind:     hidden_group_size_x
      - .offset:         870
        .size:           2
        .value_kind:     hidden_group_size_y
      - .offset:         872
        .size:           2
        .value_kind:     hidden_group_size_z
      - .offset:         874
        .size:           2
        .value_kind:     hidden_remainder_x
      - .offset:         876
        .size:           2
        .value_kind:     hidden_remainder_y
      - .offset:         878
        .size:           2
        .value_kind:     hidden_remainder_z
      - .offset:         896
        .size:           8
        .value_kind:     hidden_global_offset_x
      - .offset:         904
        .size:           8
        .value_kind:     hidden_global_offset_y
      - .offset:         912
        .size:           8
        .value_kind:     hidden_global_offset_z
      - .offset:         920
        .size:           2
        .value_kind:     hidden_grid_dims
    .group_segment_fixed_size: 0
    .kernarg_segment_align: 8
    .kernarg_segment_size: 1112
    .language:       OpenCL C
    .language_version:
      - 2
      - 0
    .max_flat_workgroup_size: 128
    .name:           _ZN2at6native16triu_tril_kernelIhlLb1ELi4ELb0EEEvNS_4cuda6detail10TensorInfoIT_T0_EENS4_IKS5_S6_EEllS6_
    .private_segment_fixed_size: 0
    .sgpr_count:     82
    .sgpr_spill_count: 0
    .symbol:         _ZN2at6native16triu_tril_kernelIhlLb1ELi4ELb0EEEvNS_4cuda6detail10TensorInfoIT_T0_EENS4_IKS5_S6_EEllS6_.kd
    .uniform_work_group_size: 1
    .uses_dynamic_stack: false
    .vgpr_count:     28
    .vgpr_spill_count: 0
    .wavefront_size: 32
    .workgroup_processor_mode: 1
  - .args:
      - .offset:         0
        .size:           216
        .value_kind:     by_value
      - .offset:         216
        .size:           216
        .value_kind:     by_value
      - .offset:         432
        .size:           8
        .value_kind:     by_value
      - .offset:         440
        .size:           8
        .value_kind:     by_value
      - .offset:         448
        .size:           4
        .value_kind:     by_value
      - .offset:         456
        .size:           4
        .value_kind:     hidden_block_count_x
      - .offset:         460
        .size:           4
        .value_kind:     hidden_block_count_y
      - .offset:         464
        .size:           4
        .value_kind:     hidden_block_count_z
      - .offset:         468
        .size:           2
        .value_kind:     hidden_group_size_x
      - .offset:         470
        .size:           2
        .value_kind:     hidden_group_size_y
      - .offset:         472
        .size:           2
        .value_kind:     hidden_group_size_z
      - .offset:         474
        .size:           2
        .value_kind:     hidden_remainder_x
      - .offset:         476
        .size:           2
        .value_kind:     hidden_remainder_y
      - .offset:         478
        .size:           2
        .value_kind:     hidden_remainder_z
      - .offset:         496
        .size:           8
        .value_kind:     hidden_global_offset_x
      - .offset:         504
        .size:           8
        .value_kind:     hidden_global_offset_y
      - .offset:         512
        .size:           8
        .value_kind:     hidden_global_offset_z
      - .offset:         520
        .size:           2
        .value_kind:     hidden_grid_dims
    .group_segment_fixed_size: 0
    .kernarg_segment_align: 8
    .kernarg_segment_size: 712
    .language:       OpenCL C
    .language_version:
      - 2
      - 0
    .max_flat_workgroup_size: 128
    .name:           _ZN2at6native16triu_tril_kernelIaiLb1ELi4ELb1EEEvNS_4cuda6detail10TensorInfoIT_T0_EENS4_IKS5_S6_EEllS6_
    .private_segment_fixed_size: 0
    .sgpr_count:     68
    .sgpr_spill_count: 0
    .symbol:         _ZN2at6native16triu_tril_kernelIaiLb1ELi4ELb1EEEvNS_4cuda6detail10TensorInfoIT_T0_EENS4_IKS5_S6_EEllS6_.kd
    .uniform_work_group_size: 1
    .uses_dynamic_stack: false
    .vgpr_count:     32
    .vgpr_spill_count: 0
    .wavefront_size: 32
    .workgroup_processor_mode: 1
  - .args:
      - .offset:         0
        .size:           216
        .value_kind:     by_value
      - .offset:         216
        .size:           216
        .value_kind:     by_value
      - .offset:         432
        .size:           8
        .value_kind:     by_value
      - .offset:         440
        .size:           8
        .value_kind:     by_value
      - .offset:         448
        .size:           4
        .value_kind:     by_value
      - .offset:         456
        .size:           4
        .value_kind:     hidden_block_count_x
      - .offset:         460
        .size:           4
        .value_kind:     hidden_block_count_y
      - .offset:         464
        .size:           4
        .value_kind:     hidden_block_count_z
      - .offset:         468
        .size:           2
        .value_kind:     hidden_group_size_x
      - .offset:         470
        .size:           2
        .value_kind:     hidden_group_size_y
      - .offset:         472
        .size:           2
        .value_kind:     hidden_group_size_z
      - .offset:         474
        .size:           2
        .value_kind:     hidden_remainder_x
      - .offset:         476
        .size:           2
        .value_kind:     hidden_remainder_y
      - .offset:         478
        .size:           2
        .value_kind:     hidden_remainder_z
      - .offset:         496
        .size:           8
        .value_kind:     hidden_global_offset_x
      - .offset:         504
        .size:           8
        .value_kind:     hidden_global_offset_y
      - .offset:         512
        .size:           8
        .value_kind:     hidden_global_offset_z
      - .offset:         520
        .size:           2
        .value_kind:     hidden_grid_dims
    .group_segment_fixed_size: 0
    .kernarg_segment_align: 8
    .kernarg_segment_size: 712
    .language:       OpenCL C
    .language_version:
      - 2
      - 0
    .max_flat_workgroup_size: 128
    .name:           _ZN2at6native16triu_tril_kernelIaiLb1ELi4ELb0EEEvNS_4cuda6detail10TensorInfoIT_T0_EENS4_IKS5_S6_EEllS6_
    .private_segment_fixed_size: 0
    .sgpr_count:     80
    .sgpr_spill_count: 0
    .symbol:         _ZN2at6native16triu_tril_kernelIaiLb1ELi4ELb0EEEvNS_4cuda6detail10TensorInfoIT_T0_EENS4_IKS5_S6_EEllS6_.kd
    .uniform_work_group_size: 1
    .uses_dynamic_stack: false
    .vgpr_count:     26
    .vgpr_spill_count: 0
    .wavefront_size: 32
    .workgroup_processor_mode: 1
  - .args:
      - .offset:         0
        .size:           416
        .value_kind:     by_value
      - .offset:         416
        .size:           416
        .value_kind:     by_value
      - .offset:         832
        .size:           8
        .value_kind:     by_value
      - .offset:         840
        .size:           8
        .value_kind:     by_value
      - .offset:         848
        .size:           8
        .value_kind:     by_value
      - .offset:         856
        .size:           4
        .value_kind:     hidden_block_count_x
      - .offset:         860
        .size:           4
        .value_kind:     hidden_block_count_y
      - .offset:         864
        .size:           4
        .value_kind:     hidden_block_count_z
      - .offset:         868
        .size:           2
        .value_kind:     hidden_group_size_x
      - .offset:         870
        .size:           2
        .value_kind:     hidden_group_size_y
      - .offset:         872
        .size:           2
        .value_kind:     hidden_group_size_z
      - .offset:         874
        .size:           2
        .value_kind:     hidden_remainder_x
      - .offset:         876
        .size:           2
        .value_kind:     hidden_remainder_y
      - .offset:         878
        .size:           2
        .value_kind:     hidden_remainder_z
      - .offset:         896
        .size:           8
        .value_kind:     hidden_global_offset_x
      - .offset:         904
        .size:           8
        .value_kind:     hidden_global_offset_y
      - .offset:         912
        .size:           8
        .value_kind:     hidden_global_offset_z
      - .offset:         920
        .size:           2
        .value_kind:     hidden_grid_dims
    .group_segment_fixed_size: 0
    .kernarg_segment_align: 8
    .kernarg_segment_size: 1112
    .language:       OpenCL C
    .language_version:
      - 2
      - 0
    .max_flat_workgroup_size: 128
    .name:           _ZN2at6native16triu_tril_kernelIalLb1ELi4ELb1EEEvNS_4cuda6detail10TensorInfoIT_T0_EENS4_IKS5_S6_EEllS6_
    .private_segment_fixed_size: 0
    .sgpr_count:     77
    .sgpr_spill_count: 0
    .symbol:         _ZN2at6native16triu_tril_kernelIalLb1ELi4ELb1EEEvNS_4cuda6detail10TensorInfoIT_T0_EENS4_IKS5_S6_EEllS6_.kd
    .uniform_work_group_size: 1
    .uses_dynamic_stack: false
    .vgpr_count:     30
    .vgpr_spill_count: 0
    .wavefront_size: 32
    .workgroup_processor_mode: 1
  - .args:
      - .offset:         0
        .size:           416
        .value_kind:     by_value
      - .offset:         416
        .size:           416
        .value_kind:     by_value
      - .offset:         832
        .size:           8
        .value_kind:     by_value
      - .offset:         840
        .size:           8
        .value_kind:     by_value
      - .offset:         848
        .size:           8
        .value_kind:     by_value
      - .offset:         856
        .size:           4
        .value_kind:     hidden_block_count_x
      - .offset:         860
        .size:           4
        .value_kind:     hidden_block_count_y
      - .offset:         864
        .size:           4
        .value_kind:     hidden_block_count_z
      - .offset:         868
        .size:           2
        .value_kind:     hidden_group_size_x
      - .offset:         870
        .size:           2
        .value_kind:     hidden_group_size_y
      - .offset:         872
        .size:           2
        .value_kind:     hidden_group_size_z
      - .offset:         874
        .size:           2
        .value_kind:     hidden_remainder_x
      - .offset:         876
        .size:           2
        .value_kind:     hidden_remainder_y
      - .offset:         878
        .size:           2
        .value_kind:     hidden_remainder_z
      - .offset:         896
        .size:           8
        .value_kind:     hidden_global_offset_x
      - .offset:         904
        .size:           8
        .value_kind:     hidden_global_offset_y
      - .offset:         912
        .size:           8
        .value_kind:     hidden_global_offset_z
      - .offset:         920
        .size:           2
        .value_kind:     hidden_grid_dims
    .group_segment_fixed_size: 0
    .kernarg_segment_align: 8
    .kernarg_segment_size: 1112
    .language:       OpenCL C
    .language_version:
      - 2
      - 0
    .max_flat_workgroup_size: 128
    .name:           _ZN2at6native16triu_tril_kernelIalLb1ELi4ELb0EEEvNS_4cuda6detail10TensorInfoIT_T0_EENS4_IKS5_S6_EEllS6_
    .private_segment_fixed_size: 0
    .sgpr_count:     82
    .sgpr_spill_count: 0
    .symbol:         _ZN2at6native16triu_tril_kernelIalLb1ELi4ELb0EEEvNS_4cuda6detail10TensorInfoIT_T0_EENS4_IKS5_S6_EEllS6_.kd
    .uniform_work_group_size: 1
    .uses_dynamic_stack: false
    .vgpr_count:     28
    .vgpr_spill_count: 0
    .wavefront_size: 32
    .workgroup_processor_mode: 1
  - .args:
      - .offset:         0
        .size:           216
        .value_kind:     by_value
      - .offset:         216
        .size:           216
        .value_kind:     by_value
      - .offset:         432
        .size:           8
        .value_kind:     by_value
      - .offset:         440
        .size:           8
        .value_kind:     by_value
      - .offset:         448
        .size:           4
        .value_kind:     by_value
      - .offset:         456
        .size:           4
        .value_kind:     hidden_block_count_x
      - .offset:         460
        .size:           4
        .value_kind:     hidden_block_count_y
      - .offset:         464
        .size:           4
        .value_kind:     hidden_block_count_z
      - .offset:         468
        .size:           2
        .value_kind:     hidden_group_size_x
      - .offset:         470
        .size:           2
        .value_kind:     hidden_group_size_y
      - .offset:         472
        .size:           2
        .value_kind:     hidden_group_size_z
      - .offset:         474
        .size:           2
        .value_kind:     hidden_remainder_x
      - .offset:         476
        .size:           2
        .value_kind:     hidden_remainder_y
      - .offset:         478
        .size:           2
        .value_kind:     hidden_remainder_z
      - .offset:         496
        .size:           8
        .value_kind:     hidden_global_offset_x
      - .offset:         504
        .size:           8
        .value_kind:     hidden_global_offset_y
      - .offset:         512
        .size:           8
        .value_kind:     hidden_global_offset_z
      - .offset:         520
        .size:           2
        .value_kind:     hidden_grid_dims
    .group_segment_fixed_size: 0
    .kernarg_segment_align: 8
    .kernarg_segment_size: 712
    .language:       OpenCL C
    .language_version:
      - 2
      - 0
    .max_flat_workgroup_size: 128
    .name:           _ZN2at6native16triu_tril_kernelIiiLb1ELi2ELb1EEEvNS_4cuda6detail10TensorInfoIT_T0_EENS4_IKS5_S6_EEllS6_
    .private_segment_fixed_size: 0
    .sgpr_count:     68
    .sgpr_spill_count: 0
    .symbol:         _ZN2at6native16triu_tril_kernelIiiLb1ELi2ELb1EEEvNS_4cuda6detail10TensorInfoIT_T0_EENS4_IKS5_S6_EEllS6_.kd
    .uniform_work_group_size: 1
    .uses_dynamic_stack: false
    .vgpr_count:     32
    .vgpr_spill_count: 0
    .wavefront_size: 32
    .workgroup_processor_mode: 1
  - .args:
      - .offset:         0
        .size:           216
        .value_kind:     by_value
      - .offset:         216
        .size:           216
        .value_kind:     by_value
      - .offset:         432
        .size:           8
        .value_kind:     by_value
      - .offset:         440
        .size:           8
        .value_kind:     by_value
      - .offset:         448
        .size:           4
        .value_kind:     by_value
      - .offset:         456
        .size:           4
        .value_kind:     hidden_block_count_x
      - .offset:         460
        .size:           4
        .value_kind:     hidden_block_count_y
      - .offset:         464
        .size:           4
        .value_kind:     hidden_block_count_z
      - .offset:         468
        .size:           2
        .value_kind:     hidden_group_size_x
      - .offset:         470
        .size:           2
        .value_kind:     hidden_group_size_y
      - .offset:         472
        .size:           2
        .value_kind:     hidden_group_size_z
      - .offset:         474
        .size:           2
        .value_kind:     hidden_remainder_x
      - .offset:         476
        .size:           2
        .value_kind:     hidden_remainder_y
      - .offset:         478
        .size:           2
        .value_kind:     hidden_remainder_z
      - .offset:         496
        .size:           8
        .value_kind:     hidden_global_offset_x
      - .offset:         504
        .size:           8
        .value_kind:     hidden_global_offset_y
      - .offset:         512
        .size:           8
        .value_kind:     hidden_global_offset_z
      - .offset:         520
        .size:           2
        .value_kind:     hidden_grid_dims
    .group_segment_fixed_size: 0
    .kernarg_segment_align: 8
    .kernarg_segment_size: 712
    .language:       OpenCL C
    .language_version:
      - 2
      - 0
    .max_flat_workgroup_size: 128
    .name:           _ZN2at6native16triu_tril_kernelIiiLb1ELi2ELb0EEEvNS_4cuda6detail10TensorInfoIT_T0_EENS4_IKS5_S6_EEllS6_
    .private_segment_fixed_size: 0
    .sgpr_count:     70
    .sgpr_spill_count: 0
    .symbol:         _ZN2at6native16triu_tril_kernelIiiLb1ELi2ELb0EEEvNS_4cuda6detail10TensorInfoIT_T0_EENS4_IKS5_S6_EEllS6_.kd
    .uniform_work_group_size: 1
    .uses_dynamic_stack: false
    .vgpr_count:     26
    .vgpr_spill_count: 0
    .wavefront_size: 32
    .workgroup_processor_mode: 1
  - .args:
      - .offset:         0
        .size:           416
        .value_kind:     by_value
      - .offset:         416
        .size:           416
        .value_kind:     by_value
      - .offset:         832
        .size:           8
        .value_kind:     by_value
      - .offset:         840
        .size:           8
        .value_kind:     by_value
      - .offset:         848
        .size:           8
        .value_kind:     by_value
      - .offset:         856
        .size:           4
        .value_kind:     hidden_block_count_x
      - .offset:         860
        .size:           4
        .value_kind:     hidden_block_count_y
      - .offset:         864
        .size:           4
        .value_kind:     hidden_block_count_z
      - .offset:         868
        .size:           2
        .value_kind:     hidden_group_size_x
      - .offset:         870
        .size:           2
        .value_kind:     hidden_group_size_y
      - .offset:         872
        .size:           2
        .value_kind:     hidden_group_size_z
      - .offset:         874
        .size:           2
        .value_kind:     hidden_remainder_x
      - .offset:         876
        .size:           2
        .value_kind:     hidden_remainder_y
      - .offset:         878
        .size:           2
        .value_kind:     hidden_remainder_z
      - .offset:         896
        .size:           8
        .value_kind:     hidden_global_offset_x
      - .offset:         904
        .size:           8
        .value_kind:     hidden_global_offset_y
      - .offset:         912
        .size:           8
        .value_kind:     hidden_global_offset_z
      - .offset:         920
        .size:           2
        .value_kind:     hidden_grid_dims
    .group_segment_fixed_size: 0
    .kernarg_segment_align: 8
    .kernarg_segment_size: 1112
    .language:       OpenCL C
    .language_version:
      - 2
      - 0
    .max_flat_workgroup_size: 128
    .name:           _ZN2at6native16triu_tril_kernelIilLb1ELi2ELb1EEEvNS_4cuda6detail10TensorInfoIT_T0_EENS4_IKS5_S6_EEllS6_
    .private_segment_fixed_size: 0
    .sgpr_count:     77
    .sgpr_spill_count: 0
    .symbol:         _ZN2at6native16triu_tril_kernelIilLb1ELi2ELb1EEEvNS_4cuda6detail10TensorInfoIT_T0_EENS4_IKS5_S6_EEllS6_.kd
    .uniform_work_group_size: 1
    .uses_dynamic_stack: false
    .vgpr_count:     30
    .vgpr_spill_count: 0
    .wavefront_size: 32
    .workgroup_processor_mode: 1
  - .args:
      - .offset:         0
        .size:           416
        .value_kind:     by_value
      - .offset:         416
        .size:           416
        .value_kind:     by_value
      - .offset:         832
        .size:           8
        .value_kind:     by_value
      - .offset:         840
        .size:           8
        .value_kind:     by_value
      - .offset:         848
        .size:           8
        .value_kind:     by_value
      - .offset:         856
        .size:           4
        .value_kind:     hidden_block_count_x
      - .offset:         860
        .size:           4
        .value_kind:     hidden_block_count_y
      - .offset:         864
        .size:           4
        .value_kind:     hidden_block_count_z
      - .offset:         868
        .size:           2
        .value_kind:     hidden_group_size_x
      - .offset:         870
        .size:           2
        .value_kind:     hidden_group_size_y
      - .offset:         872
        .size:           2
        .value_kind:     hidden_group_size_z
      - .offset:         874
        .size:           2
        .value_kind:     hidden_remainder_x
      - .offset:         876
        .size:           2
        .value_kind:     hidden_remainder_y
      - .offset:         878
        .size:           2
        .value_kind:     hidden_remainder_z
      - .offset:         896
        .size:           8
        .value_kind:     hidden_global_offset_x
      - .offset:         904
        .size:           8
        .value_kind:     hidden_global_offset_y
      - .offset:         912
        .size:           8
        .value_kind:     hidden_global_offset_z
      - .offset:         920
        .size:           2
        .value_kind:     hidden_grid_dims
    .group_segment_fixed_size: 0
    .kernarg_segment_align: 8
    .kernarg_segment_size: 1112
    .language:       OpenCL C
    .language_version:
      - 2
      - 0
    .max_flat_workgroup_size: 128
    .name:           _ZN2at6native16triu_tril_kernelIilLb1ELi2ELb0EEEvNS_4cuda6detail10TensorInfoIT_T0_EENS4_IKS5_S6_EEllS6_
    .private_segment_fixed_size: 0
    .sgpr_count:     74
    .sgpr_spill_count: 0
    .symbol:         _ZN2at6native16triu_tril_kernelIilLb1ELi2ELb0EEEvNS_4cuda6detail10TensorInfoIT_T0_EENS4_IKS5_S6_EEllS6_.kd
    .uniform_work_group_size: 1
    .uses_dynamic_stack: false
    .vgpr_count:     28
    .vgpr_spill_count: 0
    .wavefront_size: 32
    .workgroup_processor_mode: 1
  - .args:
      - .offset:         0
        .size:           216
        .value_kind:     by_value
      - .offset:         216
        .size:           216
        .value_kind:     by_value
      - .offset:         432
        .size:           8
        .value_kind:     by_value
      - .offset:         440
        .size:           8
        .value_kind:     by_value
      - .offset:         448
        .size:           4
        .value_kind:     by_value
      - .offset:         456
        .size:           4
        .value_kind:     hidden_block_count_x
      - .offset:         460
        .size:           4
        .value_kind:     hidden_block_count_y
      - .offset:         464
        .size:           4
        .value_kind:     hidden_block_count_z
      - .offset:         468
        .size:           2
        .value_kind:     hidden_group_size_x
      - .offset:         470
        .size:           2
        .value_kind:     hidden_group_size_y
      - .offset:         472
        .size:           2
        .value_kind:     hidden_group_size_z
      - .offset:         474
        .size:           2
        .value_kind:     hidden_remainder_x
      - .offset:         476
        .size:           2
        .value_kind:     hidden_remainder_y
      - .offset:         478
        .size:           2
        .value_kind:     hidden_remainder_z
      - .offset:         496
        .size:           8
        .value_kind:     hidden_global_offset_x
      - .offset:         504
        .size:           8
        .value_kind:     hidden_global_offset_y
      - .offset:         512
        .size:           8
        .value_kind:     hidden_global_offset_z
      - .offset:         520
        .size:           2
        .value_kind:     hidden_grid_dims
    .group_segment_fixed_size: 0
    .kernarg_segment_align: 8
    .kernarg_segment_size: 712
    .language:       OpenCL C
    .language_version:
      - 2
      - 0
    .max_flat_workgroup_size: 128
    .name:           _ZN2at6native16triu_tril_kernelIliLb1ELi2ELb1EEEvNS_4cuda6detail10TensorInfoIT_T0_EENS4_IKS5_S6_EEllS6_
    .private_segment_fixed_size: 0
    .sgpr_count:     68
    .sgpr_spill_count: 0
    .symbol:         _ZN2at6native16triu_tril_kernelIliLb1ELi2ELb1EEEvNS_4cuda6detail10TensorInfoIT_T0_EENS4_IKS5_S6_EEllS6_.kd
    .uniform_work_group_size: 1
    .uses_dynamic_stack: false
    .vgpr_count:     32
    .vgpr_spill_count: 0
    .wavefront_size: 32
    .workgroup_processor_mode: 1
  - .args:
      - .offset:         0
        .size:           216
        .value_kind:     by_value
      - .offset:         216
        .size:           216
        .value_kind:     by_value
      - .offset:         432
        .size:           8
        .value_kind:     by_value
      - .offset:         440
        .size:           8
        .value_kind:     by_value
      - .offset:         448
        .size:           4
        .value_kind:     by_value
      - .offset:         456
        .size:           4
        .value_kind:     hidden_block_count_x
      - .offset:         460
        .size:           4
        .value_kind:     hidden_block_count_y
      - .offset:         464
        .size:           4
        .value_kind:     hidden_block_count_z
      - .offset:         468
        .size:           2
        .value_kind:     hidden_group_size_x
      - .offset:         470
        .size:           2
        .value_kind:     hidden_group_size_y
      - .offset:         472
        .size:           2
        .value_kind:     hidden_group_size_z
      - .offset:         474
        .size:           2
        .value_kind:     hidden_remainder_x
      - .offset:         476
        .size:           2
        .value_kind:     hidden_remainder_y
      - .offset:         478
        .size:           2
        .value_kind:     hidden_remainder_z
      - .offset:         496
        .size:           8
        .value_kind:     hidden_global_offset_x
      - .offset:         504
        .size:           8
        .value_kind:     hidden_global_offset_y
      - .offset:         512
        .size:           8
        .value_kind:     hidden_global_offset_z
      - .offset:         520
        .size:           2
        .value_kind:     hidden_grid_dims
    .group_segment_fixed_size: 0
    .kernarg_segment_align: 8
    .kernarg_segment_size: 712
    .language:       OpenCL C
    .language_version:
      - 2
      - 0
    .max_flat_workgroup_size: 128
    .name:           _ZN2at6native16triu_tril_kernelIliLb1ELi2ELb0EEEvNS_4cuda6detail10TensorInfoIT_T0_EENS4_IKS5_S6_EEllS6_
    .private_segment_fixed_size: 0
    .sgpr_count:     70
    .sgpr_spill_count: 0
    .symbol:         _ZN2at6native16triu_tril_kernelIliLb1ELi2ELb0EEEvNS_4cuda6detail10TensorInfoIT_T0_EENS4_IKS5_S6_EEllS6_.kd
    .uniform_work_group_size: 1
    .uses_dynamic_stack: false
    .vgpr_count:     26
    .vgpr_spill_count: 0
    .wavefront_size: 32
    .workgroup_processor_mode: 1
  - .args:
      - .offset:         0
        .size:           416
        .value_kind:     by_value
      - .offset:         416
        .size:           416
        .value_kind:     by_value
      - .offset:         832
        .size:           8
        .value_kind:     by_value
      - .offset:         840
        .size:           8
        .value_kind:     by_value
      - .offset:         848
        .size:           8
        .value_kind:     by_value
      - .offset:         856
        .size:           4
        .value_kind:     hidden_block_count_x
      - .offset:         860
        .size:           4
        .value_kind:     hidden_block_count_y
      - .offset:         864
        .size:           4
        .value_kind:     hidden_block_count_z
      - .offset:         868
        .size:           2
        .value_kind:     hidden_group_size_x
      - .offset:         870
        .size:           2
        .value_kind:     hidden_group_size_y
      - .offset:         872
        .size:           2
        .value_kind:     hidden_group_size_z
      - .offset:         874
        .size:           2
        .value_kind:     hidden_remainder_x
      - .offset:         876
        .size:           2
        .value_kind:     hidden_remainder_y
      - .offset:         878
        .size:           2
        .value_kind:     hidden_remainder_z
      - .offset:         896
        .size:           8
        .value_kind:     hidden_global_offset_x
      - .offset:         904
        .size:           8
        .value_kind:     hidden_global_offset_y
      - .offset:         912
        .size:           8
        .value_kind:     hidden_global_offset_z
      - .offset:         920
        .size:           2
        .value_kind:     hidden_grid_dims
    .group_segment_fixed_size: 0
    .kernarg_segment_align: 8
    .kernarg_segment_size: 1112
    .language:       OpenCL C
    .language_version:
      - 2
      - 0
    .max_flat_workgroup_size: 128
    .name:           _ZN2at6native16triu_tril_kernelIllLb1ELi2ELb1EEEvNS_4cuda6detail10TensorInfoIT_T0_EENS4_IKS5_S6_EEllS6_
    .private_segment_fixed_size: 0
    .sgpr_count:     77
    .sgpr_spill_count: 0
    .symbol:         _ZN2at6native16triu_tril_kernelIllLb1ELi2ELb1EEEvNS_4cuda6detail10TensorInfoIT_T0_EENS4_IKS5_S6_EEllS6_.kd
    .uniform_work_group_size: 1
    .uses_dynamic_stack: false
    .vgpr_count:     30
    .vgpr_spill_count: 0
    .wavefront_size: 32
    .workgroup_processor_mode: 1
  - .args:
      - .offset:         0
        .size:           416
        .value_kind:     by_value
      - .offset:         416
        .size:           416
        .value_kind:     by_value
      - .offset:         832
        .size:           8
        .value_kind:     by_value
      - .offset:         840
        .size:           8
        .value_kind:     by_value
      - .offset:         848
        .size:           8
        .value_kind:     by_value
      - .offset:         856
        .size:           4
        .value_kind:     hidden_block_count_x
      - .offset:         860
        .size:           4
        .value_kind:     hidden_block_count_y
      - .offset:         864
        .size:           4
        .value_kind:     hidden_block_count_z
      - .offset:         868
        .size:           2
        .value_kind:     hidden_group_size_x
      - .offset:         870
        .size:           2
        .value_kind:     hidden_group_size_y
      - .offset:         872
        .size:           2
        .value_kind:     hidden_group_size_z
      - .offset:         874
        .size:           2
        .value_kind:     hidden_remainder_x
      - .offset:         876
        .size:           2
        .value_kind:     hidden_remainder_y
      - .offset:         878
        .size:           2
        .value_kind:     hidden_remainder_z
      - .offset:         896
        .size:           8
        .value_kind:     hidden_global_offset_x
      - .offset:         904
        .size:           8
        .value_kind:     hidden_global_offset_y
      - .offset:         912
        .size:           8
        .value_kind:     hidden_global_offset_z
      - .offset:         920
        .size:           2
        .value_kind:     hidden_grid_dims
    .group_segment_fixed_size: 0
    .kernarg_segment_align: 8
    .kernarg_segment_size: 1112
    .language:       OpenCL C
    .language_version:
      - 2
      - 0
    .max_flat_workgroup_size: 128
    .name:           _ZN2at6native16triu_tril_kernelIllLb1ELi2ELb0EEEvNS_4cuda6detail10TensorInfoIT_T0_EENS4_IKS5_S6_EEllS6_
    .private_segment_fixed_size: 0
    .sgpr_count:     74
    .sgpr_spill_count: 0
    .symbol:         _ZN2at6native16triu_tril_kernelIllLb1ELi2ELb0EEEvNS_4cuda6detail10TensorInfoIT_T0_EENS4_IKS5_S6_EEllS6_.kd
    .uniform_work_group_size: 1
    .uses_dynamic_stack: false
    .vgpr_count:     28
    .vgpr_spill_count: 0
    .wavefront_size: 32
    .workgroup_processor_mode: 1
  - .args:
      - .offset:         0
        .size:           216
        .value_kind:     by_value
      - .offset:         216
        .size:           216
        .value_kind:     by_value
      - .offset:         432
        .size:           8
        .value_kind:     by_value
      - .offset:         440
        .size:           8
        .value_kind:     by_value
      - .offset:         448
        .size:           4
        .value_kind:     by_value
      - .offset:         456
        .size:           4
        .value_kind:     hidden_block_count_x
      - .offset:         460
        .size:           4
        .value_kind:     hidden_block_count_y
      - .offset:         464
        .size:           4
        .value_kind:     hidden_block_count_z
      - .offset:         468
        .size:           2
        .value_kind:     hidden_group_size_x
      - .offset:         470
        .size:           2
        .value_kind:     hidden_group_size_y
      - .offset:         472
        .size:           2
        .value_kind:     hidden_group_size_z
      - .offset:         474
        .size:           2
        .value_kind:     hidden_remainder_x
      - .offset:         476
        .size:           2
        .value_kind:     hidden_remainder_y
      - .offset:         478
        .size:           2
        .value_kind:     hidden_remainder_z
      - .offset:         496
        .size:           8
        .value_kind:     hidden_global_offset_x
      - .offset:         504
        .size:           8
        .value_kind:     hidden_global_offset_y
      - .offset:         512
        .size:           8
        .value_kind:     hidden_global_offset_z
      - .offset:         520
        .size:           2
        .value_kind:     hidden_grid_dims
    .group_segment_fixed_size: 0
    .kernarg_segment_align: 8
    .kernarg_segment_size: 712
    .language:       OpenCL C
    .language_version:
      - 2
      - 0
    .max_flat_workgroup_size: 128
    .name:           _ZN2at6native16triu_tril_kernelIsiLb1ELi4ELb1EEEvNS_4cuda6detail10TensorInfoIT_T0_EENS4_IKS5_S6_EEllS6_
    .private_segment_fixed_size: 0
    .sgpr_count:     68
    .sgpr_spill_count: 0
    .symbol:         _ZN2at6native16triu_tril_kernelIsiLb1ELi4ELb1EEEvNS_4cuda6detail10TensorInfoIT_T0_EENS4_IKS5_S6_EEllS6_.kd
    .uniform_work_group_size: 1
    .uses_dynamic_stack: false
    .vgpr_count:     32
    .vgpr_spill_count: 0
    .wavefront_size: 32
    .workgroup_processor_mode: 1
  - .args:
      - .offset:         0
        .size:           216
        .value_kind:     by_value
      - .offset:         216
        .size:           216
        .value_kind:     by_value
      - .offset:         432
        .size:           8
        .value_kind:     by_value
      - .offset:         440
        .size:           8
        .value_kind:     by_value
      - .offset:         448
        .size:           4
        .value_kind:     by_value
      - .offset:         456
        .size:           4
        .value_kind:     hidden_block_count_x
      - .offset:         460
        .size:           4
        .value_kind:     hidden_block_count_y
      - .offset:         464
        .size:           4
        .value_kind:     hidden_block_count_z
      - .offset:         468
        .size:           2
        .value_kind:     hidden_group_size_x
      - .offset:         470
        .size:           2
        .value_kind:     hidden_group_size_y
      - .offset:         472
        .size:           2
        .value_kind:     hidden_group_size_z
      - .offset:         474
        .size:           2
        .value_kind:     hidden_remainder_x
      - .offset:         476
        .size:           2
        .value_kind:     hidden_remainder_y
      - .offset:         478
        .size:           2
        .value_kind:     hidden_remainder_z
      - .offset:         496
        .size:           8
        .value_kind:     hidden_global_offset_x
      - .offset:         504
        .size:           8
        .value_kind:     hidden_global_offset_y
      - .offset:         512
        .size:           8
        .value_kind:     hidden_global_offset_z
      - .offset:         520
        .size:           2
        .value_kind:     hidden_grid_dims
    .group_segment_fixed_size: 0
    .kernarg_segment_align: 8
    .kernarg_segment_size: 712
    .language:       OpenCL C
    .language_version:
      - 2
      - 0
    .max_flat_workgroup_size: 128
    .name:           _ZN2at6native16triu_tril_kernelIsiLb1ELi4ELb0EEEvNS_4cuda6detail10TensorInfoIT_T0_EENS4_IKS5_S6_EEllS6_
    .private_segment_fixed_size: 0
    .sgpr_count:     80
    .sgpr_spill_count: 0
    .symbol:         _ZN2at6native16triu_tril_kernelIsiLb1ELi4ELb0EEEvNS_4cuda6detail10TensorInfoIT_T0_EENS4_IKS5_S6_EEllS6_.kd
    .uniform_work_group_size: 1
    .uses_dynamic_stack: false
    .vgpr_count:     26
    .vgpr_spill_count: 0
    .wavefront_size: 32
    .workgroup_processor_mode: 1
  - .args:
      - .offset:         0
        .size:           416
        .value_kind:     by_value
      - .offset:         416
        .size:           416
        .value_kind:     by_value
      - .offset:         832
        .size:           8
        .value_kind:     by_value
      - .offset:         840
        .size:           8
        .value_kind:     by_value
      - .offset:         848
        .size:           8
        .value_kind:     by_value
      - .offset:         856
        .size:           4
        .value_kind:     hidden_block_count_x
      - .offset:         860
        .size:           4
        .value_kind:     hidden_block_count_y
      - .offset:         864
        .size:           4
        .value_kind:     hidden_block_count_z
      - .offset:         868
        .size:           2
        .value_kind:     hidden_group_size_x
      - .offset:         870
        .size:           2
        .value_kind:     hidden_group_size_y
      - .offset:         872
        .size:           2
        .value_kind:     hidden_group_size_z
      - .offset:         874
        .size:           2
        .value_kind:     hidden_remainder_x
      - .offset:         876
        .size:           2
        .value_kind:     hidden_remainder_y
      - .offset:         878
        .size:           2
        .value_kind:     hidden_remainder_z
      - .offset:         896
        .size:           8
        .value_kind:     hidden_global_offset_x
      - .offset:         904
        .size:           8
        .value_kind:     hidden_global_offset_y
      - .offset:         912
        .size:           8
        .value_kind:     hidden_global_offset_z
      - .offset:         920
        .size:           2
        .value_kind:     hidden_grid_dims
    .group_segment_fixed_size: 0
    .kernarg_segment_align: 8
    .kernarg_segment_size: 1112
    .language:       OpenCL C
    .language_version:
      - 2
      - 0
    .max_flat_workgroup_size: 128
    .name:           _ZN2at6native16triu_tril_kernelIslLb1ELi4ELb1EEEvNS_4cuda6detail10TensorInfoIT_T0_EENS4_IKS5_S6_EEllS6_
    .private_segment_fixed_size: 0
    .sgpr_count:     77
    .sgpr_spill_count: 0
    .symbol:         _ZN2at6native16triu_tril_kernelIslLb1ELi4ELb1EEEvNS_4cuda6detail10TensorInfoIT_T0_EENS4_IKS5_S6_EEllS6_.kd
    .uniform_work_group_size: 1
    .uses_dynamic_stack: false
    .vgpr_count:     30
    .vgpr_spill_count: 0
    .wavefront_size: 32
    .workgroup_processor_mode: 1
  - .args:
      - .offset:         0
        .size:           416
        .value_kind:     by_value
      - .offset:         416
        .size:           416
        .value_kind:     by_value
      - .offset:         832
        .size:           8
        .value_kind:     by_value
      - .offset:         840
        .size:           8
        .value_kind:     by_value
      - .offset:         848
        .size:           8
        .value_kind:     by_value
      - .offset:         856
        .size:           4
        .value_kind:     hidden_block_count_x
      - .offset:         860
        .size:           4
        .value_kind:     hidden_block_count_y
      - .offset:         864
        .size:           4
        .value_kind:     hidden_block_count_z
      - .offset:         868
        .size:           2
        .value_kind:     hidden_group_size_x
      - .offset:         870
        .size:           2
        .value_kind:     hidden_group_size_y
      - .offset:         872
        .size:           2
        .value_kind:     hidden_group_size_z
      - .offset:         874
        .size:           2
        .value_kind:     hidden_remainder_x
      - .offset:         876
        .size:           2
        .value_kind:     hidden_remainder_y
      - .offset:         878
        .size:           2
        .value_kind:     hidden_remainder_z
      - .offset:         896
        .size:           8
        .value_kind:     hidden_global_offset_x
      - .offset:         904
        .size:           8
        .value_kind:     hidden_global_offset_y
      - .offset:         912
        .size:           8
        .value_kind:     hidden_global_offset_z
      - .offset:         920
        .size:           2
        .value_kind:     hidden_grid_dims
    .group_segment_fixed_size: 0
    .kernarg_segment_align: 8
    .kernarg_segment_size: 1112
    .language:       OpenCL C
    .language_version:
      - 2
      - 0
    .max_flat_workgroup_size: 128
    .name:           _ZN2at6native16triu_tril_kernelIslLb1ELi4ELb0EEEvNS_4cuda6detail10TensorInfoIT_T0_EENS4_IKS5_S6_EEllS6_
    .private_segment_fixed_size: 0
    .sgpr_count:     90
    .sgpr_spill_count: 0
    .symbol:         _ZN2at6native16triu_tril_kernelIslLb1ELi4ELb0EEEvNS_4cuda6detail10TensorInfoIT_T0_EENS4_IKS5_S6_EEllS6_.kd
    .uniform_work_group_size: 1
    .uses_dynamic_stack: false
    .vgpr_count:     28
    .vgpr_spill_count: 0
    .wavefront_size: 32
    .workgroup_processor_mode: 1
  - .args:
      - .offset:         0
        .size:           216
        .value_kind:     by_value
      - .offset:         216
        .size:           216
        .value_kind:     by_value
      - .offset:         432
        .size:           8
        .value_kind:     by_value
      - .offset:         440
        .size:           8
        .value_kind:     by_value
      - .offset:         448
        .size:           4
        .value_kind:     by_value
      - .offset:         456
        .size:           4
        .value_kind:     hidden_block_count_x
      - .offset:         460
        .size:           4
        .value_kind:     hidden_block_count_y
      - .offset:         464
        .size:           4
        .value_kind:     hidden_block_count_z
      - .offset:         468
        .size:           2
        .value_kind:     hidden_group_size_x
      - .offset:         470
        .size:           2
        .value_kind:     hidden_group_size_y
      - .offset:         472
        .size:           2
        .value_kind:     hidden_group_size_z
      - .offset:         474
        .size:           2
        .value_kind:     hidden_remainder_x
      - .offset:         476
        .size:           2
        .value_kind:     hidden_remainder_y
      - .offset:         478
        .size:           2
        .value_kind:     hidden_remainder_z
      - .offset:         496
        .size:           8
        .value_kind:     hidden_global_offset_x
      - .offset:         504
        .size:           8
        .value_kind:     hidden_global_offset_y
      - .offset:         512
        .size:           8
        .value_kind:     hidden_global_offset_z
      - .offset:         520
        .size:           2
        .value_kind:     hidden_grid_dims
    .group_segment_fixed_size: 0
    .kernarg_segment_align: 8
    .kernarg_segment_size: 712
    .language:       OpenCL C
    .language_version:
      - 2
      - 0
    .max_flat_workgroup_size: 128
    .name:           _ZN2at6native16triu_tril_kernelIdiLb1ELi2ELb1EEEvNS_4cuda6detail10TensorInfoIT_T0_EENS4_IKS5_S6_EEllS6_
    .private_segment_fixed_size: 0
    .sgpr_count:     68
    .sgpr_spill_count: 0
    .symbol:         _ZN2at6native16triu_tril_kernelIdiLb1ELi2ELb1EEEvNS_4cuda6detail10TensorInfoIT_T0_EENS4_IKS5_S6_EEllS6_.kd
    .uniform_work_group_size: 1
    .uses_dynamic_stack: false
    .vgpr_count:     32
    .vgpr_spill_count: 0
    .wavefront_size: 32
    .workgroup_processor_mode: 1
  - .args:
      - .offset:         0
        .size:           216
        .value_kind:     by_value
      - .offset:         216
        .size:           216
        .value_kind:     by_value
      - .offset:         432
        .size:           8
        .value_kind:     by_value
      - .offset:         440
        .size:           8
        .value_kind:     by_value
      - .offset:         448
        .size:           4
        .value_kind:     by_value
      - .offset:         456
        .size:           4
        .value_kind:     hidden_block_count_x
      - .offset:         460
        .size:           4
        .value_kind:     hidden_block_count_y
      - .offset:         464
        .size:           4
        .value_kind:     hidden_block_count_z
      - .offset:         468
        .size:           2
        .value_kind:     hidden_group_size_x
      - .offset:         470
        .size:           2
        .value_kind:     hidden_group_size_y
      - .offset:         472
        .size:           2
        .value_kind:     hidden_group_size_z
      - .offset:         474
        .size:           2
        .value_kind:     hidden_remainder_x
      - .offset:         476
        .size:           2
        .value_kind:     hidden_remainder_y
      - .offset:         478
        .size:           2
        .value_kind:     hidden_remainder_z
      - .offset:         496
        .size:           8
        .value_kind:     hidden_global_offset_x
      - .offset:         504
        .size:           8
        .value_kind:     hidden_global_offset_y
      - .offset:         512
        .size:           8
        .value_kind:     hidden_global_offset_z
      - .offset:         520
        .size:           2
        .value_kind:     hidden_grid_dims
    .group_segment_fixed_size: 0
    .kernarg_segment_align: 8
    .kernarg_segment_size: 712
    .language:       OpenCL C
    .language_version:
      - 2
      - 0
    .max_flat_workgroup_size: 128
    .name:           _ZN2at6native16triu_tril_kernelIdiLb1ELi2ELb0EEEvNS_4cuda6detail10TensorInfoIT_T0_EENS4_IKS5_S6_EEllS6_
    .private_segment_fixed_size: 0
    .sgpr_count:     70
    .sgpr_spill_count: 0
    .symbol:         _ZN2at6native16triu_tril_kernelIdiLb1ELi2ELb0EEEvNS_4cuda6detail10TensorInfoIT_T0_EENS4_IKS5_S6_EEllS6_.kd
    .uniform_work_group_size: 1
    .uses_dynamic_stack: false
    .vgpr_count:     26
    .vgpr_spill_count: 0
    .wavefront_size: 32
    .workgroup_processor_mode: 1
  - .args:
      - .offset:         0
        .size:           416
        .value_kind:     by_value
      - .offset:         416
        .size:           416
        .value_kind:     by_value
      - .offset:         832
        .size:           8
        .value_kind:     by_value
      - .offset:         840
        .size:           8
        .value_kind:     by_value
      - .offset:         848
        .size:           8
        .value_kind:     by_value
      - .offset:         856
        .size:           4
        .value_kind:     hidden_block_count_x
      - .offset:         860
        .size:           4
        .value_kind:     hidden_block_count_y
      - .offset:         864
        .size:           4
        .value_kind:     hidden_block_count_z
      - .offset:         868
        .size:           2
        .value_kind:     hidden_group_size_x
      - .offset:         870
        .size:           2
        .value_kind:     hidden_group_size_y
      - .offset:         872
        .size:           2
        .value_kind:     hidden_group_size_z
      - .offset:         874
        .size:           2
        .value_kind:     hidden_remainder_x
      - .offset:         876
        .size:           2
        .value_kind:     hidden_remainder_y
      - .offset:         878
        .size:           2
        .value_kind:     hidden_remainder_z
      - .offset:         896
        .size:           8
        .value_kind:     hidden_global_offset_x
      - .offset:         904
        .size:           8
        .value_kind:     hidden_global_offset_y
      - .offset:         912
        .size:           8
        .value_kind:     hidden_global_offset_z
      - .offset:         920
        .size:           2
        .value_kind:     hidden_grid_dims
    .group_segment_fixed_size: 0
    .kernarg_segment_align: 8
    .kernarg_segment_size: 1112
    .language:       OpenCL C
    .language_version:
      - 2
      - 0
    .max_flat_workgroup_size: 128
    .name:           _ZN2at6native16triu_tril_kernelIdlLb1ELi2ELb1EEEvNS_4cuda6detail10TensorInfoIT_T0_EENS4_IKS5_S6_EEllS6_
    .private_segment_fixed_size: 0
    .sgpr_count:     77
    .sgpr_spill_count: 0
    .symbol:         _ZN2at6native16triu_tril_kernelIdlLb1ELi2ELb1EEEvNS_4cuda6detail10TensorInfoIT_T0_EENS4_IKS5_S6_EEllS6_.kd
    .uniform_work_group_size: 1
    .uses_dynamic_stack: false
    .vgpr_count:     30
    .vgpr_spill_count: 0
    .wavefront_size: 32
    .workgroup_processor_mode: 1
  - .args:
      - .offset:         0
        .size:           416
        .value_kind:     by_value
      - .offset:         416
        .size:           416
        .value_kind:     by_value
      - .offset:         832
        .size:           8
        .value_kind:     by_value
      - .offset:         840
        .size:           8
        .value_kind:     by_value
      - .offset:         848
        .size:           8
        .value_kind:     by_value
      - .offset:         856
        .size:           4
        .value_kind:     hidden_block_count_x
      - .offset:         860
        .size:           4
        .value_kind:     hidden_block_count_y
      - .offset:         864
        .size:           4
        .value_kind:     hidden_block_count_z
      - .offset:         868
        .size:           2
        .value_kind:     hidden_group_size_x
      - .offset:         870
        .size:           2
        .value_kind:     hidden_group_size_y
      - .offset:         872
        .size:           2
        .value_kind:     hidden_group_size_z
      - .offset:         874
        .size:           2
        .value_kind:     hidden_remainder_x
      - .offset:         876
        .size:           2
        .value_kind:     hidden_remainder_y
      - .offset:         878
        .size:           2
        .value_kind:     hidden_remainder_z
      - .offset:         896
        .size:           8
        .value_kind:     hidden_global_offset_x
      - .offset:         904
        .size:           8
        .value_kind:     hidden_global_offset_y
      - .offset:         912
        .size:           8
        .value_kind:     hidden_global_offset_z
      - .offset:         920
        .size:           2
        .value_kind:     hidden_grid_dims
    .group_segment_fixed_size: 0
    .kernarg_segment_align: 8
    .kernarg_segment_size: 1112
    .language:       OpenCL C
    .language_version:
      - 2
      - 0
    .max_flat_workgroup_size: 128
    .name:           _ZN2at6native16triu_tril_kernelIdlLb1ELi2ELb0EEEvNS_4cuda6detail10TensorInfoIT_T0_EENS4_IKS5_S6_EEllS6_
    .private_segment_fixed_size: 0
    .sgpr_count:     74
    .sgpr_spill_count: 0
    .symbol:         _ZN2at6native16triu_tril_kernelIdlLb1ELi2ELb0EEEvNS_4cuda6detail10TensorInfoIT_T0_EENS4_IKS5_S6_EEllS6_.kd
    .uniform_work_group_size: 1
    .uses_dynamic_stack: false
    .vgpr_count:     28
    .vgpr_spill_count: 0
    .wavefront_size: 32
    .workgroup_processor_mode: 1
  - .args:
      - .offset:         0
        .size:           216
        .value_kind:     by_value
      - .offset:         216
        .size:           216
        .value_kind:     by_value
      - .offset:         432
        .size:           8
        .value_kind:     by_value
      - .offset:         440
        .size:           8
        .value_kind:     by_value
      - .offset:         448
        .size:           4
        .value_kind:     by_value
      - .offset:         456
        .size:           4
        .value_kind:     hidden_block_count_x
      - .offset:         460
        .size:           4
        .value_kind:     hidden_block_count_y
      - .offset:         464
        .size:           4
        .value_kind:     hidden_block_count_z
      - .offset:         468
        .size:           2
        .value_kind:     hidden_group_size_x
      - .offset:         470
        .size:           2
        .value_kind:     hidden_group_size_y
      - .offset:         472
        .size:           2
        .value_kind:     hidden_group_size_z
      - .offset:         474
        .size:           2
        .value_kind:     hidden_remainder_x
      - .offset:         476
        .size:           2
        .value_kind:     hidden_remainder_y
      - .offset:         478
        .size:           2
        .value_kind:     hidden_remainder_z
      - .offset:         496
        .size:           8
        .value_kind:     hidden_global_offset_x
      - .offset:         504
        .size:           8
        .value_kind:     hidden_global_offset_y
      - .offset:         512
        .size:           8
        .value_kind:     hidden_global_offset_z
      - .offset:         520
        .size:           2
        .value_kind:     hidden_grid_dims
    .group_segment_fixed_size: 0
    .kernarg_segment_align: 8
    .kernarg_segment_size: 712
    .language:       OpenCL C
    .language_version:
      - 2
      - 0
    .max_flat_workgroup_size: 128
    .name:           _ZN2at6native16triu_tril_kernelIfiLb1ELi2ELb1EEEvNS_4cuda6detail10TensorInfoIT_T0_EENS4_IKS5_S6_EEllS6_
    .private_segment_fixed_size: 0
    .sgpr_count:     68
    .sgpr_spill_count: 0
    .symbol:         _ZN2at6native16triu_tril_kernelIfiLb1ELi2ELb1EEEvNS_4cuda6detail10TensorInfoIT_T0_EENS4_IKS5_S6_EEllS6_.kd
    .uniform_work_group_size: 1
    .uses_dynamic_stack: false
    .vgpr_count:     32
    .vgpr_spill_count: 0
    .wavefront_size: 32
    .workgroup_processor_mode: 1
  - .args:
      - .offset:         0
        .size:           216
        .value_kind:     by_value
      - .offset:         216
        .size:           216
        .value_kind:     by_value
      - .offset:         432
        .size:           8
        .value_kind:     by_value
      - .offset:         440
        .size:           8
        .value_kind:     by_value
      - .offset:         448
        .size:           4
        .value_kind:     by_value
      - .offset:         456
        .size:           4
        .value_kind:     hidden_block_count_x
      - .offset:         460
        .size:           4
        .value_kind:     hidden_block_count_y
      - .offset:         464
        .size:           4
        .value_kind:     hidden_block_count_z
      - .offset:         468
        .size:           2
        .value_kind:     hidden_group_size_x
      - .offset:         470
        .size:           2
        .value_kind:     hidden_group_size_y
      - .offset:         472
        .size:           2
        .value_kind:     hidden_group_size_z
      - .offset:         474
        .size:           2
        .value_kind:     hidden_remainder_x
      - .offset:         476
        .size:           2
        .value_kind:     hidden_remainder_y
      - .offset:         478
        .size:           2
        .value_kind:     hidden_remainder_z
      - .offset:         496
        .size:           8
        .value_kind:     hidden_global_offset_x
      - .offset:         504
        .size:           8
        .value_kind:     hidden_global_offset_y
      - .offset:         512
        .size:           8
        .value_kind:     hidden_global_offset_z
      - .offset:         520
        .size:           2
        .value_kind:     hidden_grid_dims
    .group_segment_fixed_size: 0
    .kernarg_segment_align: 8
    .kernarg_segment_size: 712
    .language:       OpenCL C
    .language_version:
      - 2
      - 0
    .max_flat_workgroup_size: 128
    .name:           _ZN2at6native16triu_tril_kernelIfiLb1ELi2ELb0EEEvNS_4cuda6detail10TensorInfoIT_T0_EENS4_IKS5_S6_EEllS6_
    .private_segment_fixed_size: 0
    .sgpr_count:     70
    .sgpr_spill_count: 0
    .symbol:         _ZN2at6native16triu_tril_kernelIfiLb1ELi2ELb0EEEvNS_4cuda6detail10TensorInfoIT_T0_EENS4_IKS5_S6_EEllS6_.kd
    .uniform_work_group_size: 1
    .uses_dynamic_stack: false
    .vgpr_count:     26
    .vgpr_spill_count: 0
    .wavefront_size: 32
    .workgroup_processor_mode: 1
  - .args:
      - .offset:         0
        .size:           416
        .value_kind:     by_value
      - .offset:         416
        .size:           416
        .value_kind:     by_value
      - .offset:         832
        .size:           8
        .value_kind:     by_value
      - .offset:         840
        .size:           8
        .value_kind:     by_value
      - .offset:         848
        .size:           8
        .value_kind:     by_value
      - .offset:         856
        .size:           4
        .value_kind:     hidden_block_count_x
      - .offset:         860
        .size:           4
        .value_kind:     hidden_block_count_y
      - .offset:         864
        .size:           4
        .value_kind:     hidden_block_count_z
      - .offset:         868
        .size:           2
        .value_kind:     hidden_group_size_x
      - .offset:         870
        .size:           2
        .value_kind:     hidden_group_size_y
      - .offset:         872
        .size:           2
        .value_kind:     hidden_group_size_z
      - .offset:         874
        .size:           2
        .value_kind:     hidden_remainder_x
      - .offset:         876
        .size:           2
        .value_kind:     hidden_remainder_y
      - .offset:         878
        .size:           2
        .value_kind:     hidden_remainder_z
      - .offset:         896
        .size:           8
        .value_kind:     hidden_global_offset_x
      - .offset:         904
        .size:           8
        .value_kind:     hidden_global_offset_y
      - .offset:         912
        .size:           8
        .value_kind:     hidden_global_offset_z
      - .offset:         920
        .size:           2
        .value_kind:     hidden_grid_dims
    .group_segment_fixed_size: 0
    .kernarg_segment_align: 8
    .kernarg_segment_size: 1112
    .language:       OpenCL C
    .language_version:
      - 2
      - 0
    .max_flat_workgroup_size: 128
    .name:           _ZN2at6native16triu_tril_kernelIflLb1ELi2ELb1EEEvNS_4cuda6detail10TensorInfoIT_T0_EENS4_IKS5_S6_EEllS6_
    .private_segment_fixed_size: 0
    .sgpr_count:     77
    .sgpr_spill_count: 0
    .symbol:         _ZN2at6native16triu_tril_kernelIflLb1ELi2ELb1EEEvNS_4cuda6detail10TensorInfoIT_T0_EENS4_IKS5_S6_EEllS6_.kd
    .uniform_work_group_size: 1
    .uses_dynamic_stack: false
    .vgpr_count:     30
    .vgpr_spill_count: 0
    .wavefront_size: 32
    .workgroup_processor_mode: 1
  - .args:
      - .offset:         0
        .size:           416
        .value_kind:     by_value
      - .offset:         416
        .size:           416
        .value_kind:     by_value
      - .offset:         832
        .size:           8
        .value_kind:     by_value
      - .offset:         840
        .size:           8
        .value_kind:     by_value
      - .offset:         848
        .size:           8
        .value_kind:     by_value
      - .offset:         856
        .size:           4
        .value_kind:     hidden_block_count_x
      - .offset:         860
        .size:           4
        .value_kind:     hidden_block_count_y
      - .offset:         864
        .size:           4
        .value_kind:     hidden_block_count_z
      - .offset:         868
        .size:           2
        .value_kind:     hidden_group_size_x
      - .offset:         870
        .size:           2
        .value_kind:     hidden_group_size_y
      - .offset:         872
        .size:           2
        .value_kind:     hidden_group_size_z
      - .offset:         874
        .size:           2
        .value_kind:     hidden_remainder_x
      - .offset:         876
        .size:           2
        .value_kind:     hidden_remainder_y
      - .offset:         878
        .size:           2
        .value_kind:     hidden_remainder_z
      - .offset:         896
        .size:           8
        .value_kind:     hidden_global_offset_x
      - .offset:         904
        .size:           8
        .value_kind:     hidden_global_offset_y
      - .offset:         912
        .size:           8
        .value_kind:     hidden_global_offset_z
      - .offset:         920
        .size:           2
        .value_kind:     hidden_grid_dims
    .group_segment_fixed_size: 0
    .kernarg_segment_align: 8
    .kernarg_segment_size: 1112
    .language:       OpenCL C
    .language_version:
      - 2
      - 0
    .max_flat_workgroup_size: 128
    .name:           _ZN2at6native16triu_tril_kernelIflLb1ELi2ELb0EEEvNS_4cuda6detail10TensorInfoIT_T0_EENS4_IKS5_S6_EEllS6_
    .private_segment_fixed_size: 0
    .sgpr_count:     74
    .sgpr_spill_count: 0
    .symbol:         _ZN2at6native16triu_tril_kernelIflLb1ELi2ELb0EEEvNS_4cuda6detail10TensorInfoIT_T0_EENS4_IKS5_S6_EEllS6_.kd
    .uniform_work_group_size: 1
    .uses_dynamic_stack: false
    .vgpr_count:     28
    .vgpr_spill_count: 0
    .wavefront_size: 32
    .workgroup_processor_mode: 1
  - .args:
      - .offset:         0
        .size:           216
        .value_kind:     by_value
      - .offset:         216
        .size:           216
        .value_kind:     by_value
      - .offset:         432
        .size:           8
        .value_kind:     by_value
      - .offset:         440
        .size:           8
        .value_kind:     by_value
      - .offset:         448
        .size:           4
        .value_kind:     by_value
      - .offset:         456
        .size:           4
        .value_kind:     hidden_block_count_x
      - .offset:         460
        .size:           4
        .value_kind:     hidden_block_count_y
      - .offset:         464
        .size:           4
        .value_kind:     hidden_block_count_z
      - .offset:         468
        .size:           2
        .value_kind:     hidden_group_size_x
      - .offset:         470
        .size:           2
        .value_kind:     hidden_group_size_y
      - .offset:         472
        .size:           2
        .value_kind:     hidden_group_size_z
      - .offset:         474
        .size:           2
        .value_kind:     hidden_remainder_x
      - .offset:         476
        .size:           2
        .value_kind:     hidden_remainder_y
      - .offset:         478
        .size:           2
        .value_kind:     hidden_remainder_z
      - .offset:         496
        .size:           8
        .value_kind:     hidden_global_offset_x
      - .offset:         504
        .size:           8
        .value_kind:     hidden_global_offset_y
      - .offset:         512
        .size:           8
        .value_kind:     hidden_global_offset_z
      - .offset:         520
        .size:           2
        .value_kind:     hidden_grid_dims
    .group_segment_fixed_size: 0
    .kernarg_segment_align: 8
    .kernarg_segment_size: 712
    .language:       OpenCL C
    .language_version:
      - 2
      - 0
    .max_flat_workgroup_size: 128
    .name:           _ZN2at6native16triu_tril_kernelIN3c107complexIdEEiLb1ELi1ELb1EEEvNS_4cuda6detail10TensorInfoIT_T0_EENS7_IKS8_S9_EEllS9_
    .private_segment_fixed_size: 0
    .sgpr_count:     68
    .sgpr_spill_count: 0
    .symbol:         _ZN2at6native16triu_tril_kernelIN3c107complexIdEEiLb1ELi1ELb1EEEvNS_4cuda6detail10TensorInfoIT_T0_EENS7_IKS8_S9_EEllS9_.kd
    .uniform_work_group_size: 1
    .uses_dynamic_stack: false
    .vgpr_count:     31
    .vgpr_spill_count: 0
    .wavefront_size: 32
    .workgroup_processor_mode: 1
  - .args:
      - .offset:         0
        .size:           216
        .value_kind:     by_value
      - .offset:         216
        .size:           216
        .value_kind:     by_value
      - .offset:         432
        .size:           8
        .value_kind:     by_value
      - .offset:         440
        .size:           8
        .value_kind:     by_value
      - .offset:         448
        .size:           4
        .value_kind:     by_value
      - .offset:         456
        .size:           4
        .value_kind:     hidden_block_count_x
      - .offset:         460
        .size:           4
        .value_kind:     hidden_block_count_y
      - .offset:         464
        .size:           4
        .value_kind:     hidden_block_count_z
      - .offset:         468
        .size:           2
        .value_kind:     hidden_group_size_x
      - .offset:         470
        .size:           2
        .value_kind:     hidden_group_size_y
      - .offset:         472
        .size:           2
        .value_kind:     hidden_group_size_z
      - .offset:         474
        .size:           2
        .value_kind:     hidden_remainder_x
      - .offset:         476
        .size:           2
        .value_kind:     hidden_remainder_y
      - .offset:         478
        .size:           2
        .value_kind:     hidden_remainder_z
      - .offset:         496
        .size:           8
        .value_kind:     hidden_global_offset_x
      - .offset:         504
        .size:           8
        .value_kind:     hidden_global_offset_y
      - .offset:         512
        .size:           8
        .value_kind:     hidden_global_offset_z
      - .offset:         520
        .size:           2
        .value_kind:     hidden_grid_dims
    .group_segment_fixed_size: 0
    .kernarg_segment_align: 8
    .kernarg_segment_size: 712
    .language:       OpenCL C
    .language_version:
      - 2
      - 0
    .max_flat_workgroup_size: 128
    .name:           _ZN2at6native16triu_tril_kernelIN3c107complexIdEEiLb1ELi1ELb0EEEvNS_4cuda6detail10TensorInfoIT_T0_EENS7_IKS8_S9_EEllS9_
    .private_segment_fixed_size: 0
    .sgpr_count:     68
    .sgpr_spill_count: 0
    .symbol:         _ZN2at6native16triu_tril_kernelIN3c107complexIdEEiLb1ELi1ELb0EEEvNS_4cuda6detail10TensorInfoIT_T0_EENS7_IKS8_S9_EEllS9_.kd
    .uniform_work_group_size: 1
    .uses_dynamic_stack: false
    .vgpr_count:     25
    .vgpr_spill_count: 0
    .wavefront_size: 32
    .workgroup_processor_mode: 1
  - .args:
      - .offset:         0
        .size:           416
        .value_kind:     by_value
      - .offset:         416
        .size:           416
        .value_kind:     by_value
      - .offset:         832
        .size:           8
        .value_kind:     by_value
      - .offset:         840
        .size:           8
        .value_kind:     by_value
      - .offset:         848
        .size:           8
        .value_kind:     by_value
      - .offset:         856
        .size:           4
        .value_kind:     hidden_block_count_x
      - .offset:         860
        .size:           4
        .value_kind:     hidden_block_count_y
      - .offset:         864
        .size:           4
        .value_kind:     hidden_block_count_z
      - .offset:         868
        .size:           2
        .value_kind:     hidden_group_size_x
      - .offset:         870
        .size:           2
        .value_kind:     hidden_group_size_y
      - .offset:         872
        .size:           2
        .value_kind:     hidden_group_size_z
      - .offset:         874
        .size:           2
        .value_kind:     hidden_remainder_x
      - .offset:         876
        .size:           2
        .value_kind:     hidden_remainder_y
      - .offset:         878
        .size:           2
        .value_kind:     hidden_remainder_z
      - .offset:         896
        .size:           8
        .value_kind:     hidden_global_offset_x
      - .offset:         904
        .size:           8
        .value_kind:     hidden_global_offset_y
      - .offset:         912
        .size:           8
        .value_kind:     hidden_global_offset_z
      - .offset:         920
        .size:           2
        .value_kind:     hidden_grid_dims
    .group_segment_fixed_size: 0
    .kernarg_segment_align: 8
    .kernarg_segment_size: 1112
    .language:       OpenCL C
    .language_version:
      - 2
      - 0
    .max_flat_workgroup_size: 128
    .name:           _ZN2at6native16triu_tril_kernelIN3c107complexIdEElLb1ELi1ELb1EEEvNS_4cuda6detail10TensorInfoIT_T0_EENS7_IKS8_S9_EEllS9_
    .private_segment_fixed_size: 0
    .sgpr_count:     75
    .sgpr_spill_count: 0
    .symbol:         _ZN2at6native16triu_tril_kernelIN3c107complexIdEElLb1ELi1ELb1EEEvNS_4cuda6detail10TensorInfoIT_T0_EENS7_IKS8_S9_EEllS9_.kd
    .uniform_work_group_size: 1
    .uses_dynamic_stack: false
    .vgpr_count:     28
    .vgpr_spill_count: 0
    .wavefront_size: 32
    .workgroup_processor_mode: 1
  - .args:
      - .offset:         0
        .size:           416
        .value_kind:     by_value
      - .offset:         416
        .size:           416
        .value_kind:     by_value
      - .offset:         832
        .size:           8
        .value_kind:     by_value
      - .offset:         840
        .size:           8
        .value_kind:     by_value
      - .offset:         848
        .size:           8
        .value_kind:     by_value
      - .offset:         856
        .size:           4
        .value_kind:     hidden_block_count_x
      - .offset:         860
        .size:           4
        .value_kind:     hidden_block_count_y
      - .offset:         864
        .size:           4
        .value_kind:     hidden_block_count_z
      - .offset:         868
        .size:           2
        .value_kind:     hidden_group_size_x
      - .offset:         870
        .size:           2
        .value_kind:     hidden_group_size_y
      - .offset:         872
        .size:           2
        .value_kind:     hidden_group_size_z
      - .offset:         874
        .size:           2
        .value_kind:     hidden_remainder_x
      - .offset:         876
        .size:           2
        .value_kind:     hidden_remainder_y
      - .offset:         878
        .size:           2
        .value_kind:     hidden_remainder_z
      - .offset:         896
        .size:           8
        .value_kind:     hidden_global_offset_x
      - .offset:         904
        .size:           8
        .value_kind:     hidden_global_offset_y
      - .offset:         912
        .size:           8
        .value_kind:     hidden_global_offset_z
      - .offset:         920
        .size:           2
        .value_kind:     hidden_grid_dims
    .group_segment_fixed_size: 0
    .kernarg_segment_align: 8
    .kernarg_segment_size: 1112
    .language:       OpenCL C
    .language_version:
      - 2
      - 0
    .max_flat_workgroup_size: 128
    .name:           _ZN2at6native16triu_tril_kernelIN3c107complexIdEElLb1ELi1ELb0EEEvNS_4cuda6detail10TensorInfoIT_T0_EENS7_IKS8_S9_EEllS9_
    .private_segment_fixed_size: 0
    .sgpr_count:     74
    .sgpr_spill_count: 0
    .symbol:         _ZN2at6native16triu_tril_kernelIN3c107complexIdEElLb1ELi1ELb0EEEvNS_4cuda6detail10TensorInfoIT_T0_EENS7_IKS8_S9_EEllS9_.kd
    .uniform_work_group_size: 1
    .uses_dynamic_stack: false
    .vgpr_count:     28
    .vgpr_spill_count: 0
    .wavefront_size: 32
    .workgroup_processor_mode: 1
  - .args:
      - .offset:         0
        .size:           216
        .value_kind:     by_value
      - .offset:         216
        .size:           216
        .value_kind:     by_value
      - .offset:         432
        .size:           8
        .value_kind:     by_value
      - .offset:         440
        .size:           8
        .value_kind:     by_value
      - .offset:         448
        .size:           4
        .value_kind:     by_value
      - .offset:         456
        .size:           4
        .value_kind:     hidden_block_count_x
      - .offset:         460
        .size:           4
        .value_kind:     hidden_block_count_y
      - .offset:         464
        .size:           4
        .value_kind:     hidden_block_count_z
      - .offset:         468
        .size:           2
        .value_kind:     hidden_group_size_x
      - .offset:         470
        .size:           2
        .value_kind:     hidden_group_size_y
      - .offset:         472
        .size:           2
        .value_kind:     hidden_group_size_z
      - .offset:         474
        .size:           2
        .value_kind:     hidden_remainder_x
      - .offset:         476
        .size:           2
        .value_kind:     hidden_remainder_y
      - .offset:         478
        .size:           2
        .value_kind:     hidden_remainder_z
      - .offset:         496
        .size:           8
        .value_kind:     hidden_global_offset_x
      - .offset:         504
        .size:           8
        .value_kind:     hidden_global_offset_y
      - .offset:         512
        .size:           8
        .value_kind:     hidden_global_offset_z
      - .offset:         520
        .size:           2
        .value_kind:     hidden_grid_dims
    .group_segment_fixed_size: 0
    .kernarg_segment_align: 8
    .kernarg_segment_size: 712
    .language:       OpenCL C
    .language_version:
      - 2
      - 0
    .max_flat_workgroup_size: 128
    .name:           _ZN2at6native16triu_tril_kernelIN3c107complexIfEEiLb1ELi2ELb1EEEvNS_4cuda6detail10TensorInfoIT_T0_EENS7_IKS8_S9_EEllS9_
    .private_segment_fixed_size: 0
    .sgpr_count:     68
    .sgpr_spill_count: 0
    .symbol:         _ZN2at6native16triu_tril_kernelIN3c107complexIfEEiLb1ELi2ELb1EEEvNS_4cuda6detail10TensorInfoIT_T0_EENS7_IKS8_S9_EEllS9_.kd
    .uniform_work_group_size: 1
    .uses_dynamic_stack: false
    .vgpr_count:     32
    .vgpr_spill_count: 0
    .wavefront_size: 32
    .workgroup_processor_mode: 1
  - .args:
      - .offset:         0
        .size:           216
        .value_kind:     by_value
      - .offset:         216
        .size:           216
        .value_kind:     by_value
      - .offset:         432
        .size:           8
        .value_kind:     by_value
      - .offset:         440
        .size:           8
        .value_kind:     by_value
      - .offset:         448
        .size:           4
        .value_kind:     by_value
      - .offset:         456
        .size:           4
        .value_kind:     hidden_block_count_x
      - .offset:         460
        .size:           4
        .value_kind:     hidden_block_count_y
      - .offset:         464
        .size:           4
        .value_kind:     hidden_block_count_z
      - .offset:         468
        .size:           2
        .value_kind:     hidden_group_size_x
      - .offset:         470
        .size:           2
        .value_kind:     hidden_group_size_y
      - .offset:         472
        .size:           2
        .value_kind:     hidden_group_size_z
      - .offset:         474
        .size:           2
        .value_kind:     hidden_remainder_x
      - .offset:         476
        .size:           2
        .value_kind:     hidden_remainder_y
      - .offset:         478
        .size:           2
        .value_kind:     hidden_remainder_z
      - .offset:         496
        .size:           8
        .value_kind:     hidden_global_offset_x
      - .offset:         504
        .size:           8
        .value_kind:     hidden_global_offset_y
      - .offset:         512
        .size:           8
        .value_kind:     hidden_global_offset_z
      - .offset:         520
        .size:           2
        .value_kind:     hidden_grid_dims
    .group_segment_fixed_size: 0
    .kernarg_segment_align: 8
    .kernarg_segment_size: 712
    .language:       OpenCL C
    .language_version:
      - 2
      - 0
    .max_flat_workgroup_size: 128
    .name:           _ZN2at6native16triu_tril_kernelIN3c107complexIfEEiLb1ELi2ELb0EEEvNS_4cuda6detail10TensorInfoIT_T0_EENS7_IKS8_S9_EEllS9_
    .private_segment_fixed_size: 0
    .sgpr_count:     70
    .sgpr_spill_count: 0
    .symbol:         _ZN2at6native16triu_tril_kernelIN3c107complexIfEEiLb1ELi2ELb0EEEvNS_4cuda6detail10TensorInfoIT_T0_EENS7_IKS8_S9_EEllS9_.kd
    .uniform_work_group_size: 1
    .uses_dynamic_stack: false
    .vgpr_count:     26
    .vgpr_spill_count: 0
    .wavefront_size: 32
    .workgroup_processor_mode: 1
  - .args:
      - .offset:         0
        .size:           416
        .value_kind:     by_value
      - .offset:         416
        .size:           416
        .value_kind:     by_value
      - .offset:         832
        .size:           8
        .value_kind:     by_value
      - .offset:         840
        .size:           8
        .value_kind:     by_value
      - .offset:         848
        .size:           8
        .value_kind:     by_value
      - .offset:         856
        .size:           4
        .value_kind:     hidden_block_count_x
      - .offset:         860
        .size:           4
        .value_kind:     hidden_block_count_y
      - .offset:         864
        .size:           4
        .value_kind:     hidden_block_count_z
      - .offset:         868
        .size:           2
        .value_kind:     hidden_group_size_x
      - .offset:         870
        .size:           2
        .value_kind:     hidden_group_size_y
      - .offset:         872
        .size:           2
        .value_kind:     hidden_group_size_z
      - .offset:         874
        .size:           2
        .value_kind:     hidden_remainder_x
      - .offset:         876
        .size:           2
        .value_kind:     hidden_remainder_y
      - .offset:         878
        .size:           2
        .value_kind:     hidden_remainder_z
      - .offset:         896
        .size:           8
        .value_kind:     hidden_global_offset_x
      - .offset:         904
        .size:           8
        .value_kind:     hidden_global_offset_y
      - .offset:         912
        .size:           8
        .value_kind:     hidden_global_offset_z
      - .offset:         920
        .size:           2
        .value_kind:     hidden_grid_dims
    .group_segment_fixed_size: 0
    .kernarg_segment_align: 8
    .kernarg_segment_size: 1112
    .language:       OpenCL C
    .language_version:
      - 2
      - 0
    .max_flat_workgroup_size: 128
    .name:           _ZN2at6native16triu_tril_kernelIN3c107complexIfEElLb1ELi2ELb1EEEvNS_4cuda6detail10TensorInfoIT_T0_EENS7_IKS8_S9_EEllS9_
    .private_segment_fixed_size: 0
    .sgpr_count:     77
    .sgpr_spill_count: 0
    .symbol:         _ZN2at6native16triu_tril_kernelIN3c107complexIfEElLb1ELi2ELb1EEEvNS_4cuda6detail10TensorInfoIT_T0_EENS7_IKS8_S9_EEllS9_.kd
    .uniform_work_group_size: 1
    .uses_dynamic_stack: false
    .vgpr_count:     30
    .vgpr_spill_count: 0
    .wavefront_size: 32
    .workgroup_processor_mode: 1
  - .args:
      - .offset:         0
        .size:           416
        .value_kind:     by_value
      - .offset:         416
        .size:           416
        .value_kind:     by_value
      - .offset:         832
        .size:           8
        .value_kind:     by_value
      - .offset:         840
        .size:           8
        .value_kind:     by_value
      - .offset:         848
        .size:           8
        .value_kind:     by_value
      - .offset:         856
        .size:           4
        .value_kind:     hidden_block_count_x
      - .offset:         860
        .size:           4
        .value_kind:     hidden_block_count_y
      - .offset:         864
        .size:           4
        .value_kind:     hidden_block_count_z
      - .offset:         868
        .size:           2
        .value_kind:     hidden_group_size_x
      - .offset:         870
        .size:           2
        .value_kind:     hidden_group_size_y
      - .offset:         872
        .size:           2
        .value_kind:     hidden_group_size_z
      - .offset:         874
        .size:           2
        .value_kind:     hidden_remainder_x
      - .offset:         876
        .size:           2
        .value_kind:     hidden_remainder_y
      - .offset:         878
        .size:           2
        .value_kind:     hidden_remainder_z
      - .offset:         896
        .size:           8
        .value_kind:     hidden_global_offset_x
      - .offset:         904
        .size:           8
        .value_kind:     hidden_global_offset_y
      - .offset:         912
        .size:           8
        .value_kind:     hidden_global_offset_z
      - .offset:         920
        .size:           2
        .value_kind:     hidden_grid_dims
    .group_segment_fixed_size: 0
    .kernarg_segment_align: 8
    .kernarg_segment_size: 1112
    .language:       OpenCL C
    .language_version:
      - 2
      - 0
    .max_flat_workgroup_size: 128
    .name:           _ZN2at6native16triu_tril_kernelIN3c107complexIfEElLb1ELi2ELb0EEEvNS_4cuda6detail10TensorInfoIT_T0_EENS7_IKS8_S9_EEllS9_
    .private_segment_fixed_size: 0
    .sgpr_count:     74
    .sgpr_spill_count: 0
    .symbol:         _ZN2at6native16triu_tril_kernelIN3c107complexIfEElLb1ELi2ELb0EEEvNS_4cuda6detail10TensorInfoIT_T0_EENS7_IKS8_S9_EEllS9_.kd
    .uniform_work_group_size: 1
    .uses_dynamic_stack: false
    .vgpr_count:     28
    .vgpr_spill_count: 0
    .wavefront_size: 32
    .workgroup_processor_mode: 1
  - .args:
      - .offset:         0
        .size:           216
        .value_kind:     by_value
      - .offset:         216
        .size:           216
        .value_kind:     by_value
      - .offset:         432
        .size:           8
        .value_kind:     by_value
      - .offset:         440
        .size:           8
        .value_kind:     by_value
      - .offset:         448
        .size:           4
        .value_kind:     by_value
      - .offset:         456
        .size:           4
        .value_kind:     hidden_block_count_x
      - .offset:         460
        .size:           4
        .value_kind:     hidden_block_count_y
      - .offset:         464
        .size:           4
        .value_kind:     hidden_block_count_z
      - .offset:         468
        .size:           2
        .value_kind:     hidden_group_size_x
      - .offset:         470
        .size:           2
        .value_kind:     hidden_group_size_y
      - .offset:         472
        .size:           2
        .value_kind:     hidden_group_size_z
      - .offset:         474
        .size:           2
        .value_kind:     hidden_remainder_x
      - .offset:         476
        .size:           2
        .value_kind:     hidden_remainder_y
      - .offset:         478
        .size:           2
        .value_kind:     hidden_remainder_z
      - .offset:         496
        .size:           8
        .value_kind:     hidden_global_offset_x
      - .offset:         504
        .size:           8
        .value_kind:     hidden_global_offset_y
      - .offset:         512
        .size:           8
        .value_kind:     hidden_global_offset_z
      - .offset:         520
        .size:           2
        .value_kind:     hidden_grid_dims
    .group_segment_fixed_size: 0
    .kernarg_segment_align: 8
    .kernarg_segment_size: 712
    .language:       OpenCL C
    .language_version:
      - 2
      - 0
    .max_flat_workgroup_size: 128
    .name:           _ZN2at6native16triu_tril_kernelIN3c107complexINS2_4HalfEEEiLb1ELi2ELb1EEEvNS_4cuda6detail10TensorInfoIT_T0_EENS8_IKS9_SA_EEllSA_
    .private_segment_fixed_size: 0
    .sgpr_count:     68
    .sgpr_spill_count: 0
    .symbol:         _ZN2at6native16triu_tril_kernelIN3c107complexINS2_4HalfEEEiLb1ELi2ELb1EEEvNS_4cuda6detail10TensorInfoIT_T0_EENS8_IKS9_SA_EEllSA_.kd
    .uniform_work_group_size: 1
    .uses_dynamic_stack: false
    .vgpr_count:     32
    .vgpr_spill_count: 0
    .wavefront_size: 32
    .workgroup_processor_mode: 1
  - .args:
      - .offset:         0
        .size:           216
        .value_kind:     by_value
      - .offset:         216
        .size:           216
        .value_kind:     by_value
      - .offset:         432
        .size:           8
        .value_kind:     by_value
      - .offset:         440
        .size:           8
        .value_kind:     by_value
      - .offset:         448
        .size:           4
        .value_kind:     by_value
      - .offset:         456
        .size:           4
        .value_kind:     hidden_block_count_x
      - .offset:         460
        .size:           4
        .value_kind:     hidden_block_count_y
      - .offset:         464
        .size:           4
        .value_kind:     hidden_block_count_z
      - .offset:         468
        .size:           2
        .value_kind:     hidden_group_size_x
      - .offset:         470
        .size:           2
        .value_kind:     hidden_group_size_y
      - .offset:         472
        .size:           2
        .value_kind:     hidden_group_size_z
      - .offset:         474
        .size:           2
        .value_kind:     hidden_remainder_x
      - .offset:         476
        .size:           2
        .value_kind:     hidden_remainder_y
      - .offset:         478
        .size:           2
        .value_kind:     hidden_remainder_z
      - .offset:         496
        .size:           8
        .value_kind:     hidden_global_offset_x
      - .offset:         504
        .size:           8
        .value_kind:     hidden_global_offset_y
      - .offset:         512
        .size:           8
        .value_kind:     hidden_global_offset_z
      - .offset:         520
        .size:           2
        .value_kind:     hidden_grid_dims
    .group_segment_fixed_size: 0
    .kernarg_segment_align: 8
    .kernarg_segment_size: 712
    .language:       OpenCL C
    .language_version:
      - 2
      - 0
    .max_flat_workgroup_size: 128
    .name:           _ZN2at6native16triu_tril_kernelIN3c107complexINS2_4HalfEEEiLb1ELi2ELb0EEEvNS_4cuda6detail10TensorInfoIT_T0_EENS8_IKS9_SA_EEllSA_
    .private_segment_fixed_size: 0
    .sgpr_count:     70
    .sgpr_spill_count: 0
    .symbol:         _ZN2at6native16triu_tril_kernelIN3c107complexINS2_4HalfEEEiLb1ELi2ELb0EEEvNS_4cuda6detail10TensorInfoIT_T0_EENS8_IKS9_SA_EEllSA_.kd
    .uniform_work_group_size: 1
    .uses_dynamic_stack: false
    .vgpr_count:     26
    .vgpr_spill_count: 0
    .wavefront_size: 32
    .workgroup_processor_mode: 1
  - .args:
      - .offset:         0
        .size:           416
        .value_kind:     by_value
      - .offset:         416
        .size:           416
        .value_kind:     by_value
      - .offset:         832
        .size:           8
        .value_kind:     by_value
      - .offset:         840
        .size:           8
        .value_kind:     by_value
      - .offset:         848
        .size:           8
        .value_kind:     by_value
      - .offset:         856
        .size:           4
        .value_kind:     hidden_block_count_x
      - .offset:         860
        .size:           4
        .value_kind:     hidden_block_count_y
      - .offset:         864
        .size:           4
        .value_kind:     hidden_block_count_z
      - .offset:         868
        .size:           2
        .value_kind:     hidden_group_size_x
      - .offset:         870
        .size:           2
        .value_kind:     hidden_group_size_y
      - .offset:         872
        .size:           2
        .value_kind:     hidden_group_size_z
      - .offset:         874
        .size:           2
        .value_kind:     hidden_remainder_x
      - .offset:         876
        .size:           2
        .value_kind:     hidden_remainder_y
      - .offset:         878
        .size:           2
        .value_kind:     hidden_remainder_z
      - .offset:         896
        .size:           8
        .value_kind:     hidden_global_offset_x
      - .offset:         904
        .size:           8
        .value_kind:     hidden_global_offset_y
      - .offset:         912
        .size:           8
        .value_kind:     hidden_global_offset_z
      - .offset:         920
        .size:           2
        .value_kind:     hidden_grid_dims
    .group_segment_fixed_size: 0
    .kernarg_segment_align: 8
    .kernarg_segment_size: 1112
    .language:       OpenCL C
    .language_version:
      - 2
      - 0
    .max_flat_workgroup_size: 128
    .name:           _ZN2at6native16triu_tril_kernelIN3c107complexINS2_4HalfEEElLb1ELi2ELb1EEEvNS_4cuda6detail10TensorInfoIT_T0_EENS8_IKS9_SA_EEllSA_
    .private_segment_fixed_size: 0
    .sgpr_count:     77
    .sgpr_spill_count: 0
    .symbol:         _ZN2at6native16triu_tril_kernelIN3c107complexINS2_4HalfEEElLb1ELi2ELb1EEEvNS_4cuda6detail10TensorInfoIT_T0_EENS8_IKS9_SA_EEllSA_.kd
    .uniform_work_group_size: 1
    .uses_dynamic_stack: false
    .vgpr_count:     30
    .vgpr_spill_count: 0
    .wavefront_size: 32
    .workgroup_processor_mode: 1
  - .args:
      - .offset:         0
        .size:           416
        .value_kind:     by_value
      - .offset:         416
        .size:           416
        .value_kind:     by_value
      - .offset:         832
        .size:           8
        .value_kind:     by_value
      - .offset:         840
        .size:           8
        .value_kind:     by_value
      - .offset:         848
        .size:           8
        .value_kind:     by_value
      - .offset:         856
        .size:           4
        .value_kind:     hidden_block_count_x
      - .offset:         860
        .size:           4
        .value_kind:     hidden_block_count_y
      - .offset:         864
        .size:           4
        .value_kind:     hidden_block_count_z
      - .offset:         868
        .size:           2
        .value_kind:     hidden_group_size_x
      - .offset:         870
        .size:           2
        .value_kind:     hidden_group_size_y
      - .offset:         872
        .size:           2
        .value_kind:     hidden_group_size_z
      - .offset:         874
        .size:           2
        .value_kind:     hidden_remainder_x
      - .offset:         876
        .size:           2
        .value_kind:     hidden_remainder_y
      - .offset:         878
        .size:           2
        .value_kind:     hidden_remainder_z
      - .offset:         896
        .size:           8
        .value_kind:     hidden_global_offset_x
      - .offset:         904
        .size:           8
        .value_kind:     hidden_global_offset_y
      - .offset:         912
        .size:           8
        .value_kind:     hidden_global_offset_z
      - .offset:         920
        .size:           2
        .value_kind:     hidden_grid_dims
    .group_segment_fixed_size: 0
    .kernarg_segment_align: 8
    .kernarg_segment_size: 1112
    .language:       OpenCL C
    .language_version:
      - 2
      - 0
    .max_flat_workgroup_size: 128
    .name:           _ZN2at6native16triu_tril_kernelIN3c107complexINS2_4HalfEEElLb1ELi2ELb0EEEvNS_4cuda6detail10TensorInfoIT_T0_EENS8_IKS9_SA_EEllSA_
    .private_segment_fixed_size: 0
    .sgpr_count:     74
    .sgpr_spill_count: 0
    .symbol:         _ZN2at6native16triu_tril_kernelIN3c107complexINS2_4HalfEEElLb1ELi2ELb0EEEvNS_4cuda6detail10TensorInfoIT_T0_EENS8_IKS9_SA_EEllSA_.kd
    .uniform_work_group_size: 1
    .uses_dynamic_stack: false
    .vgpr_count:     28
    .vgpr_spill_count: 0
    .wavefront_size: 32
    .workgroup_processor_mode: 1
  - .args:
      - .offset:         0
        .size:           216
        .value_kind:     by_value
      - .offset:         216
        .size:           216
        .value_kind:     by_value
      - .offset:         432
        .size:           8
        .value_kind:     by_value
      - .offset:         440
        .size:           8
        .value_kind:     by_value
      - .offset:         448
        .size:           4
        .value_kind:     by_value
      - .offset:         456
        .size:           4
        .value_kind:     hidden_block_count_x
      - .offset:         460
        .size:           4
        .value_kind:     hidden_block_count_y
      - .offset:         464
        .size:           4
        .value_kind:     hidden_block_count_z
      - .offset:         468
        .size:           2
        .value_kind:     hidden_group_size_x
      - .offset:         470
        .size:           2
        .value_kind:     hidden_group_size_y
      - .offset:         472
        .size:           2
        .value_kind:     hidden_group_size_z
      - .offset:         474
        .size:           2
        .value_kind:     hidden_remainder_x
      - .offset:         476
        .size:           2
        .value_kind:     hidden_remainder_y
      - .offset:         478
        .size:           2
        .value_kind:     hidden_remainder_z
      - .offset:         496
        .size:           8
        .value_kind:     hidden_global_offset_x
      - .offset:         504
        .size:           8
        .value_kind:     hidden_global_offset_y
      - .offset:         512
        .size:           8
        .value_kind:     hidden_global_offset_z
      - .offset:         520
        .size:           2
        .value_kind:     hidden_grid_dims
    .group_segment_fixed_size: 0
    .kernarg_segment_align: 8
    .kernarg_segment_size: 712
    .language:       OpenCL C
    .language_version:
      - 2
      - 0
    .max_flat_workgroup_size: 128
    .name:           _ZN2at6native16triu_tril_kernelIN3c104HalfEiLb1ELi4ELb1EEEvNS_4cuda6detail10TensorInfoIT_T0_EENS6_IKS7_S8_EEllS8_
    .private_segment_fixed_size: 0
    .sgpr_count:     68
    .sgpr_spill_count: 0
    .symbol:         _ZN2at6native16triu_tril_kernelIN3c104HalfEiLb1ELi4ELb1EEEvNS_4cuda6detail10TensorInfoIT_T0_EENS6_IKS7_S8_EEllS8_.kd
    .uniform_work_group_size: 1
    .uses_dynamic_stack: false
    .vgpr_count:     32
    .vgpr_spill_count: 0
    .wavefront_size: 32
    .workgroup_processor_mode: 1
  - .args:
      - .offset:         0
        .size:           216
        .value_kind:     by_value
      - .offset:         216
        .size:           216
        .value_kind:     by_value
      - .offset:         432
        .size:           8
        .value_kind:     by_value
      - .offset:         440
        .size:           8
        .value_kind:     by_value
      - .offset:         448
        .size:           4
        .value_kind:     by_value
      - .offset:         456
        .size:           4
        .value_kind:     hidden_block_count_x
      - .offset:         460
        .size:           4
        .value_kind:     hidden_block_count_y
      - .offset:         464
        .size:           4
        .value_kind:     hidden_block_count_z
      - .offset:         468
        .size:           2
        .value_kind:     hidden_group_size_x
      - .offset:         470
        .size:           2
        .value_kind:     hidden_group_size_y
      - .offset:         472
        .size:           2
        .value_kind:     hidden_group_size_z
      - .offset:         474
        .size:           2
        .value_kind:     hidden_remainder_x
      - .offset:         476
        .size:           2
        .value_kind:     hidden_remainder_y
      - .offset:         478
        .size:           2
        .value_kind:     hidden_remainder_z
      - .offset:         496
        .size:           8
        .value_kind:     hidden_global_offset_x
      - .offset:         504
        .size:           8
        .value_kind:     hidden_global_offset_y
      - .offset:         512
        .size:           8
        .value_kind:     hidden_global_offset_z
      - .offset:         520
        .size:           2
        .value_kind:     hidden_grid_dims
    .group_segment_fixed_size: 0
    .kernarg_segment_align: 8
    .kernarg_segment_size: 712
    .language:       OpenCL C
    .language_version:
      - 2
      - 0
    .max_flat_workgroup_size: 128
    .name:           _ZN2at6native16triu_tril_kernelIN3c104HalfEiLb1ELi4ELb0EEEvNS_4cuda6detail10TensorInfoIT_T0_EENS6_IKS7_S8_EEllS8_
    .private_segment_fixed_size: 0
    .sgpr_count:     72
    .sgpr_spill_count: 0
    .symbol:         _ZN2at6native16triu_tril_kernelIN3c104HalfEiLb1ELi4ELb0EEEvNS_4cuda6detail10TensorInfoIT_T0_EENS6_IKS7_S8_EEllS8_.kd
    .uniform_work_group_size: 1
    .uses_dynamic_stack: false
    .vgpr_count:     26
    .vgpr_spill_count: 0
    .wavefront_size: 32
    .workgroup_processor_mode: 1
  - .args:
      - .offset:         0
        .size:           416
        .value_kind:     by_value
      - .offset:         416
        .size:           416
        .value_kind:     by_value
      - .offset:         832
        .size:           8
        .value_kind:     by_value
      - .offset:         840
        .size:           8
        .value_kind:     by_value
      - .offset:         848
        .size:           8
        .value_kind:     by_value
      - .offset:         856
        .size:           4
        .value_kind:     hidden_block_count_x
      - .offset:         860
        .size:           4
        .value_kind:     hidden_block_count_y
      - .offset:         864
        .size:           4
        .value_kind:     hidden_block_count_z
      - .offset:         868
        .size:           2
        .value_kind:     hidden_group_size_x
      - .offset:         870
        .size:           2
        .value_kind:     hidden_group_size_y
      - .offset:         872
        .size:           2
        .value_kind:     hidden_group_size_z
      - .offset:         874
        .size:           2
        .value_kind:     hidden_remainder_x
      - .offset:         876
        .size:           2
        .value_kind:     hidden_remainder_y
      - .offset:         878
        .size:           2
        .value_kind:     hidden_remainder_z
      - .offset:         896
        .size:           8
        .value_kind:     hidden_global_offset_x
      - .offset:         904
        .size:           8
        .value_kind:     hidden_global_offset_y
      - .offset:         912
        .size:           8
        .value_kind:     hidden_global_offset_z
      - .offset:         920
        .size:           2
        .value_kind:     hidden_grid_dims
    .group_segment_fixed_size: 0
    .kernarg_segment_align: 8
    .kernarg_segment_size: 1112
    .language:       OpenCL C
    .language_version:
      - 2
      - 0
    .max_flat_workgroup_size: 128
    .name:           _ZN2at6native16triu_tril_kernelIN3c104HalfElLb1ELi4ELb1EEEvNS_4cuda6detail10TensorInfoIT_T0_EENS6_IKS7_S8_EEllS8_
    .private_segment_fixed_size: 0
    .sgpr_count:     77
    .sgpr_spill_count: 0
    .symbol:         _ZN2at6native16triu_tril_kernelIN3c104HalfElLb1ELi4ELb1EEEvNS_4cuda6detail10TensorInfoIT_T0_EENS6_IKS7_S8_EEllS8_.kd
    .uniform_work_group_size: 1
    .uses_dynamic_stack: false
    .vgpr_count:     30
    .vgpr_spill_count: 0
    .wavefront_size: 32
    .workgroup_processor_mode: 1
  - .args:
      - .offset:         0
        .size:           416
        .value_kind:     by_value
      - .offset:         416
        .size:           416
        .value_kind:     by_value
      - .offset:         832
        .size:           8
        .value_kind:     by_value
      - .offset:         840
        .size:           8
        .value_kind:     by_value
      - .offset:         848
        .size:           8
        .value_kind:     by_value
      - .offset:         856
        .size:           4
        .value_kind:     hidden_block_count_x
      - .offset:         860
        .size:           4
        .value_kind:     hidden_block_count_y
      - .offset:         864
        .size:           4
        .value_kind:     hidden_block_count_z
      - .offset:         868
        .size:           2
        .value_kind:     hidden_group_size_x
      - .offset:         870
        .size:           2
        .value_kind:     hidden_group_size_y
      - .offset:         872
        .size:           2
        .value_kind:     hidden_group_size_z
      - .offset:         874
        .size:           2
        .value_kind:     hidden_remainder_x
      - .offset:         876
        .size:           2
        .value_kind:     hidden_remainder_y
      - .offset:         878
        .size:           2
        .value_kind:     hidden_remainder_z
      - .offset:         896
        .size:           8
        .value_kind:     hidden_global_offset_x
      - .offset:         904
        .size:           8
        .value_kind:     hidden_global_offset_y
      - .offset:         912
        .size:           8
        .value_kind:     hidden_global_offset_z
      - .offset:         920
        .size:           2
        .value_kind:     hidden_grid_dims
    .group_segment_fixed_size: 0
    .kernarg_segment_align: 8
    .kernarg_segment_size: 1112
    .language:       OpenCL C
    .language_version:
      - 2
      - 0
    .max_flat_workgroup_size: 128
    .name:           _ZN2at6native16triu_tril_kernelIN3c104HalfElLb1ELi4ELb0EEEvNS_4cuda6detail10TensorInfoIT_T0_EENS6_IKS7_S8_EEllS8_
    .private_segment_fixed_size: 0
    .sgpr_count:     82
    .sgpr_spill_count: 0
    .symbol:         _ZN2at6native16triu_tril_kernelIN3c104HalfElLb1ELi4ELb0EEEvNS_4cuda6detail10TensorInfoIT_T0_EENS6_IKS7_S8_EEllS8_.kd
    .uniform_work_group_size: 1
    .uses_dynamic_stack: false
    .vgpr_count:     28
    .vgpr_spill_count: 0
    .wavefront_size: 32
    .workgroup_processor_mode: 1
  - .args:
      - .offset:         0
        .size:           216
        .value_kind:     by_value
      - .offset:         216
        .size:           216
        .value_kind:     by_value
      - .offset:         432
        .size:           8
        .value_kind:     by_value
      - .offset:         440
        .size:           8
        .value_kind:     by_value
      - .offset:         448
        .size:           4
        .value_kind:     by_value
      - .offset:         456
        .size:           4
        .value_kind:     hidden_block_count_x
      - .offset:         460
        .size:           4
        .value_kind:     hidden_block_count_y
      - .offset:         464
        .size:           4
        .value_kind:     hidden_block_count_z
      - .offset:         468
        .size:           2
        .value_kind:     hidden_group_size_x
      - .offset:         470
        .size:           2
        .value_kind:     hidden_group_size_y
      - .offset:         472
        .size:           2
        .value_kind:     hidden_group_size_z
      - .offset:         474
        .size:           2
        .value_kind:     hidden_remainder_x
      - .offset:         476
        .size:           2
        .value_kind:     hidden_remainder_y
      - .offset:         478
        .size:           2
        .value_kind:     hidden_remainder_z
      - .offset:         496
        .size:           8
        .value_kind:     hidden_global_offset_x
      - .offset:         504
        .size:           8
        .value_kind:     hidden_global_offset_y
      - .offset:         512
        .size:           8
        .value_kind:     hidden_global_offset_z
      - .offset:         520
        .size:           2
        .value_kind:     hidden_grid_dims
    .group_segment_fixed_size: 0
    .kernarg_segment_align: 8
    .kernarg_segment_size: 712
    .language:       OpenCL C
    .language_version:
      - 2
      - 0
    .max_flat_workgroup_size: 128
    .name:           _ZN2at6native16triu_tril_kernelIN3c108BFloat16EiLb1ELi4ELb1EEEvNS_4cuda6detail10TensorInfoIT_T0_EENS6_IKS7_S8_EEllS8_
    .private_segment_fixed_size: 0
    .sgpr_count:     68
    .sgpr_spill_count: 0
    .symbol:         _ZN2at6native16triu_tril_kernelIN3c108BFloat16EiLb1ELi4ELb1EEEvNS_4cuda6detail10TensorInfoIT_T0_EENS6_IKS7_S8_EEllS8_.kd
    .uniform_work_group_size: 1
    .uses_dynamic_stack: false
    .vgpr_count:     32
    .vgpr_spill_count: 0
    .wavefront_size: 32
    .workgroup_processor_mode: 1
  - .args:
      - .offset:         0
        .size:           216
        .value_kind:     by_value
      - .offset:         216
        .size:           216
        .value_kind:     by_value
      - .offset:         432
        .size:           8
        .value_kind:     by_value
      - .offset:         440
        .size:           8
        .value_kind:     by_value
      - .offset:         448
        .size:           4
        .value_kind:     by_value
      - .offset:         456
        .size:           4
        .value_kind:     hidden_block_count_x
      - .offset:         460
        .size:           4
        .value_kind:     hidden_block_count_y
      - .offset:         464
        .size:           4
        .value_kind:     hidden_block_count_z
      - .offset:         468
        .size:           2
        .value_kind:     hidden_group_size_x
      - .offset:         470
        .size:           2
        .value_kind:     hidden_group_size_y
      - .offset:         472
        .size:           2
        .value_kind:     hidden_group_size_z
      - .offset:         474
        .size:           2
        .value_kind:     hidden_remainder_x
      - .offset:         476
        .size:           2
        .value_kind:     hidden_remainder_y
      - .offset:         478
        .size:           2
        .value_kind:     hidden_remainder_z
      - .offset:         496
        .size:           8
        .value_kind:     hidden_global_offset_x
      - .offset:         504
        .size:           8
        .value_kind:     hidden_global_offset_y
      - .offset:         512
        .size:           8
        .value_kind:     hidden_global_offset_z
      - .offset:         520
        .size:           2
        .value_kind:     hidden_grid_dims
    .group_segment_fixed_size: 0
    .kernarg_segment_align: 8
    .kernarg_segment_size: 712
    .language:       OpenCL C
    .language_version:
      - 2
      - 0
    .max_flat_workgroup_size: 128
    .name:           _ZN2at6native16triu_tril_kernelIN3c108BFloat16EiLb1ELi4ELb0EEEvNS_4cuda6detail10TensorInfoIT_T0_EENS6_IKS7_S8_EEllS8_
    .private_segment_fixed_size: 0
    .sgpr_count:     72
    .sgpr_spill_count: 0
    .symbol:         _ZN2at6native16triu_tril_kernelIN3c108BFloat16EiLb1ELi4ELb0EEEvNS_4cuda6detail10TensorInfoIT_T0_EENS6_IKS7_S8_EEllS8_.kd
    .uniform_work_group_size: 1
    .uses_dynamic_stack: false
    .vgpr_count:     26
    .vgpr_spill_count: 0
    .wavefront_size: 32
    .workgroup_processor_mode: 1
  - .args:
      - .offset:         0
        .size:           416
        .value_kind:     by_value
      - .offset:         416
        .size:           416
        .value_kind:     by_value
      - .offset:         832
        .size:           8
        .value_kind:     by_value
      - .offset:         840
        .size:           8
        .value_kind:     by_value
      - .offset:         848
        .size:           8
        .value_kind:     by_value
      - .offset:         856
        .size:           4
        .value_kind:     hidden_block_count_x
      - .offset:         860
        .size:           4
        .value_kind:     hidden_block_count_y
      - .offset:         864
        .size:           4
        .value_kind:     hidden_block_count_z
      - .offset:         868
        .size:           2
        .value_kind:     hidden_group_size_x
      - .offset:         870
        .size:           2
        .value_kind:     hidden_group_size_y
      - .offset:         872
        .size:           2
        .value_kind:     hidden_group_size_z
      - .offset:         874
        .size:           2
        .value_kind:     hidden_remainder_x
      - .offset:         876
        .size:           2
        .value_kind:     hidden_remainder_y
      - .offset:         878
        .size:           2
        .value_kind:     hidden_remainder_z
      - .offset:         896
        .size:           8
        .value_kind:     hidden_global_offset_x
      - .offset:         904
        .size:           8
        .value_kind:     hidden_global_offset_y
      - .offset:         912
        .size:           8
        .value_kind:     hidden_global_offset_z
      - .offset:         920
        .size:           2
        .value_kind:     hidden_grid_dims
    .group_segment_fixed_size: 0
    .kernarg_segment_align: 8
    .kernarg_segment_size: 1112
    .language:       OpenCL C
    .language_version:
      - 2
      - 0
    .max_flat_workgroup_size: 128
    .name:           _ZN2at6native16triu_tril_kernelIN3c108BFloat16ElLb1ELi4ELb1EEEvNS_4cuda6detail10TensorInfoIT_T0_EENS6_IKS7_S8_EEllS8_
    .private_segment_fixed_size: 0
    .sgpr_count:     77
    .sgpr_spill_count: 0
    .symbol:         _ZN2at6native16triu_tril_kernelIN3c108BFloat16ElLb1ELi4ELb1EEEvNS_4cuda6detail10TensorInfoIT_T0_EENS6_IKS7_S8_EEllS8_.kd
    .uniform_work_group_size: 1
    .uses_dynamic_stack: false
    .vgpr_count:     30
    .vgpr_spill_count: 0
    .wavefront_size: 32
    .workgroup_processor_mode: 1
  - .args:
      - .offset:         0
        .size:           416
        .value_kind:     by_value
      - .offset:         416
        .size:           416
        .value_kind:     by_value
      - .offset:         832
        .size:           8
        .value_kind:     by_value
      - .offset:         840
        .size:           8
        .value_kind:     by_value
      - .offset:         848
        .size:           8
        .value_kind:     by_value
      - .offset:         856
        .size:           4
        .value_kind:     hidden_block_count_x
      - .offset:         860
        .size:           4
        .value_kind:     hidden_block_count_y
      - .offset:         864
        .size:           4
        .value_kind:     hidden_block_count_z
      - .offset:         868
        .size:           2
        .value_kind:     hidden_group_size_x
      - .offset:         870
        .size:           2
        .value_kind:     hidden_group_size_y
      - .offset:         872
        .size:           2
        .value_kind:     hidden_group_size_z
      - .offset:         874
        .size:           2
        .value_kind:     hidden_remainder_x
      - .offset:         876
        .size:           2
        .value_kind:     hidden_remainder_y
      - .offset:         878
        .size:           2
        .value_kind:     hidden_remainder_z
      - .offset:         896
        .size:           8
        .value_kind:     hidden_global_offset_x
      - .offset:         904
        .size:           8
        .value_kind:     hidden_global_offset_y
      - .offset:         912
        .size:           8
        .value_kind:     hidden_global_offset_z
      - .offset:         920
        .size:           2
        .value_kind:     hidden_grid_dims
    .group_segment_fixed_size: 0
    .kernarg_segment_align: 8
    .kernarg_segment_size: 1112
    .language:       OpenCL C
    .language_version:
      - 2
      - 0
    .max_flat_workgroup_size: 128
    .name:           _ZN2at6native16triu_tril_kernelIN3c108BFloat16ElLb1ELi4ELb0EEEvNS_4cuda6detail10TensorInfoIT_T0_EENS6_IKS7_S8_EEllS8_
    .private_segment_fixed_size: 0
    .sgpr_count:     82
    .sgpr_spill_count: 0
    .symbol:         _ZN2at6native16triu_tril_kernelIN3c108BFloat16ElLb1ELi4ELb0EEEvNS_4cuda6detail10TensorInfoIT_T0_EENS6_IKS7_S8_EEllS8_.kd
    .uniform_work_group_size: 1
    .uses_dynamic_stack: false
    .vgpr_count:     28
    .vgpr_spill_count: 0
    .wavefront_size: 32
    .workgroup_processor_mode: 1
  - .args:
      - .offset:         0
        .size:           216
        .value_kind:     by_value
      - .offset:         216
        .size:           216
        .value_kind:     by_value
      - .offset:         432
        .size:           8
        .value_kind:     by_value
      - .offset:         440
        .size:           8
        .value_kind:     by_value
      - .offset:         448
        .size:           4
        .value_kind:     by_value
      - .offset:         456
        .size:           4
        .value_kind:     hidden_block_count_x
      - .offset:         460
        .size:           4
        .value_kind:     hidden_block_count_y
      - .offset:         464
        .size:           4
        .value_kind:     hidden_block_count_z
      - .offset:         468
        .size:           2
        .value_kind:     hidden_group_size_x
      - .offset:         470
        .size:           2
        .value_kind:     hidden_group_size_y
      - .offset:         472
        .size:           2
        .value_kind:     hidden_group_size_z
      - .offset:         474
        .size:           2
        .value_kind:     hidden_remainder_x
      - .offset:         476
        .size:           2
        .value_kind:     hidden_remainder_y
      - .offset:         478
        .size:           2
        .value_kind:     hidden_remainder_z
      - .offset:         496
        .size:           8
        .value_kind:     hidden_global_offset_x
      - .offset:         504
        .size:           8
        .value_kind:     hidden_global_offset_y
      - .offset:         512
        .size:           8
        .value_kind:     hidden_global_offset_z
      - .offset:         520
        .size:           2
        .value_kind:     hidden_grid_dims
    .group_segment_fixed_size: 0
    .kernarg_segment_align: 8
    .kernarg_segment_size: 712
    .language:       OpenCL C
    .language_version:
      - 2
      - 0
    .max_flat_workgroup_size: 128
    .name:           _ZN2at6native16triu_tril_kernelIbiLb1ELi4ELb1EEEvNS_4cuda6detail10TensorInfoIT_T0_EENS4_IKS5_S6_EEllS6_
    .private_segment_fixed_size: 0
    .sgpr_count:     68
    .sgpr_spill_count: 0
    .symbol:         _ZN2at6native16triu_tril_kernelIbiLb1ELi4ELb1EEEvNS_4cuda6detail10TensorInfoIT_T0_EENS4_IKS5_S6_EEllS6_.kd
    .uniform_work_group_size: 1
    .uses_dynamic_stack: false
    .vgpr_count:     32
    .vgpr_spill_count: 0
    .wavefront_size: 32
    .workgroup_processor_mode: 1
  - .args:
      - .offset:         0
        .size:           216
        .value_kind:     by_value
      - .offset:         216
        .size:           216
        .value_kind:     by_value
      - .offset:         432
        .size:           8
        .value_kind:     by_value
      - .offset:         440
        .size:           8
        .value_kind:     by_value
      - .offset:         448
        .size:           4
        .value_kind:     by_value
      - .offset:         456
        .size:           4
        .value_kind:     hidden_block_count_x
      - .offset:         460
        .size:           4
        .value_kind:     hidden_block_count_y
      - .offset:         464
        .size:           4
        .value_kind:     hidden_block_count_z
      - .offset:         468
        .size:           2
        .value_kind:     hidden_group_size_x
      - .offset:         470
        .size:           2
        .value_kind:     hidden_group_size_y
      - .offset:         472
        .size:           2
        .value_kind:     hidden_group_size_z
      - .offset:         474
        .size:           2
        .value_kind:     hidden_remainder_x
      - .offset:         476
        .size:           2
        .value_kind:     hidden_remainder_y
      - .offset:         478
        .size:           2
        .value_kind:     hidden_remainder_z
      - .offset:         496
        .size:           8
        .value_kind:     hidden_global_offset_x
      - .offset:         504
        .size:           8
        .value_kind:     hidden_global_offset_y
      - .offset:         512
        .size:           8
        .value_kind:     hidden_global_offset_z
      - .offset:         520
        .size:           2
        .value_kind:     hidden_grid_dims
    .group_segment_fixed_size: 0
    .kernarg_segment_align: 8
    .kernarg_segment_size: 712
    .language:       OpenCL C
    .language_version:
      - 2
      - 0
    .max_flat_workgroup_size: 128
    .name:           _ZN2at6native16triu_tril_kernelIbiLb1ELi4ELb0EEEvNS_4cuda6detail10TensorInfoIT_T0_EENS4_IKS5_S6_EEllS6_
    .private_segment_fixed_size: 0
    .sgpr_count:     72
    .sgpr_spill_count: 0
    .symbol:         _ZN2at6native16triu_tril_kernelIbiLb1ELi4ELb0EEEvNS_4cuda6detail10TensorInfoIT_T0_EENS4_IKS5_S6_EEllS6_.kd
    .uniform_work_group_size: 1
    .uses_dynamic_stack: false
    .vgpr_count:     26
    .vgpr_spill_count: 0
    .wavefront_size: 32
    .workgroup_processor_mode: 1
  - .args:
      - .offset:         0
        .size:           416
        .value_kind:     by_value
      - .offset:         416
        .size:           416
        .value_kind:     by_value
      - .offset:         832
        .size:           8
        .value_kind:     by_value
      - .offset:         840
        .size:           8
        .value_kind:     by_value
      - .offset:         848
        .size:           8
        .value_kind:     by_value
      - .offset:         856
        .size:           4
        .value_kind:     hidden_block_count_x
      - .offset:         860
        .size:           4
        .value_kind:     hidden_block_count_y
      - .offset:         864
        .size:           4
        .value_kind:     hidden_block_count_z
      - .offset:         868
        .size:           2
        .value_kind:     hidden_group_size_x
      - .offset:         870
        .size:           2
        .value_kind:     hidden_group_size_y
      - .offset:         872
        .size:           2
        .value_kind:     hidden_group_size_z
      - .offset:         874
        .size:           2
        .value_kind:     hidden_remainder_x
      - .offset:         876
        .size:           2
        .value_kind:     hidden_remainder_y
      - .offset:         878
        .size:           2
        .value_kind:     hidden_remainder_z
      - .offset:         896
        .size:           8
        .value_kind:     hidden_global_offset_x
      - .offset:         904
        .size:           8
        .value_kind:     hidden_global_offset_y
      - .offset:         912
        .size:           8
        .value_kind:     hidden_global_offset_z
      - .offset:         920
        .size:           2
        .value_kind:     hidden_grid_dims
    .group_segment_fixed_size: 0
    .kernarg_segment_align: 8
    .kernarg_segment_size: 1112
    .language:       OpenCL C
    .language_version:
      - 2
      - 0
    .max_flat_workgroup_size: 128
    .name:           _ZN2at6native16triu_tril_kernelIblLb1ELi4ELb1EEEvNS_4cuda6detail10TensorInfoIT_T0_EENS4_IKS5_S6_EEllS6_
    .private_segment_fixed_size: 0
    .sgpr_count:     77
    .sgpr_spill_count: 0
    .symbol:         _ZN2at6native16triu_tril_kernelIblLb1ELi4ELb1EEEvNS_4cuda6detail10TensorInfoIT_T0_EENS4_IKS5_S6_EEllS6_.kd
    .uniform_work_group_size: 1
    .uses_dynamic_stack: false
    .vgpr_count:     30
    .vgpr_spill_count: 0
    .wavefront_size: 32
    .workgroup_processor_mode: 1
  - .args:
      - .offset:         0
        .size:           416
        .value_kind:     by_value
      - .offset:         416
        .size:           416
        .value_kind:     by_value
      - .offset:         832
        .size:           8
        .value_kind:     by_value
      - .offset:         840
        .size:           8
        .value_kind:     by_value
      - .offset:         848
        .size:           8
        .value_kind:     by_value
      - .offset:         856
        .size:           4
        .value_kind:     hidden_block_count_x
      - .offset:         860
        .size:           4
        .value_kind:     hidden_block_count_y
      - .offset:         864
        .size:           4
        .value_kind:     hidden_block_count_z
      - .offset:         868
        .size:           2
        .value_kind:     hidden_group_size_x
      - .offset:         870
        .size:           2
        .value_kind:     hidden_group_size_y
      - .offset:         872
        .size:           2
        .value_kind:     hidden_group_size_z
      - .offset:         874
        .size:           2
        .value_kind:     hidden_remainder_x
      - .offset:         876
        .size:           2
        .value_kind:     hidden_remainder_y
      - .offset:         878
        .size:           2
        .value_kind:     hidden_remainder_z
      - .offset:         896
        .size:           8
        .value_kind:     hidden_global_offset_x
      - .offset:         904
        .size:           8
        .value_kind:     hidden_global_offset_y
      - .offset:         912
        .size:           8
        .value_kind:     hidden_global_offset_z
      - .offset:         920
        .size:           2
        .value_kind:     hidden_grid_dims
    .group_segment_fixed_size: 0
    .kernarg_segment_align: 8
    .kernarg_segment_size: 1112
    .language:       OpenCL C
    .language_version:
      - 2
      - 0
    .max_flat_workgroup_size: 128
    .name:           _ZN2at6native16triu_tril_kernelIblLb1ELi4ELb0EEEvNS_4cuda6detail10TensorInfoIT_T0_EENS4_IKS5_S6_EEllS6_
    .private_segment_fixed_size: 0
    .sgpr_count:     74
    .sgpr_spill_count: 0
    .symbol:         _ZN2at6native16triu_tril_kernelIblLb1ELi4ELb0EEEvNS_4cuda6detail10TensorInfoIT_T0_EENS4_IKS5_S6_EEllS6_.kd
    .uniform_work_group_size: 1
    .uses_dynamic_stack: false
    .vgpr_count:     28
    .vgpr_spill_count: 0
    .wavefront_size: 32
    .workgroup_processor_mode: 1
amdhsa.target:   amdgcn-amd-amdhsa--gfx1201
amdhsa.version:
  - 1
  - 2
...

	.end_amdgpu_metadata
